;; amdgpu-corpus repo=ROCm/hipCUB kind=compiled arch=gfx906 opt=O3
	.amdgcn_target "amdgcn-amd-amdhsa--gfx906"
	.amdhsa_code_object_version 6
	.section	.text._Z11rank_kernelIiLj4ELb0EL18RadixRankAlgorithm0ELj128ELj1ELj10EEvPKT_Pi,"axG",@progbits,_Z11rank_kernelIiLj4ELb0EL18RadixRankAlgorithm0ELj128ELj1ELj10EEvPKT_Pi,comdat
	.protected	_Z11rank_kernelIiLj4ELb0EL18RadixRankAlgorithm0ELj128ELj1ELj10EEvPKT_Pi ; -- Begin function _Z11rank_kernelIiLj4ELb0EL18RadixRankAlgorithm0ELj128ELj1ELj10EEvPKT_Pi
	.globl	_Z11rank_kernelIiLj4ELb0EL18RadixRankAlgorithm0ELj128ELj1ELj10EEvPKT_Pi
	.p2align	8
	.type	_Z11rank_kernelIiLj4ELb0EL18RadixRankAlgorithm0ELj128ELj1ELj10EEvPKT_Pi,@function
_Z11rank_kernelIiLj4ELb0EL18RadixRankAlgorithm0ELj128ELj1ELj10EEvPKT_Pi: ; @_Z11rank_kernelIiLj4ELb0EL18RadixRankAlgorithm0ELj128ELj1ELj10EEvPKT_Pi
; %bb.0:
	s_load_dwordx4 s[20:23], s[4:5], 0x0
	s_lshl_b32 s26, s6, 7
	s_mov_b32 s27, 0
	s_lshl_b64 s[24:25], s[26:27], 2
	v_lshlrev_b32_e32 v1, 2, v0
	s_waitcnt lgkmcnt(0)
	s_add_u32 s0, s20, s24
	s_addc_u32 s1, s21, s25
	global_load_dword v7, v1, s[0:1]
	v_mbcnt_lo_u32_b32 v4, -1, 0
	v_mbcnt_hi_u32_b32 v6, -1, v4
	v_or_b32_e32 v5, 63, v0
	v_lshrrev_b32_e32 v8, 4, v0
	v_subrev_co_u32_e64 v11, s[6:7], 1, v6
	v_and_b32_e32 v12, 64, v6
	v_and_b32_e32 v9, 15, v6
	v_and_b32_e32 v10, 16, v6
	v_cmp_eq_u32_e64 s[4:5], v0, v5
	v_and_b32_e32 v5, 4, v8
	v_and_b32_e32 v8, 1, v6
	v_cmp_lt_i32_e64 s[18:19], v11, v12
	s_movk_i32 s20, 0x380
	v_cmp_lt_u32_e64 s[2:3], 31, v6
	v_cmp_eq_u32_e64 s[8:9], 0, v9
	v_cmp_lt_u32_e64 s[10:11], 1, v9
	v_cmp_lt_u32_e64 s[12:13], 3, v9
	;; [unrolled: 1-line block ×3, first 2 shown]
	v_cmp_eq_u32_e64 s[16:17], 0, v10
	v_cndmask_b32_e64 v6, v11, v6, s[18:19]
	v_cmp_eq_u32_e64 s[18:19], 0, v8
	v_lshlrev_b32_e32 v3, 5, v0
	v_mul_i32_i24_e32 v15, 0xffffffe4, v0
	v_mov_b32_e32 v2, 0
	s_movk_i32 s26, 0x37f
	v_cmp_gt_u32_e32 vcc, 2, v0
	v_cmp_lt_u32_e64 s[0:1], 63, v0
	v_or_b32_e32 v4, 0xffffff80, v0
	v_lshlrev_b32_e32 v6, 2, v6
	v_add_u32_e32 v15, v3, v15
	s_waitcnt vmcnt(0)
	v_not_b32_e32 v8, v7
	v_lshlrev_b32_e32 v9, 28, v7
	v_lshlrev_b32_e32 v10, 7, v7
	;; [unrolled: 1-line block ×5, first 2 shown]
	v_lshrrev_b32_e32 v14, 1, v7
	v_lshlrev_b32_e32 v16, 16, v7
	v_lshrrev_b32_e32 v17, 5, v7
	v_lshlrev_b32_e32 v18, 12, v7
	v_lshrrev_b32_e32 v19, 9, v7
	v_lshlrev_b32_e32 v20, 8, v7
	v_lshrrev_b32_e32 v21, 13, v7
	v_lshlrev_b32_e32 v22, 4, v7
	v_lshrrev_b32_e32 v23, 17, v7
	v_lshrrev_b32_e32 v7, 21, v7
	v_and_or_b32 v10, v10, s20, v0
	v_and_or_b32 v12, v12, s20, v0
	;; [unrolled: 1-line block ×8, first 2 shown]
	v_alignbit_b32 v9, v10, v9, 31
	v_alignbit_b32 v10, v12, v11, 31
	;; [unrolled: 1-line block ×8, first 2 shown]
	v_lshlrev_b32_e32 v7, 1, v9
	v_lshlrev_b32_e32 v8, 1, v10
	;; [unrolled: 1-line block ×8, first 2 shown]
	s_branch .LBB0_2
.LBB0_1:                                ;   in Loop: Header=BB0_2 Depth=1
	s_or_b64 exec, exec, s[20:21]
	s_waitcnt lgkmcnt(0)
	v_add_u32_e32 v17, v18, v17
	ds_bpermute_b32 v17, v6, v17
	ds_read_b32 v25, v2 offset:4100
	ds_read2_b64 v[19:22], v3 offset1:1
	ds_read_b64 v[23:24], v3 offset:16
	ds_read_b32 v26, v3 offset:24
	s_add_i32 s27, s27, 1
	s_cmp_eq_u32 s27, 10
	s_waitcnt lgkmcnt(4)
	v_cndmask_b32_e64 v17, v17, v18, s[6:7]
	s_waitcnt lgkmcnt(3)
	v_lshl_add_u32 v17, v25, 16, v17
	s_waitcnt lgkmcnt(2)
	v_add_u32_e32 v18, v17, v19
	v_add_u32_e32 v19, v20, v18
	;; [unrolled: 1-line block ×3, first 2 shown]
	ds_write2_b64 v3, v[17:18], v[19:20] offset1:1
	v_add_u32_e32 v17, v22, v20
	s_waitcnt lgkmcnt(2)
	v_add_u32_e32 v18, v23, v17
	v_add_u32_e32 v19, v24, v18
	s_waitcnt lgkmcnt(1)
	v_add_u32_e32 v20, v26, v19
	ds_write2_b64 v3, v[17:18], v[19:20] offset0:2 offset1:3
	s_waitcnt lgkmcnt(0)
	s_barrier
	s_cbranch_scc1 .LBB0_66
.LBB0_2:                                ; =>This Loop Header: Depth=1
                                        ;     Child Loop BB0_3 Depth 2
                                        ;     Child Loop BB0_11 Depth 2
	;; [unrolled: 1-line block ×8, first 2 shown]
	s_mov_b64 s[28:29], 0
	v_mov_b32_e32 v16, v4
	v_mov_b32_e32 v17, v1
.LBB0_3:                                ;   Parent Loop BB0_2 Depth=1
                                        ; =>  This Inner Loop Header: Depth=2
	v_add_u32_e32 v16, 0x80, v16
	v_cmp_lt_u32_e64 s[20:21], s26, v16
	ds_write_b32 v17, v2
	s_or_b64 s[28:29], s[20:21], s[28:29]
	v_add_u32_e32 v17, 0x200, v17
	s_andn2_b64 exec, exec, s[28:29]
	s_cbranch_execnz .LBB0_3
; %bb.4:                                ;   in Loop: Header=BB0_2 Depth=1
	s_or_b64 exec, exec, s[28:29]
	ds_read_u16 v16, v7
	s_waitcnt lgkmcnt(0)
	v_add_u16_e32 v16, 1, v16
	ds_write_b16 v7, v16
	s_waitcnt lgkmcnt(0)
	s_barrier
	ds_read2_b64 v[16:19], v3 offset1:1
	ds_read2_b64 v[20:23], v3 offset0:2 offset1:3
	s_waitcnt lgkmcnt(1)
	v_add_u32_e32 v16, v17, v16
	v_add3_u32 v16, v16, v18, v19
	s_waitcnt lgkmcnt(0)
	v_add3_u32 v16, v16, v20, v21
	v_add3_u32 v16, v16, v22, v23
	s_nop 1
	v_mov_b32_dpp v17, v16 row_shr:1 row_mask:0xf bank_mask:0xf
	v_cndmask_b32_e64 v17, v17, 0, s[8:9]
	v_add_u32_e32 v16, v17, v16
	s_nop 1
	v_mov_b32_dpp v17, v16 row_shr:2 row_mask:0xf bank_mask:0xf
	v_cndmask_b32_e64 v17, 0, v17, s[10:11]
	v_add_u32_e32 v16, v16, v17
	;; [unrolled: 4-line block ×4, first 2 shown]
	s_nop 1
	v_mov_b32_dpp v17, v16 row_bcast:15 row_mask:0xf bank_mask:0xf
	v_cndmask_b32_e64 v17, v17, 0, s[16:17]
	v_add_u32_e32 v16, v16, v17
	s_nop 1
	v_mov_b32_dpp v17, v16 row_bcast:31 row_mask:0xf bank_mask:0xf
	v_cndmask_b32_e64 v17, 0, v17, s[2:3]
	v_add_u32_e32 v16, v16, v17
	s_and_saveexec_b64 s[20:21], s[4:5]
; %bb.5:                                ;   in Loop: Header=BB0_2 Depth=1
	ds_write_b32 v5, v16 offset:4096
; %bb.6:                                ;   in Loop: Header=BB0_2 Depth=1
	s_or_b64 exec, exec, s[20:21]
	s_waitcnt lgkmcnt(0)
	s_barrier
	s_and_saveexec_b64 s[20:21], vcc
	s_cbranch_execz .LBB0_8
; %bb.7:                                ;   in Loop: Header=BB0_2 Depth=1
	ds_read_b32 v17, v15 offset:4096
	s_waitcnt lgkmcnt(0)
	s_nop 0
	v_mov_b32_dpp v18, v17 row_shr:1 row_mask:0xf bank_mask:0xf
	v_cndmask_b32_e64 v18, v18, 0, s[18:19]
	v_add_u32_e32 v17, v18, v17
	ds_write_b32 v15, v17 offset:4096
.LBB0_8:                                ;   in Loop: Header=BB0_2 Depth=1
	s_or_b64 exec, exec, s[20:21]
	v_mov_b32_e32 v17, 0
	s_waitcnt lgkmcnt(0)
	s_barrier
	s_and_saveexec_b64 s[20:21], s[0:1]
; %bb.9:                                ;   in Loop: Header=BB0_2 Depth=1
	ds_read_b32 v17, v5 offset:4092
; %bb.10:                               ;   in Loop: Header=BB0_2 Depth=1
	s_or_b64 exec, exec, s[20:21]
	s_waitcnt lgkmcnt(0)
	v_add_u32_e32 v16, v17, v16
	ds_bpermute_b32 v16, v6, v16
	ds_read_b32 v24, v2 offset:4100
	ds_read2_b64 v[18:21], v3 offset1:1
	ds_read_b64 v[22:23], v3 offset:16
	ds_read_b32 v25, v3 offset:24
	s_mov_b64 s[28:29], 0
	s_waitcnt lgkmcnt(4)
	v_cndmask_b32_e64 v16, v16, v17, s[6:7]
	s_waitcnt lgkmcnt(3)
	v_lshl_add_u32 v16, v24, 16, v16
	s_waitcnt lgkmcnt(2)
	v_add_u32_e32 v17, v16, v18
	v_add_u32_e32 v18, v19, v17
	;; [unrolled: 1-line block ×3, first 2 shown]
	ds_write2_b64 v3, v[16:17], v[18:19] offset1:1
	v_add_u32_e32 v16, v21, v19
	s_waitcnt lgkmcnt(2)
	v_add_u32_e32 v17, v22, v16
	v_add_u32_e32 v18, v23, v17
	s_waitcnt lgkmcnt(1)
	v_add_u32_e32 v19, v25, v18
	ds_write2_b64 v3, v[16:17], v[18:19] offset0:2 offset1:3
	v_mov_b32_e32 v16, v1
	v_mov_b32_e32 v17, v4
	s_waitcnt lgkmcnt(0)
	s_barrier
.LBB0_11:                               ;   Parent Loop BB0_2 Depth=1
                                        ; =>  This Inner Loop Header: Depth=2
	v_add_u32_e32 v17, 0x80, v17
	v_cmp_lt_u32_e64 s[20:21], s26, v17
	ds_write_b32 v16, v2
	s_or_b64 s[28:29], s[20:21], s[28:29]
	v_add_u32_e32 v16, 0x200, v16
	s_andn2_b64 exec, exec, s[28:29]
	s_cbranch_execnz .LBB0_11
; %bb.12:                               ;   in Loop: Header=BB0_2 Depth=1
	s_or_b64 exec, exec, s[28:29]
	ds_read_u16 v16, v8
	s_waitcnt lgkmcnt(0)
	v_add_u16_e32 v16, 1, v16
	ds_write_b16 v8, v16
	s_waitcnt lgkmcnt(0)
	s_barrier
	ds_read2_b64 v[16:19], v3 offset1:1
	ds_read2_b64 v[20:23], v3 offset0:2 offset1:3
	s_waitcnt lgkmcnt(1)
	v_add_u32_e32 v16, v17, v16
	v_add3_u32 v16, v16, v18, v19
	s_waitcnt lgkmcnt(0)
	v_add3_u32 v16, v16, v20, v21
	v_add3_u32 v16, v16, v22, v23
	s_nop 1
	v_mov_b32_dpp v17, v16 row_shr:1 row_mask:0xf bank_mask:0xf
	v_cndmask_b32_e64 v17, v17, 0, s[8:9]
	v_add_u32_e32 v16, v17, v16
	s_nop 1
	v_mov_b32_dpp v17, v16 row_shr:2 row_mask:0xf bank_mask:0xf
	v_cndmask_b32_e64 v17, 0, v17, s[10:11]
	v_add_u32_e32 v16, v16, v17
	s_nop 1
	v_mov_b32_dpp v17, v16 row_shr:4 row_mask:0xf bank_mask:0xf
	v_cndmask_b32_e64 v17, 0, v17, s[12:13]
	v_add_u32_e32 v16, v16, v17
	s_nop 1
	v_mov_b32_dpp v17, v16 row_shr:8 row_mask:0xf bank_mask:0xf
	v_cndmask_b32_e64 v17, 0, v17, s[14:15]
	v_add_u32_e32 v16, v16, v17
	s_nop 1
	v_mov_b32_dpp v17, v16 row_bcast:15 row_mask:0xf bank_mask:0xf
	v_cndmask_b32_e64 v17, v17, 0, s[16:17]
	v_add_u32_e32 v16, v16, v17
	s_nop 1
	v_mov_b32_dpp v17, v16 row_bcast:31 row_mask:0xf bank_mask:0xf
	v_cndmask_b32_e64 v17, 0, v17, s[2:3]
	v_add_u32_e32 v16, v16, v17
	s_and_saveexec_b64 s[20:21], s[4:5]
; %bb.13:                               ;   in Loop: Header=BB0_2 Depth=1
	ds_write_b32 v5, v16 offset:4096
; %bb.14:                               ;   in Loop: Header=BB0_2 Depth=1
	s_or_b64 exec, exec, s[20:21]
	s_waitcnt lgkmcnt(0)
	s_barrier
	s_and_saveexec_b64 s[20:21], vcc
	s_cbranch_execz .LBB0_16
; %bb.15:                               ;   in Loop: Header=BB0_2 Depth=1
	ds_read_b32 v17, v15 offset:4096
	s_waitcnt lgkmcnt(0)
	s_nop 0
	v_mov_b32_dpp v18, v17 row_shr:1 row_mask:0xf bank_mask:0xf
	v_cndmask_b32_e64 v18, v18, 0, s[18:19]
	v_add_u32_e32 v17, v18, v17
	ds_write_b32 v15, v17 offset:4096
.LBB0_16:                               ;   in Loop: Header=BB0_2 Depth=1
	s_or_b64 exec, exec, s[20:21]
	v_mov_b32_e32 v17, 0
	s_waitcnt lgkmcnt(0)
	s_barrier
	s_and_saveexec_b64 s[20:21], s[0:1]
; %bb.17:                               ;   in Loop: Header=BB0_2 Depth=1
	ds_read_b32 v17, v5 offset:4092
; %bb.18:                               ;   in Loop: Header=BB0_2 Depth=1
	s_or_b64 exec, exec, s[20:21]
	s_waitcnt lgkmcnt(0)
	v_add_u32_e32 v16, v17, v16
	ds_bpermute_b32 v16, v6, v16
	ds_read_b32 v24, v2 offset:4100
	ds_read2_b64 v[18:21], v3 offset1:1
	ds_read_b64 v[22:23], v3 offset:16
	ds_read_b32 v25, v3 offset:24
	s_mov_b64 s[28:29], 0
	s_waitcnt lgkmcnt(4)
	v_cndmask_b32_e64 v16, v16, v17, s[6:7]
	s_waitcnt lgkmcnt(3)
	v_lshl_add_u32 v16, v24, 16, v16
	s_waitcnt lgkmcnt(2)
	v_add_u32_e32 v17, v16, v18
	v_add_u32_e32 v18, v19, v17
	;; [unrolled: 1-line block ×3, first 2 shown]
	ds_write2_b64 v3, v[16:17], v[18:19] offset1:1
	v_add_u32_e32 v16, v21, v19
	s_waitcnt lgkmcnt(2)
	v_add_u32_e32 v17, v22, v16
	v_add_u32_e32 v18, v23, v17
	s_waitcnt lgkmcnt(1)
	v_add_u32_e32 v19, v25, v18
	ds_write2_b64 v3, v[16:17], v[18:19] offset0:2 offset1:3
	v_mov_b32_e32 v16, v1
	v_mov_b32_e32 v17, v4
	s_waitcnt lgkmcnt(0)
	s_barrier
.LBB0_19:                               ;   Parent Loop BB0_2 Depth=1
                                        ; =>  This Inner Loop Header: Depth=2
	v_add_u32_e32 v17, 0x80, v17
	v_cmp_lt_u32_e64 s[20:21], s26, v17
	ds_write_b32 v16, v2
	s_or_b64 s[28:29], s[20:21], s[28:29]
	v_add_u32_e32 v16, 0x200, v16
	s_andn2_b64 exec, exec, s[28:29]
	s_cbranch_execnz .LBB0_19
; %bb.20:                               ;   in Loop: Header=BB0_2 Depth=1
	s_or_b64 exec, exec, s[28:29]
	ds_read_u16 v16, v9
	s_waitcnt lgkmcnt(0)
	v_add_u16_e32 v16, 1, v16
	ds_write_b16 v9, v16
	s_waitcnt lgkmcnt(0)
	s_barrier
	ds_read2_b64 v[16:19], v3 offset1:1
	ds_read2_b64 v[20:23], v3 offset0:2 offset1:3
	s_waitcnt lgkmcnt(1)
	v_add_u32_e32 v16, v17, v16
	v_add3_u32 v16, v16, v18, v19
	s_waitcnt lgkmcnt(0)
	v_add3_u32 v16, v16, v20, v21
	v_add3_u32 v16, v16, v22, v23
	s_nop 1
	v_mov_b32_dpp v17, v16 row_shr:1 row_mask:0xf bank_mask:0xf
	v_cndmask_b32_e64 v17, v17, 0, s[8:9]
	v_add_u32_e32 v16, v17, v16
	s_nop 1
	v_mov_b32_dpp v17, v16 row_shr:2 row_mask:0xf bank_mask:0xf
	v_cndmask_b32_e64 v17, 0, v17, s[10:11]
	v_add_u32_e32 v16, v16, v17
	;; [unrolled: 4-line block ×4, first 2 shown]
	s_nop 1
	v_mov_b32_dpp v17, v16 row_bcast:15 row_mask:0xf bank_mask:0xf
	v_cndmask_b32_e64 v17, v17, 0, s[16:17]
	v_add_u32_e32 v16, v16, v17
	s_nop 1
	v_mov_b32_dpp v17, v16 row_bcast:31 row_mask:0xf bank_mask:0xf
	v_cndmask_b32_e64 v17, 0, v17, s[2:3]
	v_add_u32_e32 v16, v16, v17
	s_and_saveexec_b64 s[20:21], s[4:5]
; %bb.21:                               ;   in Loop: Header=BB0_2 Depth=1
	ds_write_b32 v5, v16 offset:4096
; %bb.22:                               ;   in Loop: Header=BB0_2 Depth=1
	s_or_b64 exec, exec, s[20:21]
	s_waitcnt lgkmcnt(0)
	s_barrier
	s_and_saveexec_b64 s[20:21], vcc
	s_cbranch_execz .LBB0_24
; %bb.23:                               ;   in Loop: Header=BB0_2 Depth=1
	ds_read_b32 v17, v15 offset:4096
	s_waitcnt lgkmcnt(0)
	s_nop 0
	v_mov_b32_dpp v18, v17 row_shr:1 row_mask:0xf bank_mask:0xf
	v_cndmask_b32_e64 v18, v18, 0, s[18:19]
	v_add_u32_e32 v17, v18, v17
	ds_write_b32 v15, v17 offset:4096
.LBB0_24:                               ;   in Loop: Header=BB0_2 Depth=1
	s_or_b64 exec, exec, s[20:21]
	v_mov_b32_e32 v17, 0
	s_waitcnt lgkmcnt(0)
	s_barrier
	s_and_saveexec_b64 s[20:21], s[0:1]
; %bb.25:                               ;   in Loop: Header=BB0_2 Depth=1
	ds_read_b32 v17, v5 offset:4092
; %bb.26:                               ;   in Loop: Header=BB0_2 Depth=1
	s_or_b64 exec, exec, s[20:21]
	s_waitcnt lgkmcnt(0)
	v_add_u32_e32 v16, v17, v16
	ds_bpermute_b32 v16, v6, v16
	ds_read_b32 v24, v2 offset:4100
	ds_read2_b64 v[18:21], v3 offset1:1
	ds_read_b64 v[22:23], v3 offset:16
	ds_read_b32 v25, v3 offset:24
	s_mov_b64 s[28:29], 0
	s_waitcnt lgkmcnt(4)
	v_cndmask_b32_e64 v16, v16, v17, s[6:7]
	s_waitcnt lgkmcnt(3)
	v_lshl_add_u32 v16, v24, 16, v16
	s_waitcnt lgkmcnt(2)
	v_add_u32_e32 v17, v16, v18
	v_add_u32_e32 v18, v19, v17
	;; [unrolled: 1-line block ×3, first 2 shown]
	ds_write2_b64 v3, v[16:17], v[18:19] offset1:1
	v_add_u32_e32 v16, v21, v19
	s_waitcnt lgkmcnt(2)
	v_add_u32_e32 v17, v22, v16
	v_add_u32_e32 v18, v23, v17
	s_waitcnt lgkmcnt(1)
	v_add_u32_e32 v19, v25, v18
	ds_write2_b64 v3, v[16:17], v[18:19] offset0:2 offset1:3
	v_mov_b32_e32 v16, v1
	v_mov_b32_e32 v17, v4
	s_waitcnt lgkmcnt(0)
	s_barrier
.LBB0_27:                               ;   Parent Loop BB0_2 Depth=1
                                        ; =>  This Inner Loop Header: Depth=2
	v_add_u32_e32 v17, 0x80, v17
	v_cmp_lt_u32_e64 s[20:21], s26, v17
	ds_write_b32 v16, v2
	s_or_b64 s[28:29], s[20:21], s[28:29]
	v_add_u32_e32 v16, 0x200, v16
	s_andn2_b64 exec, exec, s[28:29]
	s_cbranch_execnz .LBB0_27
; %bb.28:                               ;   in Loop: Header=BB0_2 Depth=1
	s_or_b64 exec, exec, s[28:29]
	ds_read_u16 v16, v10
	s_waitcnt lgkmcnt(0)
	v_add_u16_e32 v16, 1, v16
	ds_write_b16 v10, v16
	s_waitcnt lgkmcnt(0)
	s_barrier
	ds_read2_b64 v[16:19], v3 offset1:1
	ds_read2_b64 v[20:23], v3 offset0:2 offset1:3
	s_waitcnt lgkmcnt(1)
	v_add_u32_e32 v16, v17, v16
	v_add3_u32 v16, v16, v18, v19
	s_waitcnt lgkmcnt(0)
	v_add3_u32 v16, v16, v20, v21
	v_add3_u32 v16, v16, v22, v23
	s_nop 1
	v_mov_b32_dpp v17, v16 row_shr:1 row_mask:0xf bank_mask:0xf
	v_cndmask_b32_e64 v17, v17, 0, s[8:9]
	v_add_u32_e32 v16, v17, v16
	s_nop 1
	v_mov_b32_dpp v17, v16 row_shr:2 row_mask:0xf bank_mask:0xf
	v_cndmask_b32_e64 v17, 0, v17, s[10:11]
	v_add_u32_e32 v16, v16, v17
	s_nop 1
	v_mov_b32_dpp v17, v16 row_shr:4 row_mask:0xf bank_mask:0xf
	v_cndmask_b32_e64 v17, 0, v17, s[12:13]
	v_add_u32_e32 v16, v16, v17
	s_nop 1
	v_mov_b32_dpp v17, v16 row_shr:8 row_mask:0xf bank_mask:0xf
	v_cndmask_b32_e64 v17, 0, v17, s[14:15]
	v_add_u32_e32 v16, v16, v17
	s_nop 1
	v_mov_b32_dpp v17, v16 row_bcast:15 row_mask:0xf bank_mask:0xf
	v_cndmask_b32_e64 v17, v17, 0, s[16:17]
	v_add_u32_e32 v16, v16, v17
	s_nop 1
	v_mov_b32_dpp v17, v16 row_bcast:31 row_mask:0xf bank_mask:0xf
	v_cndmask_b32_e64 v17, 0, v17, s[2:3]
	v_add_u32_e32 v16, v16, v17
	s_and_saveexec_b64 s[20:21], s[4:5]
; %bb.29:                               ;   in Loop: Header=BB0_2 Depth=1
	ds_write_b32 v5, v16 offset:4096
; %bb.30:                               ;   in Loop: Header=BB0_2 Depth=1
	s_or_b64 exec, exec, s[20:21]
	s_waitcnt lgkmcnt(0)
	s_barrier
	s_and_saveexec_b64 s[20:21], vcc
	s_cbranch_execz .LBB0_32
; %bb.31:                               ;   in Loop: Header=BB0_2 Depth=1
	ds_read_b32 v17, v15 offset:4096
	s_waitcnt lgkmcnt(0)
	s_nop 0
	v_mov_b32_dpp v18, v17 row_shr:1 row_mask:0xf bank_mask:0xf
	v_cndmask_b32_e64 v18, v18, 0, s[18:19]
	v_add_u32_e32 v17, v18, v17
	ds_write_b32 v15, v17 offset:4096
.LBB0_32:                               ;   in Loop: Header=BB0_2 Depth=1
	s_or_b64 exec, exec, s[20:21]
	v_mov_b32_e32 v17, 0
	s_waitcnt lgkmcnt(0)
	s_barrier
	s_and_saveexec_b64 s[20:21], s[0:1]
; %bb.33:                               ;   in Loop: Header=BB0_2 Depth=1
	ds_read_b32 v17, v5 offset:4092
; %bb.34:                               ;   in Loop: Header=BB0_2 Depth=1
	s_or_b64 exec, exec, s[20:21]
	s_waitcnt lgkmcnt(0)
	v_add_u32_e32 v16, v17, v16
	ds_bpermute_b32 v16, v6, v16
	ds_read_b32 v24, v2 offset:4100
	ds_read2_b64 v[18:21], v3 offset1:1
	ds_read_b64 v[22:23], v3 offset:16
	ds_read_b32 v25, v3 offset:24
	s_mov_b64 s[28:29], 0
	s_waitcnt lgkmcnt(4)
	v_cndmask_b32_e64 v16, v16, v17, s[6:7]
	s_waitcnt lgkmcnt(3)
	v_lshl_add_u32 v16, v24, 16, v16
	s_waitcnt lgkmcnt(2)
	v_add_u32_e32 v17, v16, v18
	v_add_u32_e32 v18, v19, v17
	v_add_u32_e32 v19, v20, v18
	ds_write2_b64 v3, v[16:17], v[18:19] offset1:1
	v_add_u32_e32 v16, v21, v19
	s_waitcnt lgkmcnt(2)
	v_add_u32_e32 v17, v22, v16
	v_add_u32_e32 v18, v23, v17
	s_waitcnt lgkmcnt(1)
	v_add_u32_e32 v19, v25, v18
	ds_write2_b64 v3, v[16:17], v[18:19] offset0:2 offset1:3
	v_mov_b32_e32 v16, v1
	v_mov_b32_e32 v17, v4
	s_waitcnt lgkmcnt(0)
	s_barrier
.LBB0_35:                               ;   Parent Loop BB0_2 Depth=1
                                        ; =>  This Inner Loop Header: Depth=2
	v_add_u32_e32 v17, 0x80, v17
	v_cmp_lt_u32_e64 s[20:21], s26, v17
	ds_write_b32 v16, v2
	s_or_b64 s[28:29], s[20:21], s[28:29]
	v_add_u32_e32 v16, 0x200, v16
	s_andn2_b64 exec, exec, s[28:29]
	s_cbranch_execnz .LBB0_35
; %bb.36:                               ;   in Loop: Header=BB0_2 Depth=1
	s_or_b64 exec, exec, s[28:29]
	ds_read_u16 v16, v11
	s_waitcnt lgkmcnt(0)
	v_add_u16_e32 v16, 1, v16
	ds_write_b16 v11, v16
	s_waitcnt lgkmcnt(0)
	s_barrier
	ds_read2_b64 v[16:19], v3 offset1:1
	ds_read2_b64 v[20:23], v3 offset0:2 offset1:3
	s_waitcnt lgkmcnt(1)
	v_add_u32_e32 v16, v17, v16
	v_add3_u32 v16, v16, v18, v19
	s_waitcnt lgkmcnt(0)
	v_add3_u32 v16, v16, v20, v21
	v_add3_u32 v16, v16, v22, v23
	s_nop 1
	v_mov_b32_dpp v17, v16 row_shr:1 row_mask:0xf bank_mask:0xf
	v_cndmask_b32_e64 v17, v17, 0, s[8:9]
	v_add_u32_e32 v16, v17, v16
	s_nop 1
	v_mov_b32_dpp v17, v16 row_shr:2 row_mask:0xf bank_mask:0xf
	v_cndmask_b32_e64 v17, 0, v17, s[10:11]
	v_add_u32_e32 v16, v16, v17
	s_nop 1
	v_mov_b32_dpp v17, v16 row_shr:4 row_mask:0xf bank_mask:0xf
	v_cndmask_b32_e64 v17, 0, v17, s[12:13]
	v_add_u32_e32 v16, v16, v17
	s_nop 1
	v_mov_b32_dpp v17, v16 row_shr:8 row_mask:0xf bank_mask:0xf
	v_cndmask_b32_e64 v17, 0, v17, s[14:15]
	v_add_u32_e32 v16, v16, v17
	s_nop 1
	v_mov_b32_dpp v17, v16 row_bcast:15 row_mask:0xf bank_mask:0xf
	v_cndmask_b32_e64 v17, v17, 0, s[16:17]
	v_add_u32_e32 v16, v16, v17
	s_nop 1
	v_mov_b32_dpp v17, v16 row_bcast:31 row_mask:0xf bank_mask:0xf
	v_cndmask_b32_e64 v17, 0, v17, s[2:3]
	v_add_u32_e32 v16, v16, v17
	s_and_saveexec_b64 s[20:21], s[4:5]
; %bb.37:                               ;   in Loop: Header=BB0_2 Depth=1
	ds_write_b32 v5, v16 offset:4096
; %bb.38:                               ;   in Loop: Header=BB0_2 Depth=1
	s_or_b64 exec, exec, s[20:21]
	s_waitcnt lgkmcnt(0)
	s_barrier
	s_and_saveexec_b64 s[20:21], vcc
	s_cbranch_execz .LBB0_40
; %bb.39:                               ;   in Loop: Header=BB0_2 Depth=1
	ds_read_b32 v17, v15 offset:4096
	s_waitcnt lgkmcnt(0)
	s_nop 0
	v_mov_b32_dpp v18, v17 row_shr:1 row_mask:0xf bank_mask:0xf
	v_cndmask_b32_e64 v18, v18, 0, s[18:19]
	v_add_u32_e32 v17, v18, v17
	ds_write_b32 v15, v17 offset:4096
.LBB0_40:                               ;   in Loop: Header=BB0_2 Depth=1
	s_or_b64 exec, exec, s[20:21]
	v_mov_b32_e32 v17, 0
	s_waitcnt lgkmcnt(0)
	s_barrier
	s_and_saveexec_b64 s[20:21], s[0:1]
; %bb.41:                               ;   in Loop: Header=BB0_2 Depth=1
	ds_read_b32 v17, v5 offset:4092
; %bb.42:                               ;   in Loop: Header=BB0_2 Depth=1
	s_or_b64 exec, exec, s[20:21]
	s_waitcnt lgkmcnt(0)
	v_add_u32_e32 v16, v17, v16
	ds_bpermute_b32 v16, v6, v16
	ds_read_b32 v24, v2 offset:4100
	ds_read2_b64 v[18:21], v3 offset1:1
	ds_read_b64 v[22:23], v3 offset:16
	ds_read_b32 v25, v3 offset:24
	s_mov_b64 s[28:29], 0
	s_waitcnt lgkmcnt(4)
	v_cndmask_b32_e64 v16, v16, v17, s[6:7]
	s_waitcnt lgkmcnt(3)
	v_lshl_add_u32 v16, v24, 16, v16
	s_waitcnt lgkmcnt(2)
	v_add_u32_e32 v17, v16, v18
	v_add_u32_e32 v18, v19, v17
	v_add_u32_e32 v19, v20, v18
	ds_write2_b64 v3, v[16:17], v[18:19] offset1:1
	v_add_u32_e32 v16, v21, v19
	s_waitcnt lgkmcnt(2)
	v_add_u32_e32 v17, v22, v16
	v_add_u32_e32 v18, v23, v17
	s_waitcnt lgkmcnt(1)
	v_add_u32_e32 v19, v25, v18
	ds_write2_b64 v3, v[16:17], v[18:19] offset0:2 offset1:3
	v_mov_b32_e32 v16, v1
	v_mov_b32_e32 v17, v4
	s_waitcnt lgkmcnt(0)
	s_barrier
.LBB0_43:                               ;   Parent Loop BB0_2 Depth=1
                                        ; =>  This Inner Loop Header: Depth=2
	v_add_u32_e32 v17, 0x80, v17
	v_cmp_lt_u32_e64 s[20:21], s26, v17
	ds_write_b32 v16, v2
	s_or_b64 s[28:29], s[20:21], s[28:29]
	v_add_u32_e32 v16, 0x200, v16
	s_andn2_b64 exec, exec, s[28:29]
	s_cbranch_execnz .LBB0_43
; %bb.44:                               ;   in Loop: Header=BB0_2 Depth=1
	s_or_b64 exec, exec, s[28:29]
	ds_read_u16 v16, v12
	s_waitcnt lgkmcnt(0)
	v_add_u16_e32 v16, 1, v16
	ds_write_b16 v12, v16
	s_waitcnt lgkmcnt(0)
	s_barrier
	ds_read2_b64 v[16:19], v3 offset1:1
	ds_read2_b64 v[20:23], v3 offset0:2 offset1:3
	s_waitcnt lgkmcnt(1)
	v_add_u32_e32 v16, v17, v16
	v_add3_u32 v16, v16, v18, v19
	s_waitcnt lgkmcnt(0)
	v_add3_u32 v16, v16, v20, v21
	v_add3_u32 v16, v16, v22, v23
	s_nop 1
	v_mov_b32_dpp v17, v16 row_shr:1 row_mask:0xf bank_mask:0xf
	v_cndmask_b32_e64 v17, v17, 0, s[8:9]
	v_add_u32_e32 v16, v17, v16
	s_nop 1
	v_mov_b32_dpp v17, v16 row_shr:2 row_mask:0xf bank_mask:0xf
	v_cndmask_b32_e64 v17, 0, v17, s[10:11]
	v_add_u32_e32 v16, v16, v17
	;; [unrolled: 4-line block ×4, first 2 shown]
	s_nop 1
	v_mov_b32_dpp v17, v16 row_bcast:15 row_mask:0xf bank_mask:0xf
	v_cndmask_b32_e64 v17, v17, 0, s[16:17]
	v_add_u32_e32 v16, v16, v17
	s_nop 1
	v_mov_b32_dpp v17, v16 row_bcast:31 row_mask:0xf bank_mask:0xf
	v_cndmask_b32_e64 v17, 0, v17, s[2:3]
	v_add_u32_e32 v16, v16, v17
	s_and_saveexec_b64 s[20:21], s[4:5]
; %bb.45:                               ;   in Loop: Header=BB0_2 Depth=1
	ds_write_b32 v5, v16 offset:4096
; %bb.46:                               ;   in Loop: Header=BB0_2 Depth=1
	s_or_b64 exec, exec, s[20:21]
	s_waitcnt lgkmcnt(0)
	s_barrier
	s_and_saveexec_b64 s[20:21], vcc
	s_cbranch_execz .LBB0_48
; %bb.47:                               ;   in Loop: Header=BB0_2 Depth=1
	ds_read_b32 v17, v15 offset:4096
	s_waitcnt lgkmcnt(0)
	s_nop 0
	v_mov_b32_dpp v18, v17 row_shr:1 row_mask:0xf bank_mask:0xf
	v_cndmask_b32_e64 v18, v18, 0, s[18:19]
	v_add_u32_e32 v17, v18, v17
	ds_write_b32 v15, v17 offset:4096
.LBB0_48:                               ;   in Loop: Header=BB0_2 Depth=1
	s_or_b64 exec, exec, s[20:21]
	v_mov_b32_e32 v17, 0
	s_waitcnt lgkmcnt(0)
	s_barrier
	s_and_saveexec_b64 s[20:21], s[0:1]
; %bb.49:                               ;   in Loop: Header=BB0_2 Depth=1
	ds_read_b32 v17, v5 offset:4092
; %bb.50:                               ;   in Loop: Header=BB0_2 Depth=1
	s_or_b64 exec, exec, s[20:21]
	s_waitcnt lgkmcnt(0)
	v_add_u32_e32 v16, v17, v16
	ds_bpermute_b32 v16, v6, v16
	ds_read_b32 v24, v2 offset:4100
	ds_read2_b64 v[18:21], v3 offset1:1
	ds_read_b64 v[22:23], v3 offset:16
	ds_read_b32 v25, v3 offset:24
	s_mov_b64 s[28:29], 0
	s_waitcnt lgkmcnt(4)
	v_cndmask_b32_e64 v16, v16, v17, s[6:7]
	s_waitcnt lgkmcnt(3)
	v_lshl_add_u32 v16, v24, 16, v16
	s_waitcnt lgkmcnt(2)
	v_add_u32_e32 v17, v16, v18
	v_add_u32_e32 v18, v19, v17
	;; [unrolled: 1-line block ×3, first 2 shown]
	ds_write2_b64 v3, v[16:17], v[18:19] offset1:1
	v_add_u32_e32 v16, v21, v19
	s_waitcnt lgkmcnt(2)
	v_add_u32_e32 v17, v22, v16
	v_add_u32_e32 v18, v23, v17
	s_waitcnt lgkmcnt(1)
	v_add_u32_e32 v19, v25, v18
	ds_write2_b64 v3, v[16:17], v[18:19] offset0:2 offset1:3
	v_mov_b32_e32 v16, v1
	v_mov_b32_e32 v17, v4
	s_waitcnt lgkmcnt(0)
	s_barrier
.LBB0_51:                               ;   Parent Loop BB0_2 Depth=1
                                        ; =>  This Inner Loop Header: Depth=2
	v_add_u32_e32 v17, 0x80, v17
	v_cmp_lt_u32_e64 s[20:21], s26, v17
	ds_write_b32 v16, v2
	s_or_b64 s[28:29], s[20:21], s[28:29]
	v_add_u32_e32 v16, 0x200, v16
	s_andn2_b64 exec, exec, s[28:29]
	s_cbranch_execnz .LBB0_51
; %bb.52:                               ;   in Loop: Header=BB0_2 Depth=1
	s_or_b64 exec, exec, s[28:29]
	ds_read_u16 v16, v14
	s_waitcnt lgkmcnt(0)
	v_add_u16_e32 v16, 1, v16
	ds_write_b16 v14, v16
	s_waitcnt lgkmcnt(0)
	s_barrier
	ds_read2_b64 v[16:19], v3 offset1:1
	ds_read2_b64 v[20:23], v3 offset0:2 offset1:3
	s_waitcnt lgkmcnt(1)
	v_add_u32_e32 v16, v17, v16
	v_add3_u32 v16, v16, v18, v19
	s_waitcnt lgkmcnt(0)
	v_add3_u32 v16, v16, v20, v21
	v_add3_u32 v16, v16, v22, v23
	s_nop 1
	v_mov_b32_dpp v17, v16 row_shr:1 row_mask:0xf bank_mask:0xf
	v_cndmask_b32_e64 v17, v17, 0, s[8:9]
	v_add_u32_e32 v16, v17, v16
	s_nop 1
	v_mov_b32_dpp v17, v16 row_shr:2 row_mask:0xf bank_mask:0xf
	v_cndmask_b32_e64 v17, 0, v17, s[10:11]
	v_add_u32_e32 v16, v16, v17
	;; [unrolled: 4-line block ×4, first 2 shown]
	s_nop 1
	v_mov_b32_dpp v17, v16 row_bcast:15 row_mask:0xf bank_mask:0xf
	v_cndmask_b32_e64 v17, v17, 0, s[16:17]
	v_add_u32_e32 v16, v16, v17
	s_nop 1
	v_mov_b32_dpp v17, v16 row_bcast:31 row_mask:0xf bank_mask:0xf
	v_cndmask_b32_e64 v17, 0, v17, s[2:3]
	v_add_u32_e32 v16, v16, v17
	s_and_saveexec_b64 s[20:21], s[4:5]
; %bb.53:                               ;   in Loop: Header=BB0_2 Depth=1
	ds_write_b32 v5, v16 offset:4096
; %bb.54:                               ;   in Loop: Header=BB0_2 Depth=1
	s_or_b64 exec, exec, s[20:21]
	s_waitcnt lgkmcnt(0)
	s_barrier
	s_and_saveexec_b64 s[20:21], vcc
	s_cbranch_execz .LBB0_56
; %bb.55:                               ;   in Loop: Header=BB0_2 Depth=1
	ds_read_b32 v17, v15 offset:4096
	s_waitcnt lgkmcnt(0)
	s_nop 0
	v_mov_b32_dpp v18, v17 row_shr:1 row_mask:0xf bank_mask:0xf
	v_cndmask_b32_e64 v18, v18, 0, s[18:19]
	v_add_u32_e32 v17, v18, v17
	ds_write_b32 v15, v17 offset:4096
.LBB0_56:                               ;   in Loop: Header=BB0_2 Depth=1
	s_or_b64 exec, exec, s[20:21]
	v_mov_b32_e32 v17, 0
	s_waitcnt lgkmcnt(0)
	s_barrier
	s_and_saveexec_b64 s[20:21], s[0:1]
; %bb.57:                               ;   in Loop: Header=BB0_2 Depth=1
	ds_read_b32 v17, v5 offset:4092
; %bb.58:                               ;   in Loop: Header=BB0_2 Depth=1
	s_or_b64 exec, exec, s[20:21]
	s_waitcnt lgkmcnt(0)
	v_add_u32_e32 v16, v17, v16
	ds_bpermute_b32 v16, v6, v16
	ds_read_b32 v24, v2 offset:4100
	ds_read2_b64 v[18:21], v3 offset1:1
	ds_read_b64 v[22:23], v3 offset:16
	ds_read_b32 v25, v3 offset:24
	s_mov_b64 s[28:29], 0
	s_waitcnt lgkmcnt(4)
	v_cndmask_b32_e64 v16, v16, v17, s[6:7]
	s_waitcnt lgkmcnt(3)
	v_lshl_add_u32 v16, v24, 16, v16
	s_waitcnt lgkmcnt(2)
	v_add_u32_e32 v17, v16, v18
	v_add_u32_e32 v18, v19, v17
	;; [unrolled: 1-line block ×3, first 2 shown]
	ds_write2_b64 v3, v[16:17], v[18:19] offset1:1
	v_add_u32_e32 v16, v21, v19
	s_waitcnt lgkmcnt(2)
	v_add_u32_e32 v17, v22, v16
	v_add_u32_e32 v18, v23, v17
	s_waitcnt lgkmcnt(1)
	v_add_u32_e32 v19, v25, v18
	ds_write2_b64 v3, v[16:17], v[18:19] offset0:2 offset1:3
	v_mov_b32_e32 v16, v1
	v_mov_b32_e32 v17, v4
	s_waitcnt lgkmcnt(0)
	s_barrier
.LBB0_59:                               ;   Parent Loop BB0_2 Depth=1
                                        ; =>  This Inner Loop Header: Depth=2
	v_add_u32_e32 v17, 0x80, v17
	v_cmp_lt_u32_e64 s[20:21], s26, v17
	ds_write_b32 v16, v2
	s_or_b64 s[28:29], s[20:21], s[28:29]
	v_add_u32_e32 v16, 0x200, v16
	s_andn2_b64 exec, exec, s[28:29]
	s_cbranch_execnz .LBB0_59
; %bb.60:                               ;   in Loop: Header=BB0_2 Depth=1
	s_or_b64 exec, exec, s[28:29]
	ds_read_u16 v16, v13
	s_waitcnt lgkmcnt(0)
	v_add_u16_e32 v17, 1, v16
	ds_write_b16 v13, v17
	s_waitcnt lgkmcnt(0)
	s_barrier
	ds_read2_b64 v[17:20], v3 offset1:1
	ds_read2_b64 v[21:24], v3 offset0:2 offset1:3
	s_waitcnt lgkmcnt(1)
	v_add_u32_e32 v17, v18, v17
	v_add3_u32 v17, v17, v19, v20
	s_waitcnt lgkmcnt(0)
	v_add3_u32 v17, v17, v21, v22
	v_add3_u32 v17, v17, v23, v24
	s_nop 1
	v_mov_b32_dpp v18, v17 row_shr:1 row_mask:0xf bank_mask:0xf
	v_cndmask_b32_e64 v18, v18, 0, s[8:9]
	v_add_u32_e32 v17, v18, v17
	s_nop 1
	v_mov_b32_dpp v18, v17 row_shr:2 row_mask:0xf bank_mask:0xf
	v_cndmask_b32_e64 v18, 0, v18, s[10:11]
	v_add_u32_e32 v17, v17, v18
	;; [unrolled: 4-line block ×4, first 2 shown]
	s_nop 1
	v_mov_b32_dpp v18, v17 row_bcast:15 row_mask:0xf bank_mask:0xf
	v_cndmask_b32_e64 v18, v18, 0, s[16:17]
	v_add_u32_e32 v17, v17, v18
	s_nop 1
	v_mov_b32_dpp v18, v17 row_bcast:31 row_mask:0xf bank_mask:0xf
	v_cndmask_b32_e64 v18, 0, v18, s[2:3]
	v_add_u32_e32 v17, v17, v18
	s_and_saveexec_b64 s[20:21], s[4:5]
; %bb.61:                               ;   in Loop: Header=BB0_2 Depth=1
	ds_write_b32 v5, v17 offset:4096
; %bb.62:                               ;   in Loop: Header=BB0_2 Depth=1
	s_or_b64 exec, exec, s[20:21]
	s_waitcnt lgkmcnt(0)
	s_barrier
	s_and_saveexec_b64 s[20:21], vcc
	s_cbranch_execz .LBB0_64
; %bb.63:                               ;   in Loop: Header=BB0_2 Depth=1
	ds_read_b32 v18, v15 offset:4096
	s_waitcnt lgkmcnt(0)
	s_nop 0
	v_mov_b32_dpp v19, v18 row_shr:1 row_mask:0xf bank_mask:0xf
	v_cndmask_b32_e64 v19, v19, 0, s[18:19]
	v_add_u32_e32 v18, v19, v18
	ds_write_b32 v15, v18 offset:4096
.LBB0_64:                               ;   in Loop: Header=BB0_2 Depth=1
	s_or_b64 exec, exec, s[20:21]
	v_mov_b32_e32 v18, 0
	s_waitcnt lgkmcnt(0)
	s_barrier
	s_and_saveexec_b64 s[20:21], s[0:1]
	s_cbranch_execz .LBB0_1
; %bb.65:                               ;   in Loop: Header=BB0_2 Depth=1
	ds_read_b32 v18, v5 offset:4092
	s_branch .LBB0_1
.LBB0_66:
	ds_read_u16 v1, v13
	s_add_u32 s0, s22, s24
	s_addc_u32 s1, s23, s25
	v_lshlrev_b32_e32 v0, 2, v0
	s_waitcnt lgkmcnt(0)
	v_add_u32_sdwa v1, v1, v16 dst_sel:DWORD dst_unused:UNUSED_PAD src0_sel:DWORD src1_sel:WORD_0
	global_store_dword v0, v1, s[0:1]
	s_endpgm
	.section	.rodata,"a",@progbits
	.p2align	6, 0x0
	.amdhsa_kernel _Z11rank_kernelIiLj4ELb0EL18RadixRankAlgorithm0ELj128ELj1ELj10EEvPKT_Pi
		.amdhsa_group_segment_fixed_size 4104
		.amdhsa_private_segment_fixed_size 0
		.amdhsa_kernarg_size 16
		.amdhsa_user_sgpr_count 6
		.amdhsa_user_sgpr_private_segment_buffer 1
		.amdhsa_user_sgpr_dispatch_ptr 0
		.amdhsa_user_sgpr_queue_ptr 0
		.amdhsa_user_sgpr_kernarg_segment_ptr 1
		.amdhsa_user_sgpr_dispatch_id 0
		.amdhsa_user_sgpr_flat_scratch_init 0
		.amdhsa_user_sgpr_private_segment_size 0
		.amdhsa_uses_dynamic_stack 0
		.amdhsa_system_sgpr_private_segment_wavefront_offset 0
		.amdhsa_system_sgpr_workgroup_id_x 1
		.amdhsa_system_sgpr_workgroup_id_y 0
		.amdhsa_system_sgpr_workgroup_id_z 0
		.amdhsa_system_sgpr_workgroup_info 0
		.amdhsa_system_vgpr_workitem_id 0
		.amdhsa_next_free_vgpr 29
		.amdhsa_next_free_sgpr 61
		.amdhsa_reserve_vcc 1
		.amdhsa_reserve_flat_scratch 0
		.amdhsa_float_round_mode_32 0
		.amdhsa_float_round_mode_16_64 0
		.amdhsa_float_denorm_mode_32 3
		.amdhsa_float_denorm_mode_16_64 3
		.amdhsa_dx10_clamp 1
		.amdhsa_ieee_mode 1
		.amdhsa_fp16_overflow 0
		.amdhsa_exception_fp_ieee_invalid_op 0
		.amdhsa_exception_fp_denorm_src 0
		.amdhsa_exception_fp_ieee_div_zero 0
		.amdhsa_exception_fp_ieee_overflow 0
		.amdhsa_exception_fp_ieee_underflow 0
		.amdhsa_exception_fp_ieee_inexact 0
		.amdhsa_exception_int_div_zero 0
	.end_amdhsa_kernel
	.section	.text._Z11rank_kernelIiLj4ELb0EL18RadixRankAlgorithm0ELj128ELj1ELj10EEvPKT_Pi,"axG",@progbits,_Z11rank_kernelIiLj4ELb0EL18RadixRankAlgorithm0ELj128ELj1ELj10EEvPKT_Pi,comdat
.Lfunc_end0:
	.size	_Z11rank_kernelIiLj4ELb0EL18RadixRankAlgorithm0ELj128ELj1ELj10EEvPKT_Pi, .Lfunc_end0-_Z11rank_kernelIiLj4ELb0EL18RadixRankAlgorithm0ELj128ELj1ELj10EEvPKT_Pi
                                        ; -- End function
	.set _Z11rank_kernelIiLj4ELb0EL18RadixRankAlgorithm0ELj128ELj1ELj10EEvPKT_Pi.num_vgpr, 27
	.set _Z11rank_kernelIiLj4ELb0EL18RadixRankAlgorithm0ELj128ELj1ELj10EEvPKT_Pi.num_agpr, 0
	.set _Z11rank_kernelIiLj4ELb0EL18RadixRankAlgorithm0ELj128ELj1ELj10EEvPKT_Pi.numbered_sgpr, 30
	.set _Z11rank_kernelIiLj4ELb0EL18RadixRankAlgorithm0ELj128ELj1ELj10EEvPKT_Pi.num_named_barrier, 0
	.set _Z11rank_kernelIiLj4ELb0EL18RadixRankAlgorithm0ELj128ELj1ELj10EEvPKT_Pi.private_seg_size, 0
	.set _Z11rank_kernelIiLj4ELb0EL18RadixRankAlgorithm0ELj128ELj1ELj10EEvPKT_Pi.uses_vcc, 1
	.set _Z11rank_kernelIiLj4ELb0EL18RadixRankAlgorithm0ELj128ELj1ELj10EEvPKT_Pi.uses_flat_scratch, 0
	.set _Z11rank_kernelIiLj4ELb0EL18RadixRankAlgorithm0ELj128ELj1ELj10EEvPKT_Pi.has_dyn_sized_stack, 0
	.set _Z11rank_kernelIiLj4ELb0EL18RadixRankAlgorithm0ELj128ELj1ELj10EEvPKT_Pi.has_recursion, 0
	.set _Z11rank_kernelIiLj4ELb0EL18RadixRankAlgorithm0ELj128ELj1ELj10EEvPKT_Pi.has_indirect_call, 0
	.section	.AMDGPU.csdata,"",@progbits
; Kernel info:
; codeLenInByte = 4780
; TotalNumSgprs: 34
; NumVgprs: 27
; ScratchSize: 0
; MemoryBound: 0
; FloatMode: 240
; IeeeMode: 1
; LDSByteSize: 4104 bytes/workgroup (compile time only)
; SGPRBlocks: 8
; VGPRBlocks: 7
; NumSGPRsForWavesPerEU: 65
; NumVGPRsForWavesPerEU: 29
; Occupancy: 8
; WaveLimiterHint : 0
; COMPUTE_PGM_RSRC2:SCRATCH_EN: 0
; COMPUTE_PGM_RSRC2:USER_SGPR: 6
; COMPUTE_PGM_RSRC2:TRAP_HANDLER: 0
; COMPUTE_PGM_RSRC2:TGID_X_EN: 1
; COMPUTE_PGM_RSRC2:TGID_Y_EN: 0
; COMPUTE_PGM_RSRC2:TGID_Z_EN: 0
; COMPUTE_PGM_RSRC2:TIDIG_COMP_CNT: 0
	.section	.text._Z11rank_kernelIiLj4ELb0EL18RadixRankAlgorithm1ELj128ELj1ELj10EEvPKT_Pi,"axG",@progbits,_Z11rank_kernelIiLj4ELb0EL18RadixRankAlgorithm1ELj128ELj1ELj10EEvPKT_Pi,comdat
	.protected	_Z11rank_kernelIiLj4ELb0EL18RadixRankAlgorithm1ELj128ELj1ELj10EEvPKT_Pi ; -- Begin function _Z11rank_kernelIiLj4ELb0EL18RadixRankAlgorithm1ELj128ELj1ELj10EEvPKT_Pi
	.globl	_Z11rank_kernelIiLj4ELb0EL18RadixRankAlgorithm1ELj128ELj1ELj10EEvPKT_Pi
	.p2align	8
	.type	_Z11rank_kernelIiLj4ELb0EL18RadixRankAlgorithm1ELj128ELj1ELj10EEvPKT_Pi,@function
_Z11rank_kernelIiLj4ELb0EL18RadixRankAlgorithm1ELj128ELj1ELj10EEvPKT_Pi: ; @_Z11rank_kernelIiLj4ELb0EL18RadixRankAlgorithm1ELj128ELj1ELj10EEvPKT_Pi
; %bb.0:
	s_load_dwordx4 s[20:23], s[4:5], 0x0
	s_lshl_b32 s26, s6, 7
	s_mov_b32 s27, 0
	s_lshl_b64 s[24:25], s[26:27], 2
	v_lshlrev_b32_e32 v9, 2, v0
	s_waitcnt lgkmcnt(0)
	s_add_u32 s0, s20, s24
	s_addc_u32 s1, s21, s25
	global_load_dword v1, v9, s[0:1]
	v_mbcnt_lo_u32_b32 v2, -1, 0
	v_mbcnt_hi_u32_b32 v2, -1, v2
	v_or_b32_e32 v3, 63, v0
	v_cmp_eq_u32_e64 s[4:5], v0, v3
	v_subrev_co_u32_e64 v3, s[6:7], 1, v2
	v_and_b32_e32 v8, 64, v2
	v_lshrrev_b32_e32 v4, 4, v0
	v_cmp_lt_i32_e64 s[18:19], v3, v8
	v_and_b32_e32 v6, 15, v2
	v_and_b32_e32 v7, 16, v2
	v_cmp_lt_u32_e64 s[2:3], 31, v2
	v_and_b32_e32 v13, 4, v4
	v_and_b32_e32 v4, 1, v2
	v_cndmask_b32_e64 v2, v3, v2, s[18:19]
	s_movk_i32 s20, 0x380
	v_cmp_eq_u32_e64 s[8:9], 0, v6
	v_cmp_lt_u32_e64 s[10:11], 1, v6
	v_cmp_lt_u32_e64 s[12:13], 3, v6
	;; [unrolled: 1-line block ×3, first 2 shown]
	v_cmp_eq_u32_e64 s[16:17], 0, v7
	v_cmp_eq_u32_e64 s[18:19], 0, v4
	v_lshlrev_b32_e32 v14, 2, v2
	v_lshlrev_b32_e32 v11, 5, v0
	v_mul_i32_i24_e32 v5, 0xffffffe4, v0
	v_mov_b32_e32 v10, 0
	s_movk_i32 s26, 0x37f
	v_cmp_gt_u32_e32 vcc, 2, v0
	v_cmp_lt_u32_e64 s[0:1], 63, v0
	v_or_b32_e32 v12, 0xffffff80, v0
	s_waitcnt vmcnt(0)
	v_not_b32_e32 v2, v1
	v_lshlrev_b32_e32 v3, 28, v1
	v_lshlrev_b32_e32 v4, 7, v1
	;; [unrolled: 1-line block ×5, first 2 shown]
	v_lshrrev_b32_e32 v15, 1, v1
	v_lshlrev_b32_e32 v16, 16, v1
	v_lshrrev_b32_e32 v17, 5, v1
	v_lshlrev_b32_e32 v18, 12, v1
	;; [unrolled: 2-line block ×4, first 2 shown]
	v_lshrrev_b32_e32 v23, 17, v1
	v_lshrrev_b32_e32 v1, 21, v1
	v_and_or_b32 v4, v4, s20, v0
	v_and_or_b32 v7, v7, s20, v0
	;; [unrolled: 1-line block ×8, first 2 shown]
	v_alignbit_b32 v3, v4, v3, 31
	v_alignbit_b32 v4, v7, v6, 31
	;; [unrolled: 1-line block ×8, first 2 shown]
	v_lshlrev_b32_e32 v15, 1, v3
	v_lshlrev_b32_e32 v16, 1, v4
	;; [unrolled: 1-line block ×8, first 2 shown]
	v_add_u32_e32 v23, v11, v5
	s_branch .LBB1_2
.LBB1_1:                                ;   in Loop: Header=BB1_2 Depth=1
	s_or_b64 exec, exec, s[20:21]
	s_waitcnt lgkmcnt(0)
	v_add_u32_e32 v4, v25, v4
	ds_bpermute_b32 v4, v14, v4
	ds_read_b32 v26, v10 offset:4100
	s_add_i32 s27, s27, 1
	s_cmp_eq_u32 s27, 10
	s_waitcnt lgkmcnt(1)
	v_cndmask_b32_e64 v4, v4, v25, s[6:7]
	s_waitcnt lgkmcnt(0)
	v_lshl_add_u32 v4, v26, 16, v4
	v_add_u32_e32 v5, v4, v5
	v_add_u32_e32 v6, v5, v6
	;; [unrolled: 1-line block ×7, first 2 shown]
	ds_write2_b64 v11, v[4:5], v[6:7] offset1:1
	ds_write2_b64 v11, v[25:26], v[1:2] offset0:2 offset1:3
	s_waitcnt lgkmcnt(0)
	s_barrier
	s_cbranch_scc1 .LBB1_66
.LBB1_2:                                ; =>This Loop Header: Depth=1
                                        ;     Child Loop BB1_3 Depth 2
                                        ;     Child Loop BB1_11 Depth 2
	;; [unrolled: 1-line block ×8, first 2 shown]
	s_mov_b64 s[28:29], 0
	v_mov_b32_e32 v1, v12
	v_mov_b32_e32 v2, v9
.LBB1_3:                                ;   Parent Loop BB1_2 Depth=1
                                        ; =>  This Inner Loop Header: Depth=2
	v_add_u32_e32 v1, 0x80, v1
	v_cmp_lt_u32_e64 s[20:21], s26, v1
	ds_write_b32 v2, v10
	s_or_b64 s[28:29], s[20:21], s[28:29]
	v_add_u32_e32 v2, 0x200, v2
	s_andn2_b64 exec, exec, s[28:29]
	s_cbranch_execnz .LBB1_3
; %bb.4:                                ;   in Loop: Header=BB1_2 Depth=1
	s_or_b64 exec, exec, s[28:29]
	ds_read_u16 v1, v15
	s_waitcnt lgkmcnt(0)
	v_add_u16_e32 v1, 1, v1
	ds_write_b16 v15, v1
	s_waitcnt lgkmcnt(0)
	s_barrier
	ds_read2_b64 v[5:8], v11 offset1:1
	ds_read2_b64 v[1:4], v11 offset0:2 offset1:3
	s_waitcnt lgkmcnt(1)
	v_add_u32_e32 v24, v6, v5
	v_add3_u32 v24, v24, v7, v8
	s_waitcnt lgkmcnt(0)
	v_add3_u32 v24, v24, v1, v2
	v_add3_u32 v4, v24, v3, v4
	s_nop 1
	v_mov_b32_dpp v24, v4 row_shr:1 row_mask:0xf bank_mask:0xf
	v_cndmask_b32_e64 v24, v24, 0, s[8:9]
	v_add_u32_e32 v4, v24, v4
	s_nop 1
	v_mov_b32_dpp v24, v4 row_shr:2 row_mask:0xf bank_mask:0xf
	v_cndmask_b32_e64 v24, 0, v24, s[10:11]
	v_add_u32_e32 v4, v4, v24
	;; [unrolled: 4-line block ×4, first 2 shown]
	s_nop 1
	v_mov_b32_dpp v24, v4 row_bcast:15 row_mask:0xf bank_mask:0xf
	v_cndmask_b32_e64 v24, v24, 0, s[16:17]
	v_add_u32_e32 v4, v4, v24
	s_nop 1
	v_mov_b32_dpp v24, v4 row_bcast:31 row_mask:0xf bank_mask:0xf
	v_cndmask_b32_e64 v24, 0, v24, s[2:3]
	v_add_u32_e32 v4, v4, v24
	s_and_saveexec_b64 s[20:21], s[4:5]
; %bb.5:                                ;   in Loop: Header=BB1_2 Depth=1
	ds_write_b32 v13, v4 offset:4096
; %bb.6:                                ;   in Loop: Header=BB1_2 Depth=1
	s_or_b64 exec, exec, s[20:21]
	s_waitcnt lgkmcnt(0)
	s_barrier
	s_and_saveexec_b64 s[20:21], vcc
	s_cbranch_execz .LBB1_8
; %bb.7:                                ;   in Loop: Header=BB1_2 Depth=1
	ds_read_b32 v24, v23 offset:4096
	s_waitcnt lgkmcnt(0)
	s_nop 0
	v_mov_b32_dpp v25, v24 row_shr:1 row_mask:0xf bank_mask:0xf
	v_cndmask_b32_e64 v25, v25, 0, s[18:19]
	v_add_u32_e32 v24, v25, v24
	ds_write_b32 v23, v24 offset:4096
.LBB1_8:                                ;   in Loop: Header=BB1_2 Depth=1
	s_or_b64 exec, exec, s[20:21]
	v_mov_b32_e32 v24, 0
	s_waitcnt lgkmcnt(0)
	s_barrier
	s_and_saveexec_b64 s[20:21], s[0:1]
; %bb.9:                                ;   in Loop: Header=BB1_2 Depth=1
	ds_read_b32 v24, v13 offset:4092
; %bb.10:                               ;   in Loop: Header=BB1_2 Depth=1
	s_or_b64 exec, exec, s[20:21]
	s_waitcnt lgkmcnt(0)
	v_add_u32_e32 v4, v24, v4
	ds_bpermute_b32 v4, v14, v4
	ds_read_b32 v25, v10 offset:4100
	s_mov_b64 s[28:29], 0
	s_waitcnt lgkmcnt(1)
	v_cndmask_b32_e64 v4, v4, v24, s[6:7]
	s_waitcnt lgkmcnt(0)
	v_lshl_add_u32 v4, v25, 16, v4
	v_add_u32_e32 v5, v4, v5
	v_add_u32_e32 v6, v5, v6
	;; [unrolled: 1-line block ×7, first 2 shown]
	ds_write2_b64 v11, v[24:25], v[1:2] offset0:2 offset1:3
	v_mov_b32_e32 v1, v9
	v_mov_b32_e32 v2, v12
	ds_write2_b64 v11, v[4:5], v[6:7] offset1:1
	s_waitcnt lgkmcnt(0)
	s_barrier
.LBB1_11:                               ;   Parent Loop BB1_2 Depth=1
                                        ; =>  This Inner Loop Header: Depth=2
	v_add_u32_e32 v2, 0x80, v2
	v_cmp_lt_u32_e64 s[20:21], s26, v2
	ds_write_b32 v1, v10
	s_or_b64 s[28:29], s[20:21], s[28:29]
	v_add_u32_e32 v1, 0x200, v1
	s_andn2_b64 exec, exec, s[28:29]
	s_cbranch_execnz .LBB1_11
; %bb.12:                               ;   in Loop: Header=BB1_2 Depth=1
	s_or_b64 exec, exec, s[28:29]
	ds_read_u16 v1, v16
	s_waitcnt lgkmcnt(0)
	v_add_u16_e32 v1, 1, v1
	ds_write_b16 v16, v1
	s_waitcnt lgkmcnt(0)
	s_barrier
	ds_read2_b64 v[5:8], v11 offset1:1
	ds_read2_b64 v[1:4], v11 offset0:2 offset1:3
	s_waitcnt lgkmcnt(1)
	v_add_u32_e32 v24, v6, v5
	v_add3_u32 v24, v24, v7, v8
	s_waitcnt lgkmcnt(0)
	v_add3_u32 v24, v24, v1, v2
	v_add3_u32 v4, v24, v3, v4
	s_nop 1
	v_mov_b32_dpp v24, v4 row_shr:1 row_mask:0xf bank_mask:0xf
	v_cndmask_b32_e64 v24, v24, 0, s[8:9]
	v_add_u32_e32 v4, v24, v4
	s_nop 1
	v_mov_b32_dpp v24, v4 row_shr:2 row_mask:0xf bank_mask:0xf
	v_cndmask_b32_e64 v24, 0, v24, s[10:11]
	v_add_u32_e32 v4, v4, v24
	;; [unrolled: 4-line block ×4, first 2 shown]
	s_nop 1
	v_mov_b32_dpp v24, v4 row_bcast:15 row_mask:0xf bank_mask:0xf
	v_cndmask_b32_e64 v24, v24, 0, s[16:17]
	v_add_u32_e32 v4, v4, v24
	s_nop 1
	v_mov_b32_dpp v24, v4 row_bcast:31 row_mask:0xf bank_mask:0xf
	v_cndmask_b32_e64 v24, 0, v24, s[2:3]
	v_add_u32_e32 v4, v4, v24
	s_and_saveexec_b64 s[20:21], s[4:5]
; %bb.13:                               ;   in Loop: Header=BB1_2 Depth=1
	ds_write_b32 v13, v4 offset:4096
; %bb.14:                               ;   in Loop: Header=BB1_2 Depth=1
	s_or_b64 exec, exec, s[20:21]
	s_waitcnt lgkmcnt(0)
	s_barrier
	s_and_saveexec_b64 s[20:21], vcc
	s_cbranch_execz .LBB1_16
; %bb.15:                               ;   in Loop: Header=BB1_2 Depth=1
	ds_read_b32 v24, v23 offset:4096
	s_waitcnt lgkmcnt(0)
	s_nop 0
	v_mov_b32_dpp v25, v24 row_shr:1 row_mask:0xf bank_mask:0xf
	v_cndmask_b32_e64 v25, v25, 0, s[18:19]
	v_add_u32_e32 v24, v25, v24
	ds_write_b32 v23, v24 offset:4096
.LBB1_16:                               ;   in Loop: Header=BB1_2 Depth=1
	s_or_b64 exec, exec, s[20:21]
	v_mov_b32_e32 v24, 0
	s_waitcnt lgkmcnt(0)
	s_barrier
	s_and_saveexec_b64 s[20:21], s[0:1]
; %bb.17:                               ;   in Loop: Header=BB1_2 Depth=1
	ds_read_b32 v24, v13 offset:4092
; %bb.18:                               ;   in Loop: Header=BB1_2 Depth=1
	s_or_b64 exec, exec, s[20:21]
	s_waitcnt lgkmcnt(0)
	v_add_u32_e32 v4, v24, v4
	ds_bpermute_b32 v4, v14, v4
	ds_read_b32 v25, v10 offset:4100
	s_mov_b64 s[28:29], 0
	s_waitcnt lgkmcnt(1)
	v_cndmask_b32_e64 v4, v4, v24, s[6:7]
	s_waitcnt lgkmcnt(0)
	v_lshl_add_u32 v4, v25, 16, v4
	v_add_u32_e32 v5, v4, v5
	v_add_u32_e32 v6, v5, v6
	;; [unrolled: 1-line block ×7, first 2 shown]
	ds_write2_b64 v11, v[24:25], v[1:2] offset0:2 offset1:3
	v_mov_b32_e32 v1, v9
	v_mov_b32_e32 v2, v12
	ds_write2_b64 v11, v[4:5], v[6:7] offset1:1
	s_waitcnt lgkmcnt(0)
	s_barrier
.LBB1_19:                               ;   Parent Loop BB1_2 Depth=1
                                        ; =>  This Inner Loop Header: Depth=2
	v_add_u32_e32 v2, 0x80, v2
	v_cmp_lt_u32_e64 s[20:21], s26, v2
	ds_write_b32 v1, v10
	s_or_b64 s[28:29], s[20:21], s[28:29]
	v_add_u32_e32 v1, 0x200, v1
	s_andn2_b64 exec, exec, s[28:29]
	s_cbranch_execnz .LBB1_19
; %bb.20:                               ;   in Loop: Header=BB1_2 Depth=1
	s_or_b64 exec, exec, s[28:29]
	ds_read_u16 v1, v17
	s_waitcnt lgkmcnt(0)
	v_add_u16_e32 v1, 1, v1
	ds_write_b16 v17, v1
	s_waitcnt lgkmcnt(0)
	s_barrier
	ds_read2_b64 v[5:8], v11 offset1:1
	ds_read2_b64 v[1:4], v11 offset0:2 offset1:3
	s_waitcnt lgkmcnt(1)
	v_add_u32_e32 v24, v6, v5
	v_add3_u32 v24, v24, v7, v8
	s_waitcnt lgkmcnt(0)
	v_add3_u32 v24, v24, v1, v2
	v_add3_u32 v4, v24, v3, v4
	s_nop 1
	v_mov_b32_dpp v24, v4 row_shr:1 row_mask:0xf bank_mask:0xf
	v_cndmask_b32_e64 v24, v24, 0, s[8:9]
	v_add_u32_e32 v4, v24, v4
	s_nop 1
	v_mov_b32_dpp v24, v4 row_shr:2 row_mask:0xf bank_mask:0xf
	v_cndmask_b32_e64 v24, 0, v24, s[10:11]
	v_add_u32_e32 v4, v4, v24
	;; [unrolled: 4-line block ×4, first 2 shown]
	s_nop 1
	v_mov_b32_dpp v24, v4 row_bcast:15 row_mask:0xf bank_mask:0xf
	v_cndmask_b32_e64 v24, v24, 0, s[16:17]
	v_add_u32_e32 v4, v4, v24
	s_nop 1
	v_mov_b32_dpp v24, v4 row_bcast:31 row_mask:0xf bank_mask:0xf
	v_cndmask_b32_e64 v24, 0, v24, s[2:3]
	v_add_u32_e32 v4, v4, v24
	s_and_saveexec_b64 s[20:21], s[4:5]
; %bb.21:                               ;   in Loop: Header=BB1_2 Depth=1
	ds_write_b32 v13, v4 offset:4096
; %bb.22:                               ;   in Loop: Header=BB1_2 Depth=1
	s_or_b64 exec, exec, s[20:21]
	s_waitcnt lgkmcnt(0)
	s_barrier
	s_and_saveexec_b64 s[20:21], vcc
	s_cbranch_execz .LBB1_24
; %bb.23:                               ;   in Loop: Header=BB1_2 Depth=1
	ds_read_b32 v24, v23 offset:4096
	s_waitcnt lgkmcnt(0)
	s_nop 0
	v_mov_b32_dpp v25, v24 row_shr:1 row_mask:0xf bank_mask:0xf
	v_cndmask_b32_e64 v25, v25, 0, s[18:19]
	v_add_u32_e32 v24, v25, v24
	ds_write_b32 v23, v24 offset:4096
.LBB1_24:                               ;   in Loop: Header=BB1_2 Depth=1
	s_or_b64 exec, exec, s[20:21]
	v_mov_b32_e32 v24, 0
	s_waitcnt lgkmcnt(0)
	s_barrier
	s_and_saveexec_b64 s[20:21], s[0:1]
; %bb.25:                               ;   in Loop: Header=BB1_2 Depth=1
	ds_read_b32 v24, v13 offset:4092
; %bb.26:                               ;   in Loop: Header=BB1_2 Depth=1
	s_or_b64 exec, exec, s[20:21]
	s_waitcnt lgkmcnt(0)
	v_add_u32_e32 v4, v24, v4
	ds_bpermute_b32 v4, v14, v4
	ds_read_b32 v25, v10 offset:4100
	s_mov_b64 s[28:29], 0
	s_waitcnt lgkmcnt(1)
	v_cndmask_b32_e64 v4, v4, v24, s[6:7]
	s_waitcnt lgkmcnt(0)
	v_lshl_add_u32 v4, v25, 16, v4
	v_add_u32_e32 v5, v4, v5
	v_add_u32_e32 v6, v5, v6
	;; [unrolled: 1-line block ×7, first 2 shown]
	ds_write2_b64 v11, v[24:25], v[1:2] offset0:2 offset1:3
	v_mov_b32_e32 v1, v9
	v_mov_b32_e32 v2, v12
	ds_write2_b64 v11, v[4:5], v[6:7] offset1:1
	s_waitcnt lgkmcnt(0)
	s_barrier
.LBB1_27:                               ;   Parent Loop BB1_2 Depth=1
                                        ; =>  This Inner Loop Header: Depth=2
	v_add_u32_e32 v2, 0x80, v2
	v_cmp_lt_u32_e64 s[20:21], s26, v2
	ds_write_b32 v1, v10
	s_or_b64 s[28:29], s[20:21], s[28:29]
	v_add_u32_e32 v1, 0x200, v1
	s_andn2_b64 exec, exec, s[28:29]
	s_cbranch_execnz .LBB1_27
; %bb.28:                               ;   in Loop: Header=BB1_2 Depth=1
	s_or_b64 exec, exec, s[28:29]
	ds_read_u16 v1, v18
	s_waitcnt lgkmcnt(0)
	v_add_u16_e32 v1, 1, v1
	ds_write_b16 v18, v1
	s_waitcnt lgkmcnt(0)
	s_barrier
	ds_read2_b64 v[5:8], v11 offset1:1
	ds_read2_b64 v[1:4], v11 offset0:2 offset1:3
	s_waitcnt lgkmcnt(1)
	v_add_u32_e32 v24, v6, v5
	v_add3_u32 v24, v24, v7, v8
	s_waitcnt lgkmcnt(0)
	v_add3_u32 v24, v24, v1, v2
	v_add3_u32 v4, v24, v3, v4
	s_nop 1
	v_mov_b32_dpp v24, v4 row_shr:1 row_mask:0xf bank_mask:0xf
	v_cndmask_b32_e64 v24, v24, 0, s[8:9]
	v_add_u32_e32 v4, v24, v4
	s_nop 1
	v_mov_b32_dpp v24, v4 row_shr:2 row_mask:0xf bank_mask:0xf
	v_cndmask_b32_e64 v24, 0, v24, s[10:11]
	v_add_u32_e32 v4, v4, v24
	;; [unrolled: 4-line block ×4, first 2 shown]
	s_nop 1
	v_mov_b32_dpp v24, v4 row_bcast:15 row_mask:0xf bank_mask:0xf
	v_cndmask_b32_e64 v24, v24, 0, s[16:17]
	v_add_u32_e32 v4, v4, v24
	s_nop 1
	v_mov_b32_dpp v24, v4 row_bcast:31 row_mask:0xf bank_mask:0xf
	v_cndmask_b32_e64 v24, 0, v24, s[2:3]
	v_add_u32_e32 v4, v4, v24
	s_and_saveexec_b64 s[20:21], s[4:5]
; %bb.29:                               ;   in Loop: Header=BB1_2 Depth=1
	ds_write_b32 v13, v4 offset:4096
; %bb.30:                               ;   in Loop: Header=BB1_2 Depth=1
	s_or_b64 exec, exec, s[20:21]
	s_waitcnt lgkmcnt(0)
	s_barrier
	s_and_saveexec_b64 s[20:21], vcc
	s_cbranch_execz .LBB1_32
; %bb.31:                               ;   in Loop: Header=BB1_2 Depth=1
	ds_read_b32 v24, v23 offset:4096
	s_waitcnt lgkmcnt(0)
	s_nop 0
	v_mov_b32_dpp v25, v24 row_shr:1 row_mask:0xf bank_mask:0xf
	v_cndmask_b32_e64 v25, v25, 0, s[18:19]
	v_add_u32_e32 v24, v25, v24
	ds_write_b32 v23, v24 offset:4096
.LBB1_32:                               ;   in Loop: Header=BB1_2 Depth=1
	s_or_b64 exec, exec, s[20:21]
	v_mov_b32_e32 v24, 0
	s_waitcnt lgkmcnt(0)
	s_barrier
	s_and_saveexec_b64 s[20:21], s[0:1]
; %bb.33:                               ;   in Loop: Header=BB1_2 Depth=1
	ds_read_b32 v24, v13 offset:4092
; %bb.34:                               ;   in Loop: Header=BB1_2 Depth=1
	s_or_b64 exec, exec, s[20:21]
	s_waitcnt lgkmcnt(0)
	v_add_u32_e32 v4, v24, v4
	ds_bpermute_b32 v4, v14, v4
	ds_read_b32 v25, v10 offset:4100
	s_mov_b64 s[28:29], 0
	s_waitcnt lgkmcnt(1)
	v_cndmask_b32_e64 v4, v4, v24, s[6:7]
	s_waitcnt lgkmcnt(0)
	v_lshl_add_u32 v4, v25, 16, v4
	v_add_u32_e32 v5, v4, v5
	v_add_u32_e32 v6, v5, v6
	;; [unrolled: 1-line block ×7, first 2 shown]
	ds_write2_b64 v11, v[24:25], v[1:2] offset0:2 offset1:3
	v_mov_b32_e32 v1, v9
	v_mov_b32_e32 v2, v12
	ds_write2_b64 v11, v[4:5], v[6:7] offset1:1
	s_waitcnt lgkmcnt(0)
	s_barrier
.LBB1_35:                               ;   Parent Loop BB1_2 Depth=1
                                        ; =>  This Inner Loop Header: Depth=2
	v_add_u32_e32 v2, 0x80, v2
	v_cmp_lt_u32_e64 s[20:21], s26, v2
	ds_write_b32 v1, v10
	s_or_b64 s[28:29], s[20:21], s[28:29]
	v_add_u32_e32 v1, 0x200, v1
	s_andn2_b64 exec, exec, s[28:29]
	s_cbranch_execnz .LBB1_35
; %bb.36:                               ;   in Loop: Header=BB1_2 Depth=1
	s_or_b64 exec, exec, s[28:29]
	ds_read_u16 v1, v19
	s_waitcnt lgkmcnt(0)
	v_add_u16_e32 v1, 1, v1
	ds_write_b16 v19, v1
	s_waitcnt lgkmcnt(0)
	s_barrier
	ds_read2_b64 v[5:8], v11 offset1:1
	ds_read2_b64 v[1:4], v11 offset0:2 offset1:3
	s_waitcnt lgkmcnt(1)
	v_add_u32_e32 v24, v6, v5
	v_add3_u32 v24, v24, v7, v8
	s_waitcnt lgkmcnt(0)
	v_add3_u32 v24, v24, v1, v2
	v_add3_u32 v4, v24, v3, v4
	s_nop 1
	v_mov_b32_dpp v24, v4 row_shr:1 row_mask:0xf bank_mask:0xf
	v_cndmask_b32_e64 v24, v24, 0, s[8:9]
	v_add_u32_e32 v4, v24, v4
	s_nop 1
	v_mov_b32_dpp v24, v4 row_shr:2 row_mask:0xf bank_mask:0xf
	v_cndmask_b32_e64 v24, 0, v24, s[10:11]
	v_add_u32_e32 v4, v4, v24
	;; [unrolled: 4-line block ×4, first 2 shown]
	s_nop 1
	v_mov_b32_dpp v24, v4 row_bcast:15 row_mask:0xf bank_mask:0xf
	v_cndmask_b32_e64 v24, v24, 0, s[16:17]
	v_add_u32_e32 v4, v4, v24
	s_nop 1
	v_mov_b32_dpp v24, v4 row_bcast:31 row_mask:0xf bank_mask:0xf
	v_cndmask_b32_e64 v24, 0, v24, s[2:3]
	v_add_u32_e32 v4, v4, v24
	s_and_saveexec_b64 s[20:21], s[4:5]
; %bb.37:                               ;   in Loop: Header=BB1_2 Depth=1
	ds_write_b32 v13, v4 offset:4096
; %bb.38:                               ;   in Loop: Header=BB1_2 Depth=1
	s_or_b64 exec, exec, s[20:21]
	s_waitcnt lgkmcnt(0)
	s_barrier
	s_and_saveexec_b64 s[20:21], vcc
	s_cbranch_execz .LBB1_40
; %bb.39:                               ;   in Loop: Header=BB1_2 Depth=1
	ds_read_b32 v24, v23 offset:4096
	s_waitcnt lgkmcnt(0)
	s_nop 0
	v_mov_b32_dpp v25, v24 row_shr:1 row_mask:0xf bank_mask:0xf
	v_cndmask_b32_e64 v25, v25, 0, s[18:19]
	v_add_u32_e32 v24, v25, v24
	ds_write_b32 v23, v24 offset:4096
.LBB1_40:                               ;   in Loop: Header=BB1_2 Depth=1
	s_or_b64 exec, exec, s[20:21]
	v_mov_b32_e32 v24, 0
	s_waitcnt lgkmcnt(0)
	s_barrier
	s_and_saveexec_b64 s[20:21], s[0:1]
; %bb.41:                               ;   in Loop: Header=BB1_2 Depth=1
	ds_read_b32 v24, v13 offset:4092
; %bb.42:                               ;   in Loop: Header=BB1_2 Depth=1
	s_or_b64 exec, exec, s[20:21]
	s_waitcnt lgkmcnt(0)
	v_add_u32_e32 v4, v24, v4
	ds_bpermute_b32 v4, v14, v4
	ds_read_b32 v25, v10 offset:4100
	s_mov_b64 s[28:29], 0
	s_waitcnt lgkmcnt(1)
	v_cndmask_b32_e64 v4, v4, v24, s[6:7]
	s_waitcnt lgkmcnt(0)
	v_lshl_add_u32 v4, v25, 16, v4
	v_add_u32_e32 v5, v4, v5
	v_add_u32_e32 v6, v5, v6
	;; [unrolled: 1-line block ×7, first 2 shown]
	ds_write2_b64 v11, v[24:25], v[1:2] offset0:2 offset1:3
	v_mov_b32_e32 v1, v9
	v_mov_b32_e32 v2, v12
	ds_write2_b64 v11, v[4:5], v[6:7] offset1:1
	s_waitcnt lgkmcnt(0)
	s_barrier
.LBB1_43:                               ;   Parent Loop BB1_2 Depth=1
                                        ; =>  This Inner Loop Header: Depth=2
	v_add_u32_e32 v2, 0x80, v2
	v_cmp_lt_u32_e64 s[20:21], s26, v2
	ds_write_b32 v1, v10
	s_or_b64 s[28:29], s[20:21], s[28:29]
	v_add_u32_e32 v1, 0x200, v1
	s_andn2_b64 exec, exec, s[28:29]
	s_cbranch_execnz .LBB1_43
; %bb.44:                               ;   in Loop: Header=BB1_2 Depth=1
	s_or_b64 exec, exec, s[28:29]
	ds_read_u16 v1, v20
	s_waitcnt lgkmcnt(0)
	v_add_u16_e32 v1, 1, v1
	ds_write_b16 v20, v1
	s_waitcnt lgkmcnt(0)
	s_barrier
	ds_read2_b64 v[5:8], v11 offset1:1
	ds_read2_b64 v[1:4], v11 offset0:2 offset1:3
	s_waitcnt lgkmcnt(1)
	v_add_u32_e32 v24, v6, v5
	v_add3_u32 v24, v24, v7, v8
	s_waitcnt lgkmcnt(0)
	v_add3_u32 v24, v24, v1, v2
	v_add3_u32 v4, v24, v3, v4
	s_nop 1
	v_mov_b32_dpp v24, v4 row_shr:1 row_mask:0xf bank_mask:0xf
	v_cndmask_b32_e64 v24, v24, 0, s[8:9]
	v_add_u32_e32 v4, v24, v4
	s_nop 1
	v_mov_b32_dpp v24, v4 row_shr:2 row_mask:0xf bank_mask:0xf
	v_cndmask_b32_e64 v24, 0, v24, s[10:11]
	v_add_u32_e32 v4, v4, v24
	s_nop 1
	v_mov_b32_dpp v24, v4 row_shr:4 row_mask:0xf bank_mask:0xf
	v_cndmask_b32_e64 v24, 0, v24, s[12:13]
	v_add_u32_e32 v4, v4, v24
	s_nop 1
	v_mov_b32_dpp v24, v4 row_shr:8 row_mask:0xf bank_mask:0xf
	v_cndmask_b32_e64 v24, 0, v24, s[14:15]
	v_add_u32_e32 v4, v4, v24
	s_nop 1
	v_mov_b32_dpp v24, v4 row_bcast:15 row_mask:0xf bank_mask:0xf
	v_cndmask_b32_e64 v24, v24, 0, s[16:17]
	v_add_u32_e32 v4, v4, v24
	s_nop 1
	v_mov_b32_dpp v24, v4 row_bcast:31 row_mask:0xf bank_mask:0xf
	v_cndmask_b32_e64 v24, 0, v24, s[2:3]
	v_add_u32_e32 v4, v4, v24
	s_and_saveexec_b64 s[20:21], s[4:5]
; %bb.45:                               ;   in Loop: Header=BB1_2 Depth=1
	ds_write_b32 v13, v4 offset:4096
; %bb.46:                               ;   in Loop: Header=BB1_2 Depth=1
	s_or_b64 exec, exec, s[20:21]
	s_waitcnt lgkmcnt(0)
	s_barrier
	s_and_saveexec_b64 s[20:21], vcc
	s_cbranch_execz .LBB1_48
; %bb.47:                               ;   in Loop: Header=BB1_2 Depth=1
	ds_read_b32 v24, v23 offset:4096
	s_waitcnt lgkmcnt(0)
	s_nop 0
	v_mov_b32_dpp v25, v24 row_shr:1 row_mask:0xf bank_mask:0xf
	v_cndmask_b32_e64 v25, v25, 0, s[18:19]
	v_add_u32_e32 v24, v25, v24
	ds_write_b32 v23, v24 offset:4096
.LBB1_48:                               ;   in Loop: Header=BB1_2 Depth=1
	s_or_b64 exec, exec, s[20:21]
	v_mov_b32_e32 v24, 0
	s_waitcnt lgkmcnt(0)
	s_barrier
	s_and_saveexec_b64 s[20:21], s[0:1]
; %bb.49:                               ;   in Loop: Header=BB1_2 Depth=1
	ds_read_b32 v24, v13 offset:4092
; %bb.50:                               ;   in Loop: Header=BB1_2 Depth=1
	s_or_b64 exec, exec, s[20:21]
	s_waitcnt lgkmcnt(0)
	v_add_u32_e32 v4, v24, v4
	ds_bpermute_b32 v4, v14, v4
	ds_read_b32 v25, v10 offset:4100
	s_mov_b64 s[28:29], 0
	s_waitcnt lgkmcnt(1)
	v_cndmask_b32_e64 v4, v4, v24, s[6:7]
	s_waitcnt lgkmcnt(0)
	v_lshl_add_u32 v4, v25, 16, v4
	v_add_u32_e32 v5, v4, v5
	v_add_u32_e32 v6, v5, v6
	;; [unrolled: 1-line block ×7, first 2 shown]
	ds_write2_b64 v11, v[24:25], v[1:2] offset0:2 offset1:3
	v_mov_b32_e32 v1, v9
	v_mov_b32_e32 v2, v12
	ds_write2_b64 v11, v[4:5], v[6:7] offset1:1
	s_waitcnt lgkmcnt(0)
	s_barrier
.LBB1_51:                               ;   Parent Loop BB1_2 Depth=1
                                        ; =>  This Inner Loop Header: Depth=2
	v_add_u32_e32 v2, 0x80, v2
	v_cmp_lt_u32_e64 s[20:21], s26, v2
	ds_write_b32 v1, v10
	s_or_b64 s[28:29], s[20:21], s[28:29]
	v_add_u32_e32 v1, 0x200, v1
	s_andn2_b64 exec, exec, s[28:29]
	s_cbranch_execnz .LBB1_51
; %bb.52:                               ;   in Loop: Header=BB1_2 Depth=1
	s_or_b64 exec, exec, s[28:29]
	ds_read_u16 v1, v22
	s_waitcnt lgkmcnt(0)
	v_add_u16_e32 v1, 1, v1
	ds_write_b16 v22, v1
	s_waitcnt lgkmcnt(0)
	s_barrier
	ds_read2_b64 v[5:8], v11 offset1:1
	ds_read2_b64 v[1:4], v11 offset0:2 offset1:3
	s_waitcnt lgkmcnt(1)
	v_add_u32_e32 v24, v6, v5
	v_add3_u32 v24, v24, v7, v8
	s_waitcnt lgkmcnt(0)
	v_add3_u32 v24, v24, v1, v2
	v_add3_u32 v4, v24, v3, v4
	s_nop 1
	v_mov_b32_dpp v24, v4 row_shr:1 row_mask:0xf bank_mask:0xf
	v_cndmask_b32_e64 v24, v24, 0, s[8:9]
	v_add_u32_e32 v4, v24, v4
	s_nop 1
	v_mov_b32_dpp v24, v4 row_shr:2 row_mask:0xf bank_mask:0xf
	v_cndmask_b32_e64 v24, 0, v24, s[10:11]
	v_add_u32_e32 v4, v4, v24
	;; [unrolled: 4-line block ×4, first 2 shown]
	s_nop 1
	v_mov_b32_dpp v24, v4 row_bcast:15 row_mask:0xf bank_mask:0xf
	v_cndmask_b32_e64 v24, v24, 0, s[16:17]
	v_add_u32_e32 v4, v4, v24
	s_nop 1
	v_mov_b32_dpp v24, v4 row_bcast:31 row_mask:0xf bank_mask:0xf
	v_cndmask_b32_e64 v24, 0, v24, s[2:3]
	v_add_u32_e32 v4, v4, v24
	s_and_saveexec_b64 s[20:21], s[4:5]
; %bb.53:                               ;   in Loop: Header=BB1_2 Depth=1
	ds_write_b32 v13, v4 offset:4096
; %bb.54:                               ;   in Loop: Header=BB1_2 Depth=1
	s_or_b64 exec, exec, s[20:21]
	s_waitcnt lgkmcnt(0)
	s_barrier
	s_and_saveexec_b64 s[20:21], vcc
	s_cbranch_execz .LBB1_56
; %bb.55:                               ;   in Loop: Header=BB1_2 Depth=1
	ds_read_b32 v24, v23 offset:4096
	s_waitcnt lgkmcnt(0)
	s_nop 0
	v_mov_b32_dpp v25, v24 row_shr:1 row_mask:0xf bank_mask:0xf
	v_cndmask_b32_e64 v25, v25, 0, s[18:19]
	v_add_u32_e32 v24, v25, v24
	ds_write_b32 v23, v24 offset:4096
.LBB1_56:                               ;   in Loop: Header=BB1_2 Depth=1
	s_or_b64 exec, exec, s[20:21]
	v_mov_b32_e32 v24, 0
	s_waitcnt lgkmcnt(0)
	s_barrier
	s_and_saveexec_b64 s[20:21], s[0:1]
; %bb.57:                               ;   in Loop: Header=BB1_2 Depth=1
	ds_read_b32 v24, v13 offset:4092
; %bb.58:                               ;   in Loop: Header=BB1_2 Depth=1
	s_or_b64 exec, exec, s[20:21]
	s_waitcnt lgkmcnt(0)
	v_add_u32_e32 v4, v24, v4
	ds_bpermute_b32 v4, v14, v4
	ds_read_b32 v25, v10 offset:4100
	s_mov_b64 s[28:29], 0
	s_waitcnt lgkmcnt(1)
	v_cndmask_b32_e64 v4, v4, v24, s[6:7]
	s_waitcnt lgkmcnt(0)
	v_lshl_add_u32 v4, v25, 16, v4
	v_add_u32_e32 v5, v4, v5
	v_add_u32_e32 v6, v5, v6
	;; [unrolled: 1-line block ×7, first 2 shown]
	ds_write2_b64 v11, v[24:25], v[1:2] offset0:2 offset1:3
	v_mov_b32_e32 v1, v9
	v_mov_b32_e32 v2, v12
	ds_write2_b64 v11, v[4:5], v[6:7] offset1:1
	s_waitcnt lgkmcnt(0)
	s_barrier
.LBB1_59:                               ;   Parent Loop BB1_2 Depth=1
                                        ; =>  This Inner Loop Header: Depth=2
	v_add_u32_e32 v2, 0x80, v2
	v_cmp_lt_u32_e64 s[20:21], s26, v2
	ds_write_b32 v1, v10
	s_or_b64 s[28:29], s[20:21], s[28:29]
	v_add_u32_e32 v1, 0x200, v1
	s_andn2_b64 exec, exec, s[28:29]
	s_cbranch_execnz .LBB1_59
; %bb.60:                               ;   in Loop: Header=BB1_2 Depth=1
	s_or_b64 exec, exec, s[28:29]
	ds_read_u16 v24, v21
	s_waitcnt lgkmcnt(0)
	v_add_u16_e32 v1, 1, v24
	ds_write_b16 v21, v1
	s_waitcnt lgkmcnt(0)
	s_barrier
	ds_read2_b64 v[5:8], v11 offset1:1
	ds_read2_b64 v[1:4], v11 offset0:2 offset1:3
	s_waitcnt lgkmcnt(1)
	v_add_u32_e32 v25, v6, v5
	v_add3_u32 v25, v25, v7, v8
	s_waitcnt lgkmcnt(0)
	v_add3_u32 v25, v25, v1, v2
	v_add3_u32 v4, v25, v3, v4
	s_nop 1
	v_mov_b32_dpp v25, v4 row_shr:1 row_mask:0xf bank_mask:0xf
	v_cndmask_b32_e64 v25, v25, 0, s[8:9]
	v_add_u32_e32 v4, v25, v4
	s_nop 1
	v_mov_b32_dpp v25, v4 row_shr:2 row_mask:0xf bank_mask:0xf
	v_cndmask_b32_e64 v25, 0, v25, s[10:11]
	v_add_u32_e32 v4, v4, v25
	;; [unrolled: 4-line block ×4, first 2 shown]
	s_nop 1
	v_mov_b32_dpp v25, v4 row_bcast:15 row_mask:0xf bank_mask:0xf
	v_cndmask_b32_e64 v25, v25, 0, s[16:17]
	v_add_u32_e32 v4, v4, v25
	s_nop 1
	v_mov_b32_dpp v25, v4 row_bcast:31 row_mask:0xf bank_mask:0xf
	v_cndmask_b32_e64 v25, 0, v25, s[2:3]
	v_add_u32_e32 v4, v4, v25
	s_and_saveexec_b64 s[20:21], s[4:5]
; %bb.61:                               ;   in Loop: Header=BB1_2 Depth=1
	ds_write_b32 v13, v4 offset:4096
; %bb.62:                               ;   in Loop: Header=BB1_2 Depth=1
	s_or_b64 exec, exec, s[20:21]
	s_waitcnt lgkmcnt(0)
	s_barrier
	s_and_saveexec_b64 s[20:21], vcc
	s_cbranch_execz .LBB1_64
; %bb.63:                               ;   in Loop: Header=BB1_2 Depth=1
	ds_read_b32 v25, v23 offset:4096
	s_waitcnt lgkmcnt(0)
	s_nop 0
	v_mov_b32_dpp v26, v25 row_shr:1 row_mask:0xf bank_mask:0xf
	v_cndmask_b32_e64 v26, v26, 0, s[18:19]
	v_add_u32_e32 v25, v26, v25
	ds_write_b32 v23, v25 offset:4096
.LBB1_64:                               ;   in Loop: Header=BB1_2 Depth=1
	s_or_b64 exec, exec, s[20:21]
	v_mov_b32_e32 v25, 0
	s_waitcnt lgkmcnt(0)
	s_barrier
	s_and_saveexec_b64 s[20:21], s[0:1]
	s_cbranch_execz .LBB1_1
; %bb.65:                               ;   in Loop: Header=BB1_2 Depth=1
	ds_read_b32 v25, v13 offset:4092
	s_branch .LBB1_1
.LBB1_66:
	ds_read_u16 v1, v21
	s_add_u32 s0, s22, s24
	s_addc_u32 s1, s23, s25
	v_lshlrev_b32_e32 v0, 2, v0
	s_waitcnt lgkmcnt(0)
	v_add_u32_sdwa v1, v1, v24 dst_sel:DWORD dst_unused:UNUSED_PAD src0_sel:DWORD src1_sel:WORD_0
	global_store_dword v0, v1, s[0:1]
	s_endpgm
	.section	.rodata,"a",@progbits
	.p2align	6, 0x0
	.amdhsa_kernel _Z11rank_kernelIiLj4ELb0EL18RadixRankAlgorithm1ELj128ELj1ELj10EEvPKT_Pi
		.amdhsa_group_segment_fixed_size 4104
		.amdhsa_private_segment_fixed_size 0
		.amdhsa_kernarg_size 16
		.amdhsa_user_sgpr_count 6
		.amdhsa_user_sgpr_private_segment_buffer 1
		.amdhsa_user_sgpr_dispatch_ptr 0
		.amdhsa_user_sgpr_queue_ptr 0
		.amdhsa_user_sgpr_kernarg_segment_ptr 1
		.amdhsa_user_sgpr_dispatch_id 0
		.amdhsa_user_sgpr_flat_scratch_init 0
		.amdhsa_user_sgpr_private_segment_size 0
		.amdhsa_uses_dynamic_stack 0
		.amdhsa_system_sgpr_private_segment_wavefront_offset 0
		.amdhsa_system_sgpr_workgroup_id_x 1
		.amdhsa_system_sgpr_workgroup_id_y 0
		.amdhsa_system_sgpr_workgroup_id_z 0
		.amdhsa_system_sgpr_workgroup_info 0
		.amdhsa_system_vgpr_workitem_id 0
		.amdhsa_next_free_vgpr 29
		.amdhsa_next_free_sgpr 61
		.amdhsa_reserve_vcc 1
		.amdhsa_reserve_flat_scratch 0
		.amdhsa_float_round_mode_32 0
		.amdhsa_float_round_mode_16_64 0
		.amdhsa_float_denorm_mode_32 3
		.amdhsa_float_denorm_mode_16_64 3
		.amdhsa_dx10_clamp 1
		.amdhsa_ieee_mode 1
		.amdhsa_fp16_overflow 0
		.amdhsa_exception_fp_ieee_invalid_op 0
		.amdhsa_exception_fp_denorm_src 0
		.amdhsa_exception_fp_ieee_div_zero 0
		.amdhsa_exception_fp_ieee_overflow 0
		.amdhsa_exception_fp_ieee_underflow 0
		.amdhsa_exception_fp_ieee_inexact 0
		.amdhsa_exception_int_div_zero 0
	.end_amdhsa_kernel
	.section	.text._Z11rank_kernelIiLj4ELb0EL18RadixRankAlgorithm1ELj128ELj1ELj10EEvPKT_Pi,"axG",@progbits,_Z11rank_kernelIiLj4ELb0EL18RadixRankAlgorithm1ELj128ELj1ELj10EEvPKT_Pi,comdat
.Lfunc_end1:
	.size	_Z11rank_kernelIiLj4ELb0EL18RadixRankAlgorithm1ELj128ELj1ELj10EEvPKT_Pi, .Lfunc_end1-_Z11rank_kernelIiLj4ELb0EL18RadixRankAlgorithm1ELj128ELj1ELj10EEvPKT_Pi
                                        ; -- End function
	.set _Z11rank_kernelIiLj4ELb0EL18RadixRankAlgorithm1ELj128ELj1ELj10EEvPKT_Pi.num_vgpr, 27
	.set _Z11rank_kernelIiLj4ELb0EL18RadixRankAlgorithm1ELj128ELj1ELj10EEvPKT_Pi.num_agpr, 0
	.set _Z11rank_kernelIiLj4ELb0EL18RadixRankAlgorithm1ELj128ELj1ELj10EEvPKT_Pi.numbered_sgpr, 30
	.set _Z11rank_kernelIiLj4ELb0EL18RadixRankAlgorithm1ELj128ELj1ELj10EEvPKT_Pi.num_named_barrier, 0
	.set _Z11rank_kernelIiLj4ELb0EL18RadixRankAlgorithm1ELj128ELj1ELj10EEvPKT_Pi.private_seg_size, 0
	.set _Z11rank_kernelIiLj4ELb0EL18RadixRankAlgorithm1ELj128ELj1ELj10EEvPKT_Pi.uses_vcc, 1
	.set _Z11rank_kernelIiLj4ELb0EL18RadixRankAlgorithm1ELj128ELj1ELj10EEvPKT_Pi.uses_flat_scratch, 0
	.set _Z11rank_kernelIiLj4ELb0EL18RadixRankAlgorithm1ELj128ELj1ELj10EEvPKT_Pi.has_dyn_sized_stack, 0
	.set _Z11rank_kernelIiLj4ELb0EL18RadixRankAlgorithm1ELj128ELj1ELj10EEvPKT_Pi.has_recursion, 0
	.set _Z11rank_kernelIiLj4ELb0EL18RadixRankAlgorithm1ELj128ELj1ELj10EEvPKT_Pi.has_indirect_call, 0
	.section	.AMDGPU.csdata,"",@progbits
; Kernel info:
; codeLenInByte = 4492
; TotalNumSgprs: 34
; NumVgprs: 27
; ScratchSize: 0
; MemoryBound: 0
; FloatMode: 240
; IeeeMode: 1
; LDSByteSize: 4104 bytes/workgroup (compile time only)
; SGPRBlocks: 8
; VGPRBlocks: 7
; NumSGPRsForWavesPerEU: 65
; NumVGPRsForWavesPerEU: 29
; Occupancy: 8
; WaveLimiterHint : 0
; COMPUTE_PGM_RSRC2:SCRATCH_EN: 0
; COMPUTE_PGM_RSRC2:USER_SGPR: 6
; COMPUTE_PGM_RSRC2:TRAP_HANDLER: 0
; COMPUTE_PGM_RSRC2:TGID_X_EN: 1
; COMPUTE_PGM_RSRC2:TGID_Y_EN: 0
; COMPUTE_PGM_RSRC2:TGID_Z_EN: 0
; COMPUTE_PGM_RSRC2:TIDIG_COMP_CNT: 0
	.section	.text._Z11rank_kernelIiLj4ELb0EL18RadixRankAlgorithm2ELj128ELj1ELj10EEvPKT_Pi,"axG",@progbits,_Z11rank_kernelIiLj4ELb0EL18RadixRankAlgorithm2ELj128ELj1ELj10EEvPKT_Pi,comdat
	.protected	_Z11rank_kernelIiLj4ELb0EL18RadixRankAlgorithm2ELj128ELj1ELj10EEvPKT_Pi ; -- Begin function _Z11rank_kernelIiLj4ELb0EL18RadixRankAlgorithm2ELj128ELj1ELj10EEvPKT_Pi
	.globl	_Z11rank_kernelIiLj4ELb0EL18RadixRankAlgorithm2ELj128ELj1ELj10EEvPKT_Pi
	.p2align	8
	.type	_Z11rank_kernelIiLj4ELb0EL18RadixRankAlgorithm2ELj128ELj1ELj10EEvPKT_Pi,@function
_Z11rank_kernelIiLj4ELb0EL18RadixRankAlgorithm2ELj128ELj1ELj10EEvPKT_Pi: ; @_Z11rank_kernelIiLj4ELb0EL18RadixRankAlgorithm2ELj128ELj1ELj10EEvPKT_Pi
; %bb.0:
	s_load_dwordx4 s[24:27], s[4:5], 0x0
	s_load_dword s20, s[4:5], 0x1c
	s_lshl_b32 s30, s6, 7
	s_mov_b32 s31, 0
	s_lshl_b64 s[28:29], s[30:31], 2
	s_waitcnt lgkmcnt(0)
	s_add_u32 s0, s24, s28
	s_addc_u32 s1, s25, s29
	v_lshlrev_b32_e32 v5, 2, v0
	global_load_dword v4, v5, s[0:1]
	v_mbcnt_lo_u32_b32 v6, -1, 0
	v_mbcnt_hi_u32_b32 v7, -1, v6
	s_lshr_b32 s21, s20, 16
	v_subrev_co_u32_e64 v11, s[6:7], 1, v7
	v_and_b32_e32 v12, 64, v7
	s_and_b32 s20, s20, 0xffff
	v_mad_u32_u24 v1, v2, s21, v1
	v_or_b32_e32 v6, 63, v0
	v_lshrrev_b32_e32 v8, 4, v0
	v_and_b32_e32 v9, 15, v7
	v_cmp_lt_i32_e64 s[18:19], v11, v12
	v_mad_u32_u24 v1, v1, s20, v0
	v_and_b32_e32 v10, 16, v7
	v_cmp_eq_u32_e64 s[4:5], v0, v6
	v_and_b32_e32 v6, 4, v8
	v_and_b32_e32 v8, 1, v7
	v_cmp_eq_u32_e64 s[8:9], 0, v9
	v_cmp_lt_u32_e64 s[10:11], 1, v9
	v_cmp_lt_u32_e64 s[12:13], 3, v9
	;; [unrolled: 1-line block ×3, first 2 shown]
	v_cndmask_b32_e64 v9, v11, v7, s[18:19]
	v_lshrrev_b32_e32 v1, 4, v1
	v_mov_b32_e32 v3, 0
	v_cmp_gt_u32_e32 vcc, 2, v0
	v_cmp_lt_u32_e64 s[0:1], 63, v0
	v_cmp_lt_u32_e64 s[2:3], 31, v7
	v_cmp_eq_u32_e64 s[16:17], 0, v10
	v_cmp_eq_u32_e64 s[18:19], 0, v8
	v_add_u32_e32 v7, -4, v6
	v_lshlrev_b32_e32 v8, 2, v9
	v_and_b32_e32 v9, 0xffffffc, v1
	s_waitcnt vmcnt(0)
	v_xor_b32_e32 v10, 0x80000000, v4
	s_branch .LBB2_2
.LBB2_1:                                ;   in Loop: Header=BB2_2 Depth=1
	s_add_i32 s31, s31, 1
	s_cmp_eq_u32 s31, 10
	s_cbranch_scc1 .LBB2_12
.LBB2_2:                                ; =>This Loop Header: Depth=1
                                        ;     Child Loop BB2_4 Depth 2
	s_mov_b32 s24, -4
	s_mov_b32 s25, 28
	s_branch .LBB2_4
.LBB2_3:                                ;   in Loop: Header=BB2_4 Depth=2
	s_or_b64 exec, exec, s[20:21]
	s_waitcnt lgkmcnt(0)
	v_add_u32_e32 v1, v2, v1
	ds_bpermute_b32 v1, v8, v1
	s_add_i32 s25, s25, -4
	s_add_i32 s24, s24, 4
	s_cmp_lt_u32 s24, 28
	s_waitcnt lgkmcnt(0)
	v_cndmask_b32_e64 v1, v1, v2, s[6:7]
	ds_write_b32 v5, v1 offset:8
	s_waitcnt lgkmcnt(0)
	s_barrier
	s_cbranch_scc0 .LBB2_1
.LBB2_4:                                ;   Parent Loop BB2_2 Depth=1
                                        ; =>  This Inner Loop Header: Depth=2
	v_lshlrev_b32_e32 v1, s25, v10
	v_lshrrev_b32_e32 v1, 28, v1
	v_and_b32_e32 v2, 1, v1
	v_add_co_u32_e64 v4, s[20:21], -1, v2
	v_addc_co_u32_e64 v12, s[20:21], 0, -1, s[20:21]
	v_cmp_ne_u32_e64 s[20:21], 0, v2
	v_xor_b32_e32 v4, s20, v4
	v_xor_b32_e32 v2, s21, v12
	v_and_b32_e32 v12, exec_lo, v4
	v_lshlrev_b32_e32 v4, 30, v1
	v_cmp_gt_i64_e64 s[20:21], 0, v[3:4]
	v_not_b32_e32 v4, v4
	v_ashrrev_i32_e32 v4, 31, v4
	v_xor_b32_e32 v13, s21, v4
	v_xor_b32_e32 v4, s20, v4
	v_and_b32_e32 v12, v12, v4
	v_lshlrev_b32_e32 v4, 29, v1
	v_cmp_gt_i64_e64 s[20:21], 0, v[3:4]
	v_not_b32_e32 v4, v4
	v_and_b32_e32 v2, exec_hi, v2
	v_ashrrev_i32_e32 v4, 31, v4
	v_and_b32_e32 v2, v2, v13
	v_xor_b32_e32 v13, s21, v4
	v_xor_b32_e32 v4, s20, v4
	v_and_b32_e32 v12, v12, v4
	v_lshlrev_b32_e32 v4, 28, v1
	v_mul_u32_u24_e32 v11, 12, v1
	v_cmp_gt_i64_e64 s[20:21], 0, v[3:4]
	v_not_b32_e32 v1, v4
	v_ashrrev_i32_e32 v1, 31, v1
	v_xor_b32_e32 v4, s21, v1
	v_xor_b32_e32 v1, s20, v1
	v_and_b32_e32 v2, v2, v13
	v_and_b32_e32 v1, v12, v1
	;; [unrolled: 1-line block ×3, first 2 shown]
	v_mbcnt_lo_u32_b32 v4, v1, 0
	v_mbcnt_hi_u32_b32 v4, v2, v4
	v_cmp_ne_u64_e64 s[20:21], 0, v[1:2]
	v_cmp_eq_u32_e64 s[22:23], 0, v4
	s_and_b64 s[22:23], s[20:21], s[22:23]
	ds_write_b32 v5, v3 offset:8
	s_waitcnt lgkmcnt(0)
	s_barrier
	; wave barrier
	s_and_saveexec_b64 s[20:21], s[22:23]
; %bb.5:                                ;   in Loop: Header=BB2_4 Depth=2
	v_bcnt_u32_b32 v1, v1, 0
	v_bcnt_u32_b32 v1, v2, v1
	v_add_u32_e32 v2, v9, v11
	ds_write_b32 v2, v1 offset:8
; %bb.6:                                ;   in Loop: Header=BB2_4 Depth=2
	s_or_b64 exec, exec, s[20:21]
	; wave barrier
	s_waitcnt lgkmcnt(0)
	s_barrier
	ds_read_b32 v1, v5 offset:8
	s_waitcnt lgkmcnt(0)
	s_nop 0
	v_mov_b32_dpp v2, v1 row_shr:1 row_mask:0xf bank_mask:0xf
	v_cndmask_b32_e64 v2, v2, 0, s[8:9]
	v_add_u32_e32 v1, v2, v1
	s_nop 1
	v_mov_b32_dpp v2, v1 row_shr:2 row_mask:0xf bank_mask:0xf
	v_cndmask_b32_e64 v2, 0, v2, s[10:11]
	v_add_u32_e32 v1, v1, v2
	;; [unrolled: 4-line block ×4, first 2 shown]
	s_nop 1
	v_mov_b32_dpp v2, v1 row_bcast:15 row_mask:0xf bank_mask:0xf
	v_cndmask_b32_e64 v2, v2, 0, s[16:17]
	v_add_u32_e32 v1, v1, v2
	s_nop 1
	v_mov_b32_dpp v2, v1 row_bcast:31 row_mask:0xf bank_mask:0xf
	v_cndmask_b32_e64 v2, 0, v2, s[2:3]
	v_add_u32_e32 v1, v1, v2
	s_and_saveexec_b64 s[20:21], s[4:5]
; %bb.7:                                ;   in Loop: Header=BB2_4 Depth=2
	ds_write_b32 v6, v1
; %bb.8:                                ;   in Loop: Header=BB2_4 Depth=2
	s_or_b64 exec, exec, s[20:21]
	s_waitcnt lgkmcnt(0)
	s_barrier
	s_and_saveexec_b64 s[20:21], vcc
	s_cbranch_execz .LBB2_10
; %bb.9:                                ;   in Loop: Header=BB2_4 Depth=2
	ds_read_b32 v2, v5
	s_waitcnt lgkmcnt(0)
	s_nop 0
	v_mov_b32_dpp v12, v2 row_shr:1 row_mask:0xf bank_mask:0xf
	v_cndmask_b32_e64 v12, v12, 0, s[18:19]
	v_add_u32_e32 v2, v12, v2
	ds_write_b32 v5, v2
.LBB2_10:                               ;   in Loop: Header=BB2_4 Depth=2
	s_or_b64 exec, exec, s[20:21]
	v_mov_b32_e32 v2, 0
	s_waitcnt lgkmcnt(0)
	s_barrier
	s_and_saveexec_b64 s[20:21], s[0:1]
	s_cbranch_execz .LBB2_3
; %bb.11:                               ;   in Loop: Header=BB2_4 Depth=2
	ds_read_b32 v2, v7
	s_branch .LBB2_3
.LBB2_12:
	v_add_u32_e32 v1, v9, v11
	ds_read_b32 v1, v1 offset:8
	s_add_u32 s0, s26, s28
	s_addc_u32 s1, s27, s29
	v_lshlrev_b32_e32 v0, 2, v0
	s_waitcnt lgkmcnt(0)
	v_add_u32_e32 v1, v1, v4
	global_store_dword v0, v1, s[0:1]
	s_endpgm
	.section	.rodata,"a",@progbits
	.p2align	6, 0x0
	.amdhsa_kernel _Z11rank_kernelIiLj4ELb0EL18RadixRankAlgorithm2ELj128ELj1ELj10EEvPKT_Pi
		.amdhsa_group_segment_fixed_size 520
		.amdhsa_private_segment_fixed_size 0
		.amdhsa_kernarg_size 272
		.amdhsa_user_sgpr_count 6
		.amdhsa_user_sgpr_private_segment_buffer 1
		.amdhsa_user_sgpr_dispatch_ptr 0
		.amdhsa_user_sgpr_queue_ptr 0
		.amdhsa_user_sgpr_kernarg_segment_ptr 1
		.amdhsa_user_sgpr_dispatch_id 0
		.amdhsa_user_sgpr_flat_scratch_init 0
		.amdhsa_user_sgpr_private_segment_size 0
		.amdhsa_uses_dynamic_stack 0
		.amdhsa_system_sgpr_private_segment_wavefront_offset 0
		.amdhsa_system_sgpr_workgroup_id_x 1
		.amdhsa_system_sgpr_workgroup_id_y 0
		.amdhsa_system_sgpr_workgroup_id_z 0
		.amdhsa_system_sgpr_workgroup_info 0
		.amdhsa_system_vgpr_workitem_id 2
		.amdhsa_next_free_vgpr 14
		.amdhsa_next_free_sgpr 32
		.amdhsa_reserve_vcc 1
		.amdhsa_reserve_flat_scratch 0
		.amdhsa_float_round_mode_32 0
		.amdhsa_float_round_mode_16_64 0
		.amdhsa_float_denorm_mode_32 3
		.amdhsa_float_denorm_mode_16_64 3
		.amdhsa_dx10_clamp 1
		.amdhsa_ieee_mode 1
		.amdhsa_fp16_overflow 0
		.amdhsa_exception_fp_ieee_invalid_op 0
		.amdhsa_exception_fp_denorm_src 0
		.amdhsa_exception_fp_ieee_div_zero 0
		.amdhsa_exception_fp_ieee_overflow 0
		.amdhsa_exception_fp_ieee_underflow 0
		.amdhsa_exception_fp_ieee_inexact 0
		.amdhsa_exception_int_div_zero 0
	.end_amdhsa_kernel
	.section	.text._Z11rank_kernelIiLj4ELb0EL18RadixRankAlgorithm2ELj128ELj1ELj10EEvPKT_Pi,"axG",@progbits,_Z11rank_kernelIiLj4ELb0EL18RadixRankAlgorithm2ELj128ELj1ELj10EEvPKT_Pi,comdat
.Lfunc_end2:
	.size	_Z11rank_kernelIiLj4ELb0EL18RadixRankAlgorithm2ELj128ELj1ELj10EEvPKT_Pi, .Lfunc_end2-_Z11rank_kernelIiLj4ELb0EL18RadixRankAlgorithm2ELj128ELj1ELj10EEvPKT_Pi
                                        ; -- End function
	.set _Z11rank_kernelIiLj4ELb0EL18RadixRankAlgorithm2ELj128ELj1ELj10EEvPKT_Pi.num_vgpr, 14
	.set _Z11rank_kernelIiLj4ELb0EL18RadixRankAlgorithm2ELj128ELj1ELj10EEvPKT_Pi.num_agpr, 0
	.set _Z11rank_kernelIiLj4ELb0EL18RadixRankAlgorithm2ELj128ELj1ELj10EEvPKT_Pi.numbered_sgpr, 32
	.set _Z11rank_kernelIiLj4ELb0EL18RadixRankAlgorithm2ELj128ELj1ELj10EEvPKT_Pi.num_named_barrier, 0
	.set _Z11rank_kernelIiLj4ELb0EL18RadixRankAlgorithm2ELj128ELj1ELj10EEvPKT_Pi.private_seg_size, 0
	.set _Z11rank_kernelIiLj4ELb0EL18RadixRankAlgorithm2ELj128ELj1ELj10EEvPKT_Pi.uses_vcc, 1
	.set _Z11rank_kernelIiLj4ELb0EL18RadixRankAlgorithm2ELj128ELj1ELj10EEvPKT_Pi.uses_flat_scratch, 0
	.set _Z11rank_kernelIiLj4ELb0EL18RadixRankAlgorithm2ELj128ELj1ELj10EEvPKT_Pi.has_dyn_sized_stack, 0
	.set _Z11rank_kernelIiLj4ELb0EL18RadixRankAlgorithm2ELj128ELj1ELj10EEvPKT_Pi.has_recursion, 0
	.set _Z11rank_kernelIiLj4ELb0EL18RadixRankAlgorithm2ELj128ELj1ELj10EEvPKT_Pi.has_indirect_call, 0
	.section	.AMDGPU.csdata,"",@progbits
; Kernel info:
; codeLenInByte = 924
; TotalNumSgprs: 36
; NumVgprs: 14
; ScratchSize: 0
; MemoryBound: 0
; FloatMode: 240
; IeeeMode: 1
; LDSByteSize: 520 bytes/workgroup (compile time only)
; SGPRBlocks: 4
; VGPRBlocks: 3
; NumSGPRsForWavesPerEU: 36
; NumVGPRsForWavesPerEU: 14
; Occupancy: 10
; WaveLimiterHint : 0
; COMPUTE_PGM_RSRC2:SCRATCH_EN: 0
; COMPUTE_PGM_RSRC2:USER_SGPR: 6
; COMPUTE_PGM_RSRC2:TRAP_HANDLER: 0
; COMPUTE_PGM_RSRC2:TGID_X_EN: 1
; COMPUTE_PGM_RSRC2:TGID_Y_EN: 0
; COMPUTE_PGM_RSRC2:TGID_Z_EN: 0
; COMPUTE_PGM_RSRC2:TIDIG_COMP_CNT: 2
	.section	.text._Z11rank_kernelIiLj4ELb0EL18RadixRankAlgorithm0ELj128ELj4ELj10EEvPKT_Pi,"axG",@progbits,_Z11rank_kernelIiLj4ELb0EL18RadixRankAlgorithm0ELj128ELj4ELj10EEvPKT_Pi,comdat
	.protected	_Z11rank_kernelIiLj4ELb0EL18RadixRankAlgorithm0ELj128ELj4ELj10EEvPKT_Pi ; -- Begin function _Z11rank_kernelIiLj4ELb0EL18RadixRankAlgorithm0ELj128ELj4ELj10EEvPKT_Pi
	.globl	_Z11rank_kernelIiLj4ELb0EL18RadixRankAlgorithm0ELj128ELj4ELj10EEvPKT_Pi
	.p2align	8
	.type	_Z11rank_kernelIiLj4ELb0EL18RadixRankAlgorithm0ELj128ELj4ELj10EEvPKT_Pi,@function
_Z11rank_kernelIiLj4ELb0EL18RadixRankAlgorithm0ELj128ELj4ELj10EEvPKT_Pi: ; @_Z11rank_kernelIiLj4ELb0EL18RadixRankAlgorithm0ELj128ELj4ELj10EEvPKT_Pi
; %bb.0:
	s_load_dwordx4 s[20:23], s[4:5], 0x0
	s_lshl_b32 s26, s6, 9
	s_mov_b32 s27, 0
	s_lshl_b64 s[24:25], s[26:27], 2
	v_lshlrev_b32_e32 v1, 4, v0
	s_waitcnt lgkmcnt(0)
	s_add_u32 s0, s20, s24
	s_addc_u32 s1, s21, s25
	global_load_dwordx4 v[7:10], v1, s[0:1]
	v_mbcnt_lo_u32_b32 v4, -1, 0
	v_mbcnt_hi_u32_b32 v6, -1, v4
	v_subrev_co_u32_e64 v15, s[6:7], 1, v6
	v_and_b32_e32 v16, 64, v6
	v_or_b32_e32 v5, 63, v0
	v_lshrrev_b32_e32 v11, 4, v0
	v_cmp_lt_i32_e64 s[18:19], v15, v16
	v_lshlrev_b32_e32 v3, 5, v0
	v_mul_i32_i24_e32 v12, 0xffffffe4, v0
	v_and_b32_e32 v13, 15, v6
	v_and_b32_e32 v14, 16, v6
	v_cmp_lt_u32_e64 s[2:3], 31, v6
	v_cmp_eq_u32_e64 s[4:5], v0, v5
	v_and_b32_e32 v5, 4, v11
	v_and_b32_e32 v11, 1, v6
	v_cndmask_b32_e64 v6, v15, v6, s[18:19]
	v_mov_b32_e32 v1, 0
	s_movk_i32 s26, 0x37f
	s_movk_i32 s30, 0x380
	v_lshlrev_b32_e32 v2, 2, v0
	v_cmp_gt_u32_e32 vcc, 2, v0
	v_cmp_lt_u32_e64 s[0:1], 63, v0
	v_or_b32_e32 v4, 0xffffff80, v0
	v_cmp_eq_u32_e64 s[8:9], 0, v13
	v_cmp_lt_u32_e64 s[10:11], 1, v13
	v_cmp_lt_u32_e64 s[12:13], 3, v13
	;; [unrolled: 1-line block ×3, first 2 shown]
	v_cmp_eq_u32_e64 s[16:17], 0, v14
	v_cmp_eq_u32_e64 s[18:19], 0, v11
	v_lshlrev_b32_e32 v6, 2, v6
	v_add_u32_e32 v11, v3, v12
	s_waitcnt vmcnt(0)
	v_xor_b32_e32 v7, 0x80000000, v7
	v_xor_b32_e32 v8, 0x80000000, v8
	;; [unrolled: 1-line block ×4, first 2 shown]
	s_branch .LBB3_2
.LBB3_1:                                ;   in Loop: Header=BB3_2 Depth=1
	s_add_i32 s27, s27, 1
	s_cmp_eq_u32 s27, 10
	s_cbranch_scc1 .LBB3_12
.LBB3_2:                                ; =>This Loop Header: Depth=1
                                        ;     Child Loop BB3_4 Depth 2
                                        ;       Child Loop BB3_5 Depth 3
	s_mov_b32 s31, 0
	s_branch .LBB3_4
.LBB3_3:                                ;   in Loop: Header=BB3_4 Depth=2
	s_or_b64 exec, exec, s[20:21]
	s_waitcnt lgkmcnt(0)
	v_add_u32_e32 v20, v21, v20
	ds_bpermute_b32 v20, v6, v20
	ds_read_b32 v26, v1 offset:4100
	ds_read2_b64 v[22:25], v3 offset1:1
	ds_read_b32 v28, v3 offset:24
	s_add_i32 s20, s31, 4
	s_cmp_lt_u32 s31, 28
	s_waitcnt lgkmcnt(3)
	v_cndmask_b32_e64 v20, v20, v21, s[6:7]
	s_waitcnt lgkmcnt(2)
	v_lshl_add_u32 v20, v26, 16, v20
	ds_read_b64 v[26:27], v3 offset:16
	s_waitcnt lgkmcnt(2)
	v_add_u32_e32 v21, v20, v22
	v_add_u32_e32 v22, v23, v21
	;; [unrolled: 1-line block ×3, first 2 shown]
	ds_write2_b64 v3, v[20:21], v[22:23] offset1:1
	v_add_u32_e32 v20, v25, v23
	s_waitcnt lgkmcnt(1)
	v_add_u32_e32 v21, v26, v20
	v_add_u32_e32 v22, v27, v21
	;; [unrolled: 1-line block ×3, first 2 shown]
	s_mov_b32 s31, s20
	ds_write2_b64 v3, v[20:21], v[22:23] offset0:2 offset1:3
	s_waitcnt lgkmcnt(0)
	s_barrier
	s_cbranch_scc0 .LBB3_1
.LBB3_4:                                ;   Parent Loop BB3_2 Depth=1
                                        ; =>  This Loop Header: Depth=2
                                        ;       Child Loop BB3_5 Depth 3
	s_mov_b64 s[28:29], 0
	v_mov_b32_e32 v12, v4
	v_mov_b32_e32 v13, v2
.LBB3_5:                                ;   Parent Loop BB3_2 Depth=1
                                        ;     Parent Loop BB3_4 Depth=2
                                        ; =>    This Inner Loop Header: Depth=3
	v_add_u32_e32 v12, 0x80, v12
	v_cmp_lt_u32_e64 s[20:21], s26, v12
	ds_write_b32 v13, v1
	s_or_b64 s[28:29], s[20:21], s[28:29]
	v_add_u32_e32 v13, 0x200, v13
	s_andn2_b64 exec, exec, s[28:29]
	s_cbranch_execnz .LBB3_5
; %bb.6:                                ;   in Loop: Header=BB3_4 Depth=2
	s_or_b64 exec, exec, s[28:29]
	s_sub_i32 s20, 28, s31
	v_lshlrev_b32_e32 v12, s20, v7
	v_lshrrev_b32_e32 v13, 21, v12
	v_and_or_b32 v13, v13, s30, v0
	v_alignbit_b32 v12, v13, v12, 31
	v_lshlrev_b32_e32 v13, 1, v12
	ds_read_u16 v12, v13
	v_lshlrev_b32_e32 v14, s20, v8
	v_lshrrev_b32_e32 v15, 21, v14
	v_and_or_b32 v15, v15, s30, v0
	v_alignbit_b32 v14, v15, v14, 31
	s_waitcnt lgkmcnt(0)
	v_add_u16_e32 v15, 1, v12
	ds_write_b16 v13, v15
	v_lshlrev_b32_e32 v15, 1, v14
	ds_read_u16 v14, v15
	v_lshlrev_b32_e32 v16, s20, v9
	v_lshrrev_b32_e32 v17, 21, v16
	v_and_or_b32 v17, v17, s30, v0
	v_alignbit_b32 v16, v17, v16, 31
	s_waitcnt lgkmcnt(0)
	v_add_u16_e32 v18, 1, v14
	ds_write_b16 v15, v18
	;; [unrolled: 9-line block ×3, first 2 shown]
	v_lshlrev_b32_e32 v19, 1, v18
	ds_read_u16 v18, v19
	s_waitcnt lgkmcnt(0)
	v_add_u16_e32 v20, 1, v18
	ds_write_b16 v19, v20
	s_waitcnt lgkmcnt(0)
	s_barrier
	ds_read2_b64 v[20:23], v3 offset1:1
	ds_read2_b64 v[24:27], v3 offset0:2 offset1:3
	s_waitcnt lgkmcnt(1)
	v_add_u32_e32 v20, v21, v20
	v_add3_u32 v20, v20, v22, v23
	s_waitcnt lgkmcnt(0)
	v_add3_u32 v20, v20, v24, v25
	v_add3_u32 v20, v20, v26, v27
	s_nop 1
	v_mov_b32_dpp v21, v20 row_shr:1 row_mask:0xf bank_mask:0xf
	v_cndmask_b32_e64 v21, v21, 0, s[8:9]
	v_add_u32_e32 v20, v21, v20
	s_nop 1
	v_mov_b32_dpp v21, v20 row_shr:2 row_mask:0xf bank_mask:0xf
	v_cndmask_b32_e64 v21, 0, v21, s[10:11]
	v_add_u32_e32 v20, v20, v21
	;; [unrolled: 4-line block ×4, first 2 shown]
	s_nop 1
	v_mov_b32_dpp v21, v20 row_bcast:15 row_mask:0xf bank_mask:0xf
	v_cndmask_b32_e64 v21, v21, 0, s[16:17]
	v_add_u32_e32 v20, v20, v21
	s_nop 1
	v_mov_b32_dpp v21, v20 row_bcast:31 row_mask:0xf bank_mask:0xf
	v_cndmask_b32_e64 v21, 0, v21, s[2:3]
	v_add_u32_e32 v20, v20, v21
	s_and_saveexec_b64 s[20:21], s[4:5]
; %bb.7:                                ;   in Loop: Header=BB3_4 Depth=2
	ds_write_b32 v5, v20 offset:4096
; %bb.8:                                ;   in Loop: Header=BB3_4 Depth=2
	s_or_b64 exec, exec, s[20:21]
	s_waitcnt lgkmcnt(0)
	s_barrier
	s_and_saveexec_b64 s[20:21], vcc
	s_cbranch_execz .LBB3_10
; %bb.9:                                ;   in Loop: Header=BB3_4 Depth=2
	ds_read_b32 v21, v11 offset:4096
	s_waitcnt lgkmcnt(0)
	s_nop 0
	v_mov_b32_dpp v22, v21 row_shr:1 row_mask:0xf bank_mask:0xf
	v_cndmask_b32_e64 v22, v22, 0, s[18:19]
	v_add_u32_e32 v21, v22, v21
	ds_write_b32 v11, v21 offset:4096
.LBB3_10:                               ;   in Loop: Header=BB3_4 Depth=2
	s_or_b64 exec, exec, s[20:21]
	v_mov_b32_e32 v21, 0
	s_waitcnt lgkmcnt(0)
	s_barrier
	s_and_saveexec_b64 s[20:21], s[0:1]
	s_cbranch_execz .LBB3_3
; %bb.11:                               ;   in Loop: Header=BB3_4 Depth=2
	ds_read_b32 v21, v5 offset:4092
	s_branch .LBB3_3
.LBB3_12:
	ds_read_u16 v0, v13
	ds_read_u16 v1, v15
	;; [unrolled: 1-line block ×4, first 2 shown]
	s_add_u32 s0, s22, s24
	s_waitcnt lgkmcnt(3)
	v_add_u32_sdwa v3, v0, v12 dst_sel:DWORD dst_unused:UNUSED_PAD src0_sel:DWORD src1_sel:WORD_0
	s_waitcnt lgkmcnt(2)
	v_add_u32_sdwa v4, v1, v14 dst_sel:DWORD dst_unused:UNUSED_PAD src0_sel:DWORD src1_sel:WORD_0
	;; [unrolled: 2-line block ×4, first 2 shown]
	s_addc_u32 s1, s23, s25
	v_lshlrev_b32_e32 v0, 2, v2
	global_store_dwordx4 v0, v[3:6], s[0:1]
	s_endpgm
	.section	.rodata,"a",@progbits
	.p2align	6, 0x0
	.amdhsa_kernel _Z11rank_kernelIiLj4ELb0EL18RadixRankAlgorithm0ELj128ELj4ELj10EEvPKT_Pi
		.amdhsa_group_segment_fixed_size 4104
		.amdhsa_private_segment_fixed_size 0
		.amdhsa_kernarg_size 16
		.amdhsa_user_sgpr_count 6
		.amdhsa_user_sgpr_private_segment_buffer 1
		.amdhsa_user_sgpr_dispatch_ptr 0
		.amdhsa_user_sgpr_queue_ptr 0
		.amdhsa_user_sgpr_kernarg_segment_ptr 1
		.amdhsa_user_sgpr_dispatch_id 0
		.amdhsa_user_sgpr_flat_scratch_init 0
		.amdhsa_user_sgpr_private_segment_size 0
		.amdhsa_uses_dynamic_stack 0
		.amdhsa_system_sgpr_private_segment_wavefront_offset 0
		.amdhsa_system_sgpr_workgroup_id_x 1
		.amdhsa_system_sgpr_workgroup_id_y 0
		.amdhsa_system_sgpr_workgroup_id_z 0
		.amdhsa_system_sgpr_workgroup_info 0
		.amdhsa_system_vgpr_workitem_id 0
		.amdhsa_next_free_vgpr 29
		.amdhsa_next_free_sgpr 61
		.amdhsa_reserve_vcc 1
		.amdhsa_reserve_flat_scratch 0
		.amdhsa_float_round_mode_32 0
		.amdhsa_float_round_mode_16_64 0
		.amdhsa_float_denorm_mode_32 3
		.amdhsa_float_denorm_mode_16_64 3
		.amdhsa_dx10_clamp 1
		.amdhsa_ieee_mode 1
		.amdhsa_fp16_overflow 0
		.amdhsa_exception_fp_ieee_invalid_op 0
		.amdhsa_exception_fp_denorm_src 0
		.amdhsa_exception_fp_ieee_div_zero 0
		.amdhsa_exception_fp_ieee_overflow 0
		.amdhsa_exception_fp_ieee_underflow 0
		.amdhsa_exception_fp_ieee_inexact 0
		.amdhsa_exception_int_div_zero 0
	.end_amdhsa_kernel
	.section	.text._Z11rank_kernelIiLj4ELb0EL18RadixRankAlgorithm0ELj128ELj4ELj10EEvPKT_Pi,"axG",@progbits,_Z11rank_kernelIiLj4ELb0EL18RadixRankAlgorithm0ELj128ELj4ELj10EEvPKT_Pi,comdat
.Lfunc_end3:
	.size	_Z11rank_kernelIiLj4ELb0EL18RadixRankAlgorithm0ELj128ELj4ELj10EEvPKT_Pi, .Lfunc_end3-_Z11rank_kernelIiLj4ELb0EL18RadixRankAlgorithm0ELj128ELj4ELj10EEvPKT_Pi
                                        ; -- End function
	.set _Z11rank_kernelIiLj4ELb0EL18RadixRankAlgorithm0ELj128ELj4ELj10EEvPKT_Pi.num_vgpr, 29
	.set _Z11rank_kernelIiLj4ELb0EL18RadixRankAlgorithm0ELj128ELj4ELj10EEvPKT_Pi.num_agpr, 0
	.set _Z11rank_kernelIiLj4ELb0EL18RadixRankAlgorithm0ELj128ELj4ELj10EEvPKT_Pi.numbered_sgpr, 32
	.set _Z11rank_kernelIiLj4ELb0EL18RadixRankAlgorithm0ELj128ELj4ELj10EEvPKT_Pi.num_named_barrier, 0
	.set _Z11rank_kernelIiLj4ELb0EL18RadixRankAlgorithm0ELj128ELj4ELj10EEvPKT_Pi.private_seg_size, 0
	.set _Z11rank_kernelIiLj4ELb0EL18RadixRankAlgorithm0ELj128ELj4ELj10EEvPKT_Pi.uses_vcc, 1
	.set _Z11rank_kernelIiLj4ELb0EL18RadixRankAlgorithm0ELj128ELj4ELj10EEvPKT_Pi.uses_flat_scratch, 0
	.set _Z11rank_kernelIiLj4ELb0EL18RadixRankAlgorithm0ELj128ELj4ELj10EEvPKT_Pi.has_dyn_sized_stack, 0
	.set _Z11rank_kernelIiLj4ELb0EL18RadixRankAlgorithm0ELj128ELj4ELj10EEvPKT_Pi.has_recursion, 0
	.set _Z11rank_kernelIiLj4ELb0EL18RadixRankAlgorithm0ELj128ELj4ELj10EEvPKT_Pi.has_indirect_call, 0
	.section	.AMDGPU.csdata,"",@progbits
; Kernel info:
; codeLenInByte = 1136
; TotalNumSgprs: 36
; NumVgprs: 29
; ScratchSize: 0
; MemoryBound: 0
; FloatMode: 240
; IeeeMode: 1
; LDSByteSize: 4104 bytes/workgroup (compile time only)
; SGPRBlocks: 8
; VGPRBlocks: 7
; NumSGPRsForWavesPerEU: 65
; NumVGPRsForWavesPerEU: 29
; Occupancy: 8
; WaveLimiterHint : 0
; COMPUTE_PGM_RSRC2:SCRATCH_EN: 0
; COMPUTE_PGM_RSRC2:USER_SGPR: 6
; COMPUTE_PGM_RSRC2:TRAP_HANDLER: 0
; COMPUTE_PGM_RSRC2:TGID_X_EN: 1
; COMPUTE_PGM_RSRC2:TGID_Y_EN: 0
; COMPUTE_PGM_RSRC2:TGID_Z_EN: 0
; COMPUTE_PGM_RSRC2:TIDIG_COMP_CNT: 0
	.section	.text._Z11rank_kernelIiLj4ELb0EL18RadixRankAlgorithm1ELj128ELj4ELj10EEvPKT_Pi,"axG",@progbits,_Z11rank_kernelIiLj4ELb0EL18RadixRankAlgorithm1ELj128ELj4ELj10EEvPKT_Pi,comdat
	.protected	_Z11rank_kernelIiLj4ELb0EL18RadixRankAlgorithm1ELj128ELj4ELj10EEvPKT_Pi ; -- Begin function _Z11rank_kernelIiLj4ELb0EL18RadixRankAlgorithm1ELj128ELj4ELj10EEvPKT_Pi
	.globl	_Z11rank_kernelIiLj4ELb0EL18RadixRankAlgorithm1ELj128ELj4ELj10EEvPKT_Pi
	.p2align	8
	.type	_Z11rank_kernelIiLj4ELb0EL18RadixRankAlgorithm1ELj128ELj4ELj10EEvPKT_Pi,@function
_Z11rank_kernelIiLj4ELb0EL18RadixRankAlgorithm1ELj128ELj4ELj10EEvPKT_Pi: ; @_Z11rank_kernelIiLj4ELb0EL18RadixRankAlgorithm1ELj128ELj4ELj10EEvPKT_Pi
; %bb.0:
	s_load_dwordx4 s[20:23], s[4:5], 0x0
	s_lshl_b32 s26, s6, 9
	s_mov_b32 s27, 0
	s_lshl_b64 s[24:25], s[26:27], 2
	v_lshlrev_b32_e32 v1, 4, v0
	s_waitcnt lgkmcnt(0)
	s_add_u32 s0, s20, s24
	s_addc_u32 s1, s21, s25
	global_load_dwordx4 v[1:4], v1, s[0:1]
	v_mbcnt_lo_u32_b32 v5, -1, 0
	v_mbcnt_hi_u32_b32 v5, -1, v5
	v_or_b32_e32 v6, 63, v0
	v_cmp_eq_u32_e64 s[4:5], v0, v6
	v_subrev_co_u32_e64 v6, s[6:7], 1, v5
	v_and_b32_e32 v16, 64, v5
	v_lshrrev_b32_e32 v7, 4, v0
	v_cmp_lt_i32_e64 s[18:19], v6, v16
	v_lshlrev_b32_e32 v11, 5, v0
	v_mul_i32_i24_e32 v8, 0xffffffe4, v0
	v_and_b32_e32 v14, 15, v5
	v_and_b32_e32 v15, 16, v5
	v_cmp_lt_u32_e64 s[2:3], 31, v5
	v_and_b32_e32 v13, 4, v7
	v_and_b32_e32 v7, 1, v5
	v_cndmask_b32_e64 v5, v6, v5, s[18:19]
	v_mov_b32_e32 v9, 0
	s_movk_i32 s26, 0x37f
	s_movk_i32 s30, 0x380
	v_lshlrev_b32_e32 v10, 2, v0
	v_cmp_gt_u32_e32 vcc, 2, v0
	v_cmp_lt_u32_e64 s[0:1], 63, v0
	v_or_b32_e32 v12, 0xffffff80, v0
	v_cmp_eq_u32_e64 s[8:9], 0, v14
	v_cmp_lt_u32_e64 s[10:11], 1, v14
	v_cmp_lt_u32_e64 s[12:13], 3, v14
	;; [unrolled: 1-line block ×3, first 2 shown]
	v_cmp_eq_u32_e64 s[16:17], 0, v15
	v_cmp_eq_u32_e64 s[18:19], 0, v7
	v_lshlrev_b32_e32 v14, 2, v5
	v_add_u32_e32 v19, v11, v8
	s_waitcnt vmcnt(0)
	v_xor_b32_e32 v15, 0x80000000, v1
	v_xor_b32_e32 v16, 0x80000000, v2
	;; [unrolled: 1-line block ×4, first 2 shown]
	s_branch .LBB4_2
.LBB4_1:                                ;   in Loop: Header=BB4_2 Depth=1
	s_add_i32 s27, s27, 1
	s_cmp_eq_u32 s27, 10
	s_cbranch_scc1 .LBB4_12
.LBB4_2:                                ; =>This Loop Header: Depth=1
                                        ;     Child Loop BB4_4 Depth 2
                                        ;       Child Loop BB4_5 Depth 3
	s_mov_b32 s31, 0
	s_branch .LBB4_4
.LBB4_3:                                ;   in Loop: Header=BB4_4 Depth=2
	s_or_b64 exec, exec, s[20:21]
	s_waitcnt lgkmcnt(0)
	v_add_u32_e32 v4, v28, v4
	ds_bpermute_b32 v4, v14, v4
	ds_read_b32 v29, v9 offset:4100
	s_add_i32 s20, s31, 4
	s_cmp_lt_u32 s31, 28
	s_mov_b32 s31, s20
	s_waitcnt lgkmcnt(1)
	v_cndmask_b32_e64 v4, v4, v28, s[6:7]
	s_waitcnt lgkmcnt(0)
	v_lshl_add_u32 v4, v29, 16, v4
	v_add_u32_e32 v5, v4, v5
	v_add_u32_e32 v6, v5, v6
	;; [unrolled: 1-line block ×7, first 2 shown]
	ds_write2_b64 v11, v[4:5], v[6:7] offset1:1
	ds_write2_b64 v11, v[28:29], v[1:2] offset0:2 offset1:3
	s_waitcnt lgkmcnt(0)
	s_barrier
	s_cbranch_scc0 .LBB4_1
.LBB4_4:                                ;   Parent Loop BB4_2 Depth=1
                                        ; =>  This Loop Header: Depth=2
                                        ;       Child Loop BB4_5 Depth 3
	s_mov_b64 s[28:29], 0
	v_mov_b32_e32 v1, v12
	v_mov_b32_e32 v2, v10
.LBB4_5:                                ;   Parent Loop BB4_2 Depth=1
                                        ;     Parent Loop BB4_4 Depth=2
                                        ; =>    This Inner Loop Header: Depth=3
	v_add_u32_e32 v1, 0x80, v1
	v_cmp_lt_u32_e64 s[20:21], s26, v1
	ds_write_b32 v2, v9
	s_or_b64 s[28:29], s[20:21], s[28:29]
	v_add_u32_e32 v2, 0x200, v2
	s_andn2_b64 exec, exec, s[28:29]
	s_cbranch_execnz .LBB4_5
; %bb.6:                                ;   in Loop: Header=BB4_4 Depth=2
	s_or_b64 exec, exec, s[28:29]
	s_sub_i32 s20, 28, s31
	v_lshlrev_b32_e32 v1, s20, v15
	v_lshrrev_b32_e32 v2, 21, v1
	v_and_or_b32 v2, v2, s30, v0
	v_alignbit_b32 v1, v2, v1, 31
	v_lshlrev_b32_e32 v21, 1, v1
	ds_read_u16 v20, v21
	v_lshlrev_b32_e32 v1, s20, v16
	v_lshrrev_b32_e32 v2, 21, v1
	v_and_or_b32 v2, v2, s30, v0
	v_alignbit_b32 v1, v2, v1, 31
	s_waitcnt lgkmcnt(0)
	v_add_u16_e32 v2, 1, v20
	ds_write_b16 v21, v2
	v_lshlrev_b32_e32 v23, 1, v1
	ds_read_u16 v22, v23
	v_lshlrev_b32_e32 v1, s20, v17
	v_lshrrev_b32_e32 v2, 21, v1
	v_and_or_b32 v2, v2, s30, v0
	v_alignbit_b32 v1, v2, v1, 31
	s_waitcnt lgkmcnt(0)
	v_add_u16_e32 v3, 1, v22
	ds_write_b16 v23, v3
	v_lshlrev_b32_e32 v25, 1, v1
	ds_read_u16 v24, v25
	v_lshlrev_b32_e32 v1, s20, v18
	v_lshrrev_b32_e32 v2, 21, v1
	v_and_or_b32 v2, v2, s30, v0
	v_alignbit_b32 v1, v2, v1, 31
	s_waitcnt lgkmcnt(0)
	v_add_u16_e32 v3, 1, v24
	ds_write_b16 v25, v3
	v_lshlrev_b32_e32 v27, 1, v1
	ds_read_u16 v26, v27
	s_waitcnt lgkmcnt(0)
	v_add_u16_e32 v1, 1, v26
	ds_write_b16 v27, v1
	s_waitcnt lgkmcnt(0)
	s_barrier
	ds_read2_b64 v[5:8], v11 offset1:1
	ds_read2_b64 v[1:4], v11 offset0:2 offset1:3
	s_waitcnt lgkmcnt(1)
	v_add_u32_e32 v28, v6, v5
	v_add3_u32 v28, v28, v7, v8
	s_waitcnt lgkmcnt(0)
	v_add3_u32 v28, v28, v1, v2
	v_add3_u32 v4, v28, v3, v4
	s_nop 1
	v_mov_b32_dpp v28, v4 row_shr:1 row_mask:0xf bank_mask:0xf
	v_cndmask_b32_e64 v28, v28, 0, s[8:9]
	v_add_u32_e32 v4, v28, v4
	s_nop 1
	v_mov_b32_dpp v28, v4 row_shr:2 row_mask:0xf bank_mask:0xf
	v_cndmask_b32_e64 v28, 0, v28, s[10:11]
	v_add_u32_e32 v4, v4, v28
	;; [unrolled: 4-line block ×4, first 2 shown]
	s_nop 1
	v_mov_b32_dpp v28, v4 row_bcast:15 row_mask:0xf bank_mask:0xf
	v_cndmask_b32_e64 v28, v28, 0, s[16:17]
	v_add_u32_e32 v4, v4, v28
	s_nop 1
	v_mov_b32_dpp v28, v4 row_bcast:31 row_mask:0xf bank_mask:0xf
	v_cndmask_b32_e64 v28, 0, v28, s[2:3]
	v_add_u32_e32 v4, v4, v28
	s_and_saveexec_b64 s[20:21], s[4:5]
; %bb.7:                                ;   in Loop: Header=BB4_4 Depth=2
	ds_write_b32 v13, v4 offset:4096
; %bb.8:                                ;   in Loop: Header=BB4_4 Depth=2
	s_or_b64 exec, exec, s[20:21]
	s_waitcnt lgkmcnt(0)
	s_barrier
	s_and_saveexec_b64 s[20:21], vcc
	s_cbranch_execz .LBB4_10
; %bb.9:                                ;   in Loop: Header=BB4_4 Depth=2
	ds_read_b32 v28, v19 offset:4096
	s_waitcnt lgkmcnt(0)
	s_nop 0
	v_mov_b32_dpp v29, v28 row_shr:1 row_mask:0xf bank_mask:0xf
	v_cndmask_b32_e64 v29, v29, 0, s[18:19]
	v_add_u32_e32 v28, v29, v28
	ds_write_b32 v19, v28 offset:4096
.LBB4_10:                               ;   in Loop: Header=BB4_4 Depth=2
	s_or_b64 exec, exec, s[20:21]
	v_mov_b32_e32 v28, 0
	s_waitcnt lgkmcnt(0)
	s_barrier
	s_and_saveexec_b64 s[20:21], s[0:1]
	s_cbranch_execz .LBB4_3
; %bb.11:                               ;   in Loop: Header=BB4_4 Depth=2
	ds_read_b32 v28, v13 offset:4092
	s_branch .LBB4_3
.LBB4_12:
	ds_read_u16 v0, v21
	ds_read_u16 v1, v23
	;; [unrolled: 1-line block ×4, first 2 shown]
	s_add_u32 s0, s22, s24
	s_waitcnt lgkmcnt(3)
	v_add_u32_sdwa v0, v0, v20 dst_sel:DWORD dst_unused:UNUSED_PAD src0_sel:DWORD src1_sel:WORD_0
	s_waitcnt lgkmcnt(2)
	v_add_u32_sdwa v1, v1, v22 dst_sel:DWORD dst_unused:UNUSED_PAD src0_sel:DWORD src1_sel:WORD_0
	;; [unrolled: 2-line block ×4, first 2 shown]
	s_addc_u32 s1, s23, s25
	v_lshlrev_b32_e32 v4, 2, v10
	global_store_dwordx4 v4, v[0:3], s[0:1]
	s_endpgm
	.section	.rodata,"a",@progbits
	.p2align	6, 0x0
	.amdhsa_kernel _Z11rank_kernelIiLj4ELb0EL18RadixRankAlgorithm1ELj128ELj4ELj10EEvPKT_Pi
		.amdhsa_group_segment_fixed_size 4104
		.amdhsa_private_segment_fixed_size 0
		.amdhsa_kernarg_size 16
		.amdhsa_user_sgpr_count 6
		.amdhsa_user_sgpr_private_segment_buffer 1
		.amdhsa_user_sgpr_dispatch_ptr 0
		.amdhsa_user_sgpr_queue_ptr 0
		.amdhsa_user_sgpr_kernarg_segment_ptr 1
		.amdhsa_user_sgpr_dispatch_id 0
		.amdhsa_user_sgpr_flat_scratch_init 0
		.amdhsa_user_sgpr_private_segment_size 0
		.amdhsa_uses_dynamic_stack 0
		.amdhsa_system_sgpr_private_segment_wavefront_offset 0
		.amdhsa_system_sgpr_workgroup_id_x 1
		.amdhsa_system_sgpr_workgroup_id_y 0
		.amdhsa_system_sgpr_workgroup_id_z 0
		.amdhsa_system_sgpr_workgroup_info 0
		.amdhsa_system_vgpr_workitem_id 0
		.amdhsa_next_free_vgpr 30
		.amdhsa_next_free_sgpr 61
		.amdhsa_reserve_vcc 1
		.amdhsa_reserve_flat_scratch 0
		.amdhsa_float_round_mode_32 0
		.amdhsa_float_round_mode_16_64 0
		.amdhsa_float_denorm_mode_32 3
		.amdhsa_float_denorm_mode_16_64 3
		.amdhsa_dx10_clamp 1
		.amdhsa_ieee_mode 1
		.amdhsa_fp16_overflow 0
		.amdhsa_exception_fp_ieee_invalid_op 0
		.amdhsa_exception_fp_denorm_src 0
		.amdhsa_exception_fp_ieee_div_zero 0
		.amdhsa_exception_fp_ieee_overflow 0
		.amdhsa_exception_fp_ieee_underflow 0
		.amdhsa_exception_fp_ieee_inexact 0
		.amdhsa_exception_int_div_zero 0
	.end_amdhsa_kernel
	.section	.text._Z11rank_kernelIiLj4ELb0EL18RadixRankAlgorithm1ELj128ELj4ELj10EEvPKT_Pi,"axG",@progbits,_Z11rank_kernelIiLj4ELb0EL18RadixRankAlgorithm1ELj128ELj4ELj10EEvPKT_Pi,comdat
.Lfunc_end4:
	.size	_Z11rank_kernelIiLj4ELb0EL18RadixRankAlgorithm1ELj128ELj4ELj10EEvPKT_Pi, .Lfunc_end4-_Z11rank_kernelIiLj4ELb0EL18RadixRankAlgorithm1ELj128ELj4ELj10EEvPKT_Pi
                                        ; -- End function
	.set _Z11rank_kernelIiLj4ELb0EL18RadixRankAlgorithm1ELj128ELj4ELj10EEvPKT_Pi.num_vgpr, 30
	.set _Z11rank_kernelIiLj4ELb0EL18RadixRankAlgorithm1ELj128ELj4ELj10EEvPKT_Pi.num_agpr, 0
	.set _Z11rank_kernelIiLj4ELb0EL18RadixRankAlgorithm1ELj128ELj4ELj10EEvPKT_Pi.numbered_sgpr, 32
	.set _Z11rank_kernelIiLj4ELb0EL18RadixRankAlgorithm1ELj128ELj4ELj10EEvPKT_Pi.num_named_barrier, 0
	.set _Z11rank_kernelIiLj4ELb0EL18RadixRankAlgorithm1ELj128ELj4ELj10EEvPKT_Pi.private_seg_size, 0
	.set _Z11rank_kernelIiLj4ELb0EL18RadixRankAlgorithm1ELj128ELj4ELj10EEvPKT_Pi.uses_vcc, 1
	.set _Z11rank_kernelIiLj4ELb0EL18RadixRankAlgorithm1ELj128ELj4ELj10EEvPKT_Pi.uses_flat_scratch, 0
	.set _Z11rank_kernelIiLj4ELb0EL18RadixRankAlgorithm1ELj128ELj4ELj10EEvPKT_Pi.has_dyn_sized_stack, 0
	.set _Z11rank_kernelIiLj4ELb0EL18RadixRankAlgorithm1ELj128ELj4ELj10EEvPKT_Pi.has_recursion, 0
	.set _Z11rank_kernelIiLj4ELb0EL18RadixRankAlgorithm1ELj128ELj4ELj10EEvPKT_Pi.has_indirect_call, 0
	.section	.AMDGPU.csdata,"",@progbits
; Kernel info:
; codeLenInByte = 1104
; TotalNumSgprs: 36
; NumVgprs: 30
; ScratchSize: 0
; MemoryBound: 0
; FloatMode: 240
; IeeeMode: 1
; LDSByteSize: 4104 bytes/workgroup (compile time only)
; SGPRBlocks: 8
; VGPRBlocks: 7
; NumSGPRsForWavesPerEU: 65
; NumVGPRsForWavesPerEU: 30
; Occupancy: 8
; WaveLimiterHint : 0
; COMPUTE_PGM_RSRC2:SCRATCH_EN: 0
; COMPUTE_PGM_RSRC2:USER_SGPR: 6
; COMPUTE_PGM_RSRC2:TRAP_HANDLER: 0
; COMPUTE_PGM_RSRC2:TGID_X_EN: 1
; COMPUTE_PGM_RSRC2:TGID_Y_EN: 0
; COMPUTE_PGM_RSRC2:TGID_Z_EN: 0
; COMPUTE_PGM_RSRC2:TIDIG_COMP_CNT: 0
	.section	.text._Z11rank_kernelIiLj4ELb0EL18RadixRankAlgorithm2ELj128ELj4ELj10EEvPKT_Pi,"axG",@progbits,_Z11rank_kernelIiLj4ELb0EL18RadixRankAlgorithm2ELj128ELj4ELj10EEvPKT_Pi,comdat
	.protected	_Z11rank_kernelIiLj4ELb0EL18RadixRankAlgorithm2ELj128ELj4ELj10EEvPKT_Pi ; -- Begin function _Z11rank_kernelIiLj4ELb0EL18RadixRankAlgorithm2ELj128ELj4ELj10EEvPKT_Pi
	.globl	_Z11rank_kernelIiLj4ELb0EL18RadixRankAlgorithm2ELj128ELj4ELj10EEvPKT_Pi
	.p2align	8
	.type	_Z11rank_kernelIiLj4ELb0EL18RadixRankAlgorithm2ELj128ELj4ELj10EEvPKT_Pi,@function
_Z11rank_kernelIiLj4ELb0EL18RadixRankAlgorithm2ELj128ELj4ELj10EEvPKT_Pi: ; @_Z11rank_kernelIiLj4ELb0EL18RadixRankAlgorithm2ELj128ELj4ELj10EEvPKT_Pi
; %bb.0:
	s_load_dwordx4 s[24:27], s[4:5], 0x0
	s_load_dword s20, s[4:5], 0x1c
	s_lshl_b32 s30, s6, 9
	s_mov_b32 s31, 0
	s_lshl_b64 s[28:29], s[30:31], 2
	s_waitcnt lgkmcnt(0)
	s_add_u32 s0, s24, s28
	s_addc_u32 s1, s25, s29
	v_lshlrev_b32_e32 v3, 4, v0
	global_load_dwordx4 v[9:12], v3, s[0:1]
	v_mbcnt_lo_u32_b32 v4, -1, 0
	v_mbcnt_hi_u32_b32 v4, -1, v4
	s_lshr_b32 s21, s20, 16
	v_or_b32_e32 v6, 63, v0
	v_subrev_co_u32_e64 v14, s[6:7], 1, v4
	v_and_b32_e32 v15, 64, v4
	s_and_b32 s20, s20, 0xffff
	v_mad_u32_u24 v1, v2, s21, v1
	v_lshlrev_b32_e32 v5, 2, v0
	v_cmp_gt_u32_e32 vcc, 2, v0
	v_cmp_lt_u32_e64 s[0:1], 63, v0
	v_lshrrev_b32_e32 v7, 4, v0
	v_cmp_eq_u32_e64 s[4:5], v0, v6
	v_cmp_lt_i32_e64 s[18:19], v14, v15
	v_mad_u32_u24 v0, v1, s20, v0
	v_and_b32_e32 v8, 15, v4
	v_and_b32_e32 v13, 16, v4
	v_cmp_lt_u32_e64 s[2:3], 31, v4
	v_and_b32_e32 v6, 4, v7
	v_and_b32_e32 v7, 1, v4
	v_cndmask_b32_e64 v4, v14, v4, s[18:19]
	v_lshrrev_b32_e32 v0, 4, v0
	v_mov_b32_e32 v3, 0
	v_cmp_eq_u32_e64 s[8:9], 0, v8
	v_cmp_lt_u32_e64 s[10:11], 1, v8
	v_cmp_lt_u32_e64 s[12:13], 3, v8
	;; [unrolled: 1-line block ×3, first 2 shown]
	v_cmp_eq_u32_e64 s[16:17], 0, v13
	v_cmp_eq_u32_e64 s[18:19], 0, v7
	v_add_u32_e32 v7, -4, v6
	v_lshlrev_b32_e32 v8, 2, v4
	v_and_b32_e32 v2, 0xffffffc, v0
	s_waitcnt vmcnt(0)
	v_xor_b32_e32 v9, 0x80000000, v9
	v_xor_b32_e32 v10, 0x80000000, v10
	;; [unrolled: 1-line block ×4, first 2 shown]
	s_branch .LBB5_2
.LBB5_1:                                ;   in Loop: Header=BB5_2 Depth=1
	s_add_i32 s31, s31, 1
	s_cmp_eq_u32 s31, 10
	s_cbranch_scc1 .LBB5_18
.LBB5_2:                                ; =>This Loop Header: Depth=1
                                        ;     Child Loop BB5_4 Depth 2
	s_mov_b32 s24, -4
	s_mov_b32 s25, 28
	s_branch .LBB5_4
.LBB5_3:                                ;   in Loop: Header=BB5_4 Depth=2
	s_or_b64 exec, exec, s[20:21]
	s_waitcnt lgkmcnt(0)
	v_add_u32_e32 v0, v1, v0
	ds_bpermute_b32 v0, v8, v0
	s_add_i32 s25, s25, -4
	s_add_i32 s24, s24, 4
	s_cmp_lt_u32 s24, 28
	s_waitcnt lgkmcnt(0)
	v_cndmask_b32_e64 v0, v0, v1, s[6:7]
	ds_write_b32 v5, v0 offset:8
	s_waitcnt lgkmcnt(0)
	s_barrier
	s_cbranch_scc0 .LBB5_1
.LBB5_4:                                ;   Parent Loop BB5_2 Depth=1
                                        ; =>  This Inner Loop Header: Depth=2
	v_lshlrev_b32_e32 v0, s25, v9
	v_lshrrev_b32_e32 v0, 28, v0
	v_and_b32_e32 v1, 1, v0
	v_add_co_u32_e64 v4, s[20:21], -1, v1
	v_addc_co_u32_e64 v14, s[20:21], 0, -1, s[20:21]
	v_cmp_ne_u32_e64 s[20:21], 0, v1
	v_xor_b32_e32 v4, s20, v4
	v_xor_b32_e32 v1, s21, v14
	v_and_b32_e32 v14, exec_lo, v4
	v_lshlrev_b32_e32 v4, 30, v0
	v_cmp_gt_i64_e64 s[20:21], 0, v[3:4]
	v_not_b32_e32 v4, v4
	v_ashrrev_i32_e32 v4, 31, v4
	v_xor_b32_e32 v15, s21, v4
	v_xor_b32_e32 v4, s20, v4
	v_and_b32_e32 v14, v14, v4
	v_lshlrev_b32_e32 v4, 29, v0
	v_cmp_gt_i64_e64 s[20:21], 0, v[3:4]
	v_not_b32_e32 v4, v4
	v_and_b32_e32 v1, exec_hi, v1
	v_ashrrev_i32_e32 v4, 31, v4
	v_and_b32_e32 v1, v1, v15
	v_xor_b32_e32 v15, s21, v4
	v_xor_b32_e32 v4, s20, v4
	v_and_b32_e32 v14, v14, v4
	v_lshlrev_b32_e32 v4, 28, v0
	v_mul_u32_u24_e32 v13, 12, v0
	v_cmp_gt_i64_e64 s[20:21], 0, v[3:4]
	v_not_b32_e32 v0, v4
	v_ashrrev_i32_e32 v0, 31, v0
	v_xor_b32_e32 v4, s21, v0
	v_xor_b32_e32 v0, s20, v0
	v_and_b32_e32 v1, v1, v15
	v_and_b32_e32 v0, v14, v0
	;; [unrolled: 1-line block ×3, first 2 shown]
	v_mbcnt_lo_u32_b32 v4, v0, 0
	v_mbcnt_hi_u32_b32 v14, v1, v4
	v_cmp_ne_u64_e64 s[20:21], 0, v[0:1]
	v_cmp_eq_u32_e64 s[22:23], 0, v14
	s_and_b64 s[22:23], s[20:21], s[22:23]
	ds_write_b32 v5, v3 offset:8
	s_waitcnt lgkmcnt(0)
	s_barrier
	; wave barrier
	s_and_saveexec_b64 s[20:21], s[22:23]
; %bb.5:                                ;   in Loop: Header=BB5_4 Depth=2
	v_bcnt_u32_b32 v0, v0, 0
	v_bcnt_u32_b32 v0, v1, v0
	v_add_u32_e32 v1, v2, v13
	ds_write_b32 v1, v0 offset:8
; %bb.6:                                ;   in Loop: Header=BB5_4 Depth=2
	s_or_b64 exec, exec, s[20:21]
	v_lshlrev_b32_e32 v0, s25, v10
	v_lshrrev_b32_e32 v0, 28, v0
	v_mad_u32_u24 v1, v0, 12, v2
	; wave barrier
	ds_read_b32 v15, v1 offset:8
	v_and_b32_e32 v1, 1, v0
	v_add_co_u32_e64 v4, s[20:21], -1, v1
	v_addc_co_u32_e64 v17, s[20:21], 0, -1, s[20:21]
	v_cmp_ne_u32_e64 s[20:21], 0, v1
	v_xor_b32_e32 v4, s20, v4
	v_xor_b32_e32 v1, s21, v17
	v_and_b32_e32 v17, exec_lo, v4
	v_lshlrev_b32_e32 v4, 30, v0
	v_cmp_gt_i64_e64 s[20:21], 0, v[3:4]
	v_not_b32_e32 v4, v4
	v_ashrrev_i32_e32 v4, 31, v4
	v_xor_b32_e32 v18, s21, v4
	v_xor_b32_e32 v4, s20, v4
	v_and_b32_e32 v17, v17, v4
	v_lshlrev_b32_e32 v4, 29, v0
	v_cmp_gt_i64_e64 s[20:21], 0, v[3:4]
	v_not_b32_e32 v4, v4
	v_and_b32_e32 v1, exec_hi, v1
	v_ashrrev_i32_e32 v4, 31, v4
	v_and_b32_e32 v1, v1, v18
	v_xor_b32_e32 v18, s21, v4
	v_xor_b32_e32 v4, s20, v4
	v_and_b32_e32 v17, v17, v4
	v_lshlrev_b32_e32 v4, 28, v0
	v_mul_u32_u24_e32 v16, 12, v0
	v_cmp_gt_i64_e64 s[20:21], 0, v[3:4]
	v_not_b32_e32 v0, v4
	v_ashrrev_i32_e32 v0, 31, v0
	v_xor_b32_e32 v4, s21, v0
	v_xor_b32_e32 v0, s20, v0
	v_and_b32_e32 v1, v1, v18
	v_and_b32_e32 v0, v17, v0
	v_and_b32_e32 v1, v1, v4
	v_mbcnt_lo_u32_b32 v4, v0, 0
	v_mbcnt_hi_u32_b32 v17, v1, v4
	v_cmp_ne_u64_e64 s[20:21], 0, v[0:1]
	v_cmp_eq_u32_e64 s[22:23], 0, v17
	s_and_b64 s[22:23], s[20:21], s[22:23]
	; wave barrier
	s_and_saveexec_b64 s[20:21], s[22:23]
	s_cbranch_execz .LBB5_8
; %bb.7:                                ;   in Loop: Header=BB5_4 Depth=2
	v_bcnt_u32_b32 v0, v0, 0
	v_bcnt_u32_b32 v0, v1, v0
	s_waitcnt lgkmcnt(0)
	v_add_u32_e32 v0, v15, v0
	v_add_u32_e32 v1, v2, v16
	ds_write_b32 v1, v0 offset:8
.LBB5_8:                                ;   in Loop: Header=BB5_4 Depth=2
	s_or_b64 exec, exec, s[20:21]
	v_lshlrev_b32_e32 v0, s25, v11
	v_lshrrev_b32_e32 v0, 28, v0
	v_mad_u32_u24 v1, v0, 12, v2
	; wave barrier
	ds_read_b32 v18, v1 offset:8
	v_and_b32_e32 v1, 1, v0
	v_add_co_u32_e64 v4, s[20:21], -1, v1
	v_addc_co_u32_e64 v20, s[20:21], 0, -1, s[20:21]
	v_cmp_ne_u32_e64 s[20:21], 0, v1
	v_xor_b32_e32 v4, s20, v4
	v_xor_b32_e32 v1, s21, v20
	v_and_b32_e32 v20, exec_lo, v4
	v_lshlrev_b32_e32 v4, 30, v0
	v_cmp_gt_i64_e64 s[20:21], 0, v[3:4]
	v_not_b32_e32 v4, v4
	v_ashrrev_i32_e32 v4, 31, v4
	v_xor_b32_e32 v21, s21, v4
	v_xor_b32_e32 v4, s20, v4
	v_and_b32_e32 v20, v20, v4
	v_lshlrev_b32_e32 v4, 29, v0
	v_cmp_gt_i64_e64 s[20:21], 0, v[3:4]
	v_not_b32_e32 v4, v4
	v_and_b32_e32 v1, exec_hi, v1
	v_ashrrev_i32_e32 v4, 31, v4
	v_and_b32_e32 v1, v1, v21
	v_xor_b32_e32 v21, s21, v4
	v_xor_b32_e32 v4, s20, v4
	v_and_b32_e32 v20, v20, v4
	v_lshlrev_b32_e32 v4, 28, v0
	v_mul_u32_u24_e32 v19, 12, v0
	v_cmp_gt_i64_e64 s[20:21], 0, v[3:4]
	v_not_b32_e32 v0, v4
	v_ashrrev_i32_e32 v0, 31, v0
	v_xor_b32_e32 v4, s21, v0
	v_xor_b32_e32 v0, s20, v0
	v_and_b32_e32 v1, v1, v21
	v_and_b32_e32 v0, v20, v0
	;; [unrolled: 1-line block ×3, first 2 shown]
	v_mbcnt_lo_u32_b32 v4, v0, 0
	v_mbcnt_hi_u32_b32 v20, v1, v4
	v_cmp_ne_u64_e64 s[20:21], 0, v[0:1]
	v_cmp_eq_u32_e64 s[22:23], 0, v20
	s_and_b64 s[22:23], s[20:21], s[22:23]
	; wave barrier
	s_and_saveexec_b64 s[20:21], s[22:23]
	s_cbranch_execz .LBB5_10
; %bb.9:                                ;   in Loop: Header=BB5_4 Depth=2
	v_bcnt_u32_b32 v0, v0, 0
	v_bcnt_u32_b32 v0, v1, v0
	s_waitcnt lgkmcnt(0)
	v_add_u32_e32 v0, v18, v0
	v_add_u32_e32 v1, v2, v19
	ds_write_b32 v1, v0 offset:8
.LBB5_10:                               ;   in Loop: Header=BB5_4 Depth=2
	s_or_b64 exec, exec, s[20:21]
	v_lshlrev_b32_e32 v0, s25, v12
	v_lshrrev_b32_e32 v0, 28, v0
	v_mad_u32_u24 v1, v0, 12, v2
	; wave barrier
	ds_read_b32 v21, v1 offset:8
	v_and_b32_e32 v1, 1, v0
	v_add_co_u32_e64 v4, s[20:21], -1, v1
	v_addc_co_u32_e64 v23, s[20:21], 0, -1, s[20:21]
	v_cmp_ne_u32_e64 s[20:21], 0, v1
	v_xor_b32_e32 v4, s20, v4
	v_xor_b32_e32 v1, s21, v23
	v_and_b32_e32 v23, exec_lo, v4
	v_lshlrev_b32_e32 v4, 30, v0
	v_cmp_gt_i64_e64 s[20:21], 0, v[3:4]
	v_not_b32_e32 v4, v4
	v_ashrrev_i32_e32 v4, 31, v4
	v_xor_b32_e32 v24, s21, v4
	v_xor_b32_e32 v4, s20, v4
	v_and_b32_e32 v23, v23, v4
	v_lshlrev_b32_e32 v4, 29, v0
	v_cmp_gt_i64_e64 s[20:21], 0, v[3:4]
	v_not_b32_e32 v4, v4
	v_and_b32_e32 v1, exec_hi, v1
	v_ashrrev_i32_e32 v4, 31, v4
	v_and_b32_e32 v1, v1, v24
	v_xor_b32_e32 v24, s21, v4
	v_xor_b32_e32 v4, s20, v4
	v_and_b32_e32 v23, v23, v4
	v_lshlrev_b32_e32 v4, 28, v0
	v_mul_u32_u24_e32 v22, 12, v0
	v_cmp_gt_i64_e64 s[20:21], 0, v[3:4]
	v_not_b32_e32 v0, v4
	v_ashrrev_i32_e32 v0, 31, v0
	v_xor_b32_e32 v4, s21, v0
	v_xor_b32_e32 v0, s20, v0
	v_and_b32_e32 v1, v1, v24
	v_and_b32_e32 v0, v23, v0
	;; [unrolled: 1-line block ×3, first 2 shown]
	v_mbcnt_lo_u32_b32 v4, v0, 0
	v_mbcnt_hi_u32_b32 v4, v1, v4
	v_cmp_ne_u64_e64 s[20:21], 0, v[0:1]
	v_cmp_eq_u32_e64 s[22:23], 0, v4
	s_and_b64 s[22:23], s[20:21], s[22:23]
	; wave barrier
	s_and_saveexec_b64 s[20:21], s[22:23]
	s_cbranch_execz .LBB5_12
; %bb.11:                               ;   in Loop: Header=BB5_4 Depth=2
	v_bcnt_u32_b32 v0, v0, 0
	v_bcnt_u32_b32 v0, v1, v0
	s_waitcnt lgkmcnt(0)
	v_add_u32_e32 v0, v21, v0
	v_add_u32_e32 v1, v2, v22
	ds_write_b32 v1, v0 offset:8
.LBB5_12:                               ;   in Loop: Header=BB5_4 Depth=2
	s_or_b64 exec, exec, s[20:21]
	; wave barrier
	s_waitcnt lgkmcnt(0)
	s_barrier
	ds_read_b32 v0, v5 offset:8
	s_waitcnt lgkmcnt(0)
	s_nop 0
	v_mov_b32_dpp v1, v0 row_shr:1 row_mask:0xf bank_mask:0xf
	v_cndmask_b32_e64 v1, v1, 0, s[8:9]
	v_add_u32_e32 v0, v1, v0
	s_nop 1
	v_mov_b32_dpp v1, v0 row_shr:2 row_mask:0xf bank_mask:0xf
	v_cndmask_b32_e64 v1, 0, v1, s[10:11]
	v_add_u32_e32 v0, v0, v1
	;; [unrolled: 4-line block ×4, first 2 shown]
	s_nop 1
	v_mov_b32_dpp v1, v0 row_bcast:15 row_mask:0xf bank_mask:0xf
	v_cndmask_b32_e64 v1, v1, 0, s[16:17]
	v_add_u32_e32 v0, v0, v1
	s_nop 1
	v_mov_b32_dpp v1, v0 row_bcast:31 row_mask:0xf bank_mask:0xf
	v_cndmask_b32_e64 v1, 0, v1, s[2:3]
	v_add_u32_e32 v0, v0, v1
	s_and_saveexec_b64 s[20:21], s[4:5]
; %bb.13:                               ;   in Loop: Header=BB5_4 Depth=2
	ds_write_b32 v6, v0
; %bb.14:                               ;   in Loop: Header=BB5_4 Depth=2
	s_or_b64 exec, exec, s[20:21]
	s_waitcnt lgkmcnt(0)
	s_barrier
	s_and_saveexec_b64 s[20:21], vcc
	s_cbranch_execz .LBB5_16
; %bb.15:                               ;   in Loop: Header=BB5_4 Depth=2
	ds_read_b32 v1, v5
	s_waitcnt lgkmcnt(0)
	s_nop 0
	v_mov_b32_dpp v23, v1 row_shr:1 row_mask:0xf bank_mask:0xf
	v_cndmask_b32_e64 v23, v23, 0, s[18:19]
	v_add_u32_e32 v1, v23, v1
	ds_write_b32 v5, v1
.LBB5_16:                               ;   in Loop: Header=BB5_4 Depth=2
	s_or_b64 exec, exec, s[20:21]
	v_mov_b32_e32 v1, 0
	s_waitcnt lgkmcnt(0)
	s_barrier
	s_and_saveexec_b64 s[20:21], s[0:1]
	s_cbranch_execz .LBB5_3
; %bb.17:                               ;   in Loop: Header=BB5_4 Depth=2
	ds_read_b32 v1, v7
	s_branch .LBB5_3
.LBB5_18:
	v_add_u32_e32 v0, v2, v22
	v_add_u32_e32 v1, v2, v19
	;; [unrolled: 1-line block ×4, first 2 shown]
	ds_read_b32 v2, v2 offset:8
	ds_read_b32 v3, v3 offset:8
	;; [unrolled: 1-line block ×4, first 2 shown]
	s_add_u32 s0, s26, s28
	s_waitcnt lgkmcnt(3)
	v_add_u32_e32 v0, v2, v14
	s_waitcnt lgkmcnt(2)
	v_add3_u32 v1, v17, v15, v3
	s_waitcnt lgkmcnt(1)
	v_add3_u32 v2, v20, v18, v6
	;; [unrolled: 2-line block ×3, first 2 shown]
	s_addc_u32 s1, s27, s29
	v_lshlrev_b32_e32 v4, 2, v5
	global_store_dwordx4 v4, v[0:3], s[0:1]
	s_endpgm
	.section	.rodata,"a",@progbits
	.p2align	6, 0x0
	.amdhsa_kernel _Z11rank_kernelIiLj4ELb0EL18RadixRankAlgorithm2ELj128ELj4ELj10EEvPKT_Pi
		.amdhsa_group_segment_fixed_size 520
		.amdhsa_private_segment_fixed_size 0
		.amdhsa_kernarg_size 272
		.amdhsa_user_sgpr_count 6
		.amdhsa_user_sgpr_private_segment_buffer 1
		.amdhsa_user_sgpr_dispatch_ptr 0
		.amdhsa_user_sgpr_queue_ptr 0
		.amdhsa_user_sgpr_kernarg_segment_ptr 1
		.amdhsa_user_sgpr_dispatch_id 0
		.amdhsa_user_sgpr_flat_scratch_init 0
		.amdhsa_user_sgpr_private_segment_size 0
		.amdhsa_uses_dynamic_stack 0
		.amdhsa_system_sgpr_private_segment_wavefront_offset 0
		.amdhsa_system_sgpr_workgroup_id_x 1
		.amdhsa_system_sgpr_workgroup_id_y 0
		.amdhsa_system_sgpr_workgroup_id_z 0
		.amdhsa_system_sgpr_workgroup_info 0
		.amdhsa_system_vgpr_workitem_id 2
		.amdhsa_next_free_vgpr 25
		.amdhsa_next_free_sgpr 32
		.amdhsa_reserve_vcc 1
		.amdhsa_reserve_flat_scratch 0
		.amdhsa_float_round_mode_32 0
		.amdhsa_float_round_mode_16_64 0
		.amdhsa_float_denorm_mode_32 3
		.amdhsa_float_denorm_mode_16_64 3
		.amdhsa_dx10_clamp 1
		.amdhsa_ieee_mode 1
		.amdhsa_fp16_overflow 0
		.amdhsa_exception_fp_ieee_invalid_op 0
		.amdhsa_exception_fp_denorm_src 0
		.amdhsa_exception_fp_ieee_div_zero 0
		.amdhsa_exception_fp_ieee_overflow 0
		.amdhsa_exception_fp_ieee_underflow 0
		.amdhsa_exception_fp_ieee_inexact 0
		.amdhsa_exception_int_div_zero 0
	.end_amdhsa_kernel
	.section	.text._Z11rank_kernelIiLj4ELb0EL18RadixRankAlgorithm2ELj128ELj4ELj10EEvPKT_Pi,"axG",@progbits,_Z11rank_kernelIiLj4ELb0EL18RadixRankAlgorithm2ELj128ELj4ELj10EEvPKT_Pi,comdat
.Lfunc_end5:
	.size	_Z11rank_kernelIiLj4ELb0EL18RadixRankAlgorithm2ELj128ELj4ELj10EEvPKT_Pi, .Lfunc_end5-_Z11rank_kernelIiLj4ELb0EL18RadixRankAlgorithm2ELj128ELj4ELj10EEvPKT_Pi
                                        ; -- End function
	.set _Z11rank_kernelIiLj4ELb0EL18RadixRankAlgorithm2ELj128ELj4ELj10EEvPKT_Pi.num_vgpr, 25
	.set _Z11rank_kernelIiLj4ELb0EL18RadixRankAlgorithm2ELj128ELj4ELj10EEvPKT_Pi.num_agpr, 0
	.set _Z11rank_kernelIiLj4ELb0EL18RadixRankAlgorithm2ELj128ELj4ELj10EEvPKT_Pi.numbered_sgpr, 32
	.set _Z11rank_kernelIiLj4ELb0EL18RadixRankAlgorithm2ELj128ELj4ELj10EEvPKT_Pi.num_named_barrier, 0
	.set _Z11rank_kernelIiLj4ELb0EL18RadixRankAlgorithm2ELj128ELj4ELj10EEvPKT_Pi.private_seg_size, 0
	.set _Z11rank_kernelIiLj4ELb0EL18RadixRankAlgorithm2ELj128ELj4ELj10EEvPKT_Pi.uses_vcc, 1
	.set _Z11rank_kernelIiLj4ELb0EL18RadixRankAlgorithm2ELj128ELj4ELj10EEvPKT_Pi.uses_flat_scratch, 0
	.set _Z11rank_kernelIiLj4ELb0EL18RadixRankAlgorithm2ELj128ELj4ELj10EEvPKT_Pi.has_dyn_sized_stack, 0
	.set _Z11rank_kernelIiLj4ELb0EL18RadixRankAlgorithm2ELj128ELj4ELj10EEvPKT_Pi.has_recursion, 0
	.set _Z11rank_kernelIiLj4ELb0EL18RadixRankAlgorithm2ELj128ELj4ELj10EEvPKT_Pi.has_indirect_call, 0
	.section	.AMDGPU.csdata,"",@progbits
; Kernel info:
; codeLenInByte = 1816
; TotalNumSgprs: 36
; NumVgprs: 25
; ScratchSize: 0
; MemoryBound: 0
; FloatMode: 240
; IeeeMode: 1
; LDSByteSize: 520 bytes/workgroup (compile time only)
; SGPRBlocks: 4
; VGPRBlocks: 6
; NumSGPRsForWavesPerEU: 36
; NumVGPRsForWavesPerEU: 25
; Occupancy: 9
; WaveLimiterHint : 0
; COMPUTE_PGM_RSRC2:SCRATCH_EN: 0
; COMPUTE_PGM_RSRC2:USER_SGPR: 6
; COMPUTE_PGM_RSRC2:TRAP_HANDLER: 0
; COMPUTE_PGM_RSRC2:TGID_X_EN: 1
; COMPUTE_PGM_RSRC2:TGID_Y_EN: 0
; COMPUTE_PGM_RSRC2:TGID_Z_EN: 0
; COMPUTE_PGM_RSRC2:TIDIG_COMP_CNT: 2
	.section	.text._Z11rank_kernelIiLj4ELb0EL18RadixRankAlgorithm0ELj128ELj8ELj10EEvPKT_Pi,"axG",@progbits,_Z11rank_kernelIiLj4ELb0EL18RadixRankAlgorithm0ELj128ELj8ELj10EEvPKT_Pi,comdat
	.protected	_Z11rank_kernelIiLj4ELb0EL18RadixRankAlgorithm0ELj128ELj8ELj10EEvPKT_Pi ; -- Begin function _Z11rank_kernelIiLj4ELb0EL18RadixRankAlgorithm0ELj128ELj8ELj10EEvPKT_Pi
	.globl	_Z11rank_kernelIiLj4ELb0EL18RadixRankAlgorithm0ELj128ELj8ELj10EEvPKT_Pi
	.p2align	8
	.type	_Z11rank_kernelIiLj4ELb0EL18RadixRankAlgorithm0ELj128ELj8ELj10EEvPKT_Pi,@function
_Z11rank_kernelIiLj4ELb0EL18RadixRankAlgorithm0ELj128ELj8ELj10EEvPKT_Pi: ; @_Z11rank_kernelIiLj4ELb0EL18RadixRankAlgorithm0ELj128ELj8ELj10EEvPKT_Pi
; %bb.0:
	s_load_dwordx4 s[20:23], s[4:5], 0x0
	s_lshl_b32 s26, s6, 10
	s_mov_b32 s27, 0
	s_lshl_b64 s[24:25], s[26:27], 2
	v_lshlrev_b32_e32 v1, 5, v0
	s_waitcnt lgkmcnt(0)
	s_add_u32 s0, s20, s24
	s_addc_u32 s1, s21, s25
	global_load_dwordx4 v[8:11], v1, s[0:1]
	global_load_dwordx4 v[12:15], v1, s[0:1] offset:16
	v_mbcnt_lo_u32_b32 v4, -1, 0
	v_mbcnt_hi_u32_b32 v7, -1, v4
	v_subrev_co_u32_e64 v20, s[6:7], 1, v7
	v_and_b32_e32 v21, 64, v7
	v_or_b32_e32 v6, 63, v0
	v_lshrrev_b32_e32 v16, 4, v0
	v_cmp_lt_i32_e64 s[18:19], v20, v21
	v_mul_i32_i24_e32 v17, 0xffffffe4, v0
	v_and_b32_e32 v18, 15, v7
	v_and_b32_e32 v19, 16, v7
	v_cmp_lt_u32_e64 s[2:3], 31, v7
	v_cmp_eq_u32_e64 s[4:5], v0, v6
	v_and_b32_e32 v6, 4, v16
	v_and_b32_e32 v16, 1, v7
	v_cndmask_b32_e64 v7, v20, v7, s[18:19]
	v_mov_b32_e32 v2, 0
	s_movk_i32 s26, 0x37f
	s_movk_i32 s30, 0x380
	v_lshlrev_b32_e32 v3, 3, v0
	v_cmp_gt_u32_e32 vcc, 2, v0
	v_cmp_lt_u32_e64 s[0:1], 63, v0
	v_lshlrev_b32_e32 v4, 2, v0
	v_or_b32_e32 v5, 0xffffff80, v0
	v_cmp_eq_u32_e64 s[8:9], 0, v18
	v_cmp_lt_u32_e64 s[10:11], 1, v18
	v_cmp_lt_u32_e64 s[12:13], 3, v18
	;; [unrolled: 1-line block ×3, first 2 shown]
	v_cmp_eq_u32_e64 s[16:17], 0, v19
	v_cmp_eq_u32_e64 s[18:19], 0, v16
	v_lshlrev_b32_e32 v7, 2, v7
	v_add_u32_e32 v16, v1, v17
	s_waitcnt vmcnt(1)
	v_xor_b32_e32 v8, 0x80000000, v8
	v_xor_b32_e32 v9, 0x80000000, v9
	;; [unrolled: 1-line block ×4, first 2 shown]
	s_waitcnt vmcnt(0)
	v_xor_b32_e32 v12, 0x80000000, v12
	v_xor_b32_e32 v13, 0x80000000, v13
	;; [unrolled: 1-line block ×4, first 2 shown]
	s_branch .LBB6_2
.LBB6_1:                                ;   in Loop: Header=BB6_2 Depth=1
	s_add_i32 s27, s27, 1
	s_cmp_eq_u32 s27, 10
	s_cbranch_scc1 .LBB6_12
.LBB6_2:                                ; =>This Loop Header: Depth=1
                                        ;     Child Loop BB6_4 Depth 2
                                        ;       Child Loop BB6_5 Depth 3
	s_mov_b32 s31, 0
	s_branch .LBB6_4
.LBB6_3:                                ;   in Loop: Header=BB6_4 Depth=2
	s_or_b64 exec, exec, s[20:21]
	s_waitcnt lgkmcnt(0)
	v_add_u32_e32 v33, v34, v33
	ds_bpermute_b32 v33, v7, v33
	s_add_i32 s20, s31, 4
	s_cmp_lt_u32 s31, 28
	s_mov_b32 s31, s20
	s_waitcnt lgkmcnt(0)
	v_cndmask_b32_e64 v33, v33, v34, s[6:7]
	ds_read_b32 v34, v2 offset:4100
	s_waitcnt lgkmcnt(0)
	v_lshl_add_u32 v37, v34, 16, v33
	ds_read2_b64 v[33:36], v1 offset1:1
	s_waitcnt lgkmcnt(0)
	v_add_u32_e32 v38, v37, v33
	v_add_u32_e32 v33, v34, v38
	;; [unrolled: 1-line block ×3, first 2 shown]
	ds_write2_b64 v1, v[37:38], v[33:34] offset1:1
	v_add_u32_e32 v33, v36, v34
	ds_read_b64 v[34:35], v1 offset:16
	ds_read_b32 v36, v1 offset:24
	s_waitcnt lgkmcnt(1)
	v_add_u32_e32 v34, v34, v33
	v_add_u32_e32 v35, v35, v34
	s_waitcnt lgkmcnt(0)
	v_add_u32_e32 v36, v36, v35
	ds_write2_b64 v1, v[33:34], v[35:36] offset0:2 offset1:3
	s_waitcnt lgkmcnt(0)
	s_barrier
	s_cbranch_scc0 .LBB6_1
.LBB6_4:                                ;   Parent Loop BB6_2 Depth=1
                                        ; =>  This Loop Header: Depth=2
                                        ;       Child Loop BB6_5 Depth 3
	s_mov_b64 s[28:29], 0
	v_mov_b32_e32 v17, v5
	v_mov_b32_e32 v18, v4
.LBB6_5:                                ;   Parent Loop BB6_2 Depth=1
                                        ;     Parent Loop BB6_4 Depth=2
                                        ; =>    This Inner Loop Header: Depth=3
	v_add_u32_e32 v17, 0x80, v17
	v_cmp_lt_u32_e64 s[20:21], s26, v17
	ds_write_b32 v18, v2
	s_or_b64 s[28:29], s[20:21], s[28:29]
	v_add_u32_e32 v18, 0x200, v18
	s_andn2_b64 exec, exec, s[28:29]
	s_cbranch_execnz .LBB6_5
; %bb.6:                                ;   in Loop: Header=BB6_4 Depth=2
	s_or_b64 exec, exec, s[28:29]
	s_sub_i32 s20, 28, s31
	v_lshlrev_b32_e32 v17, s20, v8
	v_lshrrev_b32_e32 v18, 21, v17
	v_and_or_b32 v18, v18, s30, v0
	v_alignbit_b32 v17, v18, v17, 31
	v_lshlrev_b32_e32 v18, 1, v17
	ds_read_u16 v17, v18
	v_lshlrev_b32_e32 v19, s20, v9
	v_lshrrev_b32_e32 v20, 21, v19
	v_and_or_b32 v20, v20, s30, v0
	v_alignbit_b32 v19, v20, v19, 31
	s_waitcnt lgkmcnt(0)
	v_add_u16_e32 v20, 1, v17
	ds_write_b16 v18, v20
	v_lshlrev_b32_e32 v20, 1, v19
	ds_read_u16 v19, v20
	v_lshlrev_b32_e32 v21, s20, v10
	v_lshrrev_b32_e32 v22, 21, v21
	v_and_or_b32 v22, v22, s30, v0
	v_alignbit_b32 v21, v22, v21, 31
	s_waitcnt lgkmcnt(0)
	v_add_u16_e32 v23, 1, v19
	ds_write_b16 v20, v23
	;; [unrolled: 9-line block ×3, first 2 shown]
	v_lshlrev_b32_e32 v24, 1, v23
	ds_read_u16 v23, v24
	v_lshlrev_b32_e32 v25, s20, v12
	s_waitcnt lgkmcnt(0)
	v_add_u16_e32 v26, 1, v23
	ds_write_b16 v24, v26
	v_lshrrev_b32_e32 v26, 21, v25
	v_and_or_b32 v26, v26, s30, v0
	v_alignbit_b32 v25, v26, v25, 31
	v_lshlrev_b32_e32 v26, 1, v25
	ds_read_u16 v25, v26
	s_waitcnt lgkmcnt(0)
	v_add_u16_e32 v27, 1, v25
	ds_write_b16 v26, v27
	v_lshlrev_b32_e32 v27, s20, v13
	v_lshrrev_b32_e32 v28, 21, v27
	v_and_or_b32 v28, v28, s30, v0
	v_alignbit_b32 v27, v28, v27, 31
	v_lshlrev_b32_e32 v28, 1, v27
	ds_read_u16 v27, v28
	s_waitcnt lgkmcnt(0)
	v_add_u16_e32 v29, 1, v27
	ds_write_b16 v28, v29
	v_lshlrev_b32_e32 v29, s20, v14
	;; [unrolled: 9-line block ×3, first 2 shown]
	v_lshrrev_b32_e32 v32, 21, v30
	v_and_or_b32 v32, v32, s30, v0
	v_alignbit_b32 v30, v32, v30, 31
	v_lshlrev_b32_e32 v32, 1, v30
	ds_read_u16 v30, v32
	s_waitcnt lgkmcnt(0)
	v_add_u16_e32 v33, 1, v30
	ds_write_b16 v32, v33
	s_waitcnt lgkmcnt(0)
	s_barrier
	ds_read2_b64 v[33:36], v1 offset1:1
	s_waitcnt lgkmcnt(0)
	v_add_u32_e32 v33, v34, v33
	v_add3_u32 v37, v33, v35, v36
	ds_read2_b64 v[33:36], v1 offset0:2 offset1:3
	s_waitcnt lgkmcnt(0)
	v_add3_u32 v33, v37, v33, v34
	v_add3_u32 v33, v33, v35, v36
	s_nop 1
	v_mov_b32_dpp v34, v33 row_shr:1 row_mask:0xf bank_mask:0xf
	v_cndmask_b32_e64 v34, v34, 0, s[8:9]
	v_add_u32_e32 v33, v34, v33
	s_nop 1
	v_mov_b32_dpp v34, v33 row_shr:2 row_mask:0xf bank_mask:0xf
	v_cndmask_b32_e64 v34, 0, v34, s[10:11]
	v_add_u32_e32 v33, v33, v34
	;; [unrolled: 4-line block ×4, first 2 shown]
	s_nop 1
	v_mov_b32_dpp v34, v33 row_bcast:15 row_mask:0xf bank_mask:0xf
	v_cndmask_b32_e64 v34, v34, 0, s[16:17]
	v_add_u32_e32 v33, v33, v34
	s_nop 1
	v_mov_b32_dpp v34, v33 row_bcast:31 row_mask:0xf bank_mask:0xf
	v_cndmask_b32_e64 v34, 0, v34, s[2:3]
	v_add_u32_e32 v33, v33, v34
	s_and_saveexec_b64 s[20:21], s[4:5]
; %bb.7:                                ;   in Loop: Header=BB6_4 Depth=2
	ds_write_b32 v6, v33 offset:4096
; %bb.8:                                ;   in Loop: Header=BB6_4 Depth=2
	s_or_b64 exec, exec, s[20:21]
	s_waitcnt lgkmcnt(0)
	s_barrier
	s_and_saveexec_b64 s[20:21], vcc
	s_cbranch_execz .LBB6_10
; %bb.9:                                ;   in Loop: Header=BB6_4 Depth=2
	ds_read_b32 v34, v16 offset:4096
	s_waitcnt lgkmcnt(0)
	s_nop 0
	v_mov_b32_dpp v35, v34 row_shr:1 row_mask:0xf bank_mask:0xf
	v_cndmask_b32_e64 v35, v35, 0, s[18:19]
	v_add_u32_e32 v34, v35, v34
	ds_write_b32 v16, v34 offset:4096
.LBB6_10:                               ;   in Loop: Header=BB6_4 Depth=2
	s_or_b64 exec, exec, s[20:21]
	v_mov_b32_e32 v34, 0
	s_waitcnt lgkmcnt(0)
	s_barrier
	s_and_saveexec_b64 s[20:21], s[0:1]
	s_cbranch_execz .LBB6_3
; %bb.11:                               ;   in Loop: Header=BB6_4 Depth=2
	ds_read_b32 v34, v6 offset:4092
	s_branch .LBB6_3
.LBB6_12:
	ds_read_u16 v0, v24
	ds_read_u16 v1, v22
	;; [unrolled: 1-line block ×8, first 2 shown]
	s_add_u32 s0, s22, s24
	s_waitcnt lgkmcnt(4)
	v_add_u32_sdwa v4, v4, v17 dst_sel:DWORD dst_unused:UNUSED_PAD src0_sel:DWORD src1_sel:WORD_0
	v_add_u32_sdwa v5, v2, v19 dst_sel:DWORD dst_unused:UNUSED_PAD src0_sel:DWORD src1_sel:WORD_0
	;; [unrolled: 1-line block ×4, first 2 shown]
	s_addc_u32 s1, s23, s25
	v_lshlrev_b32_e32 v0, 2, v3
	s_waitcnt lgkmcnt(0)
	v_add_u32_sdwa v8, v8, v25 dst_sel:DWORD dst_unused:UNUSED_PAD src0_sel:DWORD src1_sel:WORD_0
	v_add_u32_sdwa v9, v9, v27 dst_sel:DWORD dst_unused:UNUSED_PAD src0_sel:DWORD src1_sel:WORD_0
	;; [unrolled: 1-line block ×4, first 2 shown]
	global_store_dwordx4 v0, v[4:7], s[0:1]
	global_store_dwordx4 v0, v[8:11], s[0:1] offset:16
	s_endpgm
	.section	.rodata,"a",@progbits
	.p2align	6, 0x0
	.amdhsa_kernel _Z11rank_kernelIiLj4ELb0EL18RadixRankAlgorithm0ELj128ELj8ELj10EEvPKT_Pi
		.amdhsa_group_segment_fixed_size 4104
		.amdhsa_private_segment_fixed_size 0
		.amdhsa_kernarg_size 16
		.amdhsa_user_sgpr_count 6
		.amdhsa_user_sgpr_private_segment_buffer 1
		.amdhsa_user_sgpr_dispatch_ptr 0
		.amdhsa_user_sgpr_queue_ptr 0
		.amdhsa_user_sgpr_kernarg_segment_ptr 1
		.amdhsa_user_sgpr_dispatch_id 0
		.amdhsa_user_sgpr_flat_scratch_init 0
		.amdhsa_user_sgpr_private_segment_size 0
		.amdhsa_uses_dynamic_stack 0
		.amdhsa_system_sgpr_private_segment_wavefront_offset 0
		.amdhsa_system_sgpr_workgroup_id_x 1
		.amdhsa_system_sgpr_workgroup_id_y 0
		.amdhsa_system_sgpr_workgroup_id_z 0
		.amdhsa_system_sgpr_workgroup_info 0
		.amdhsa_system_vgpr_workitem_id 0
		.amdhsa_next_free_vgpr 39
		.amdhsa_next_free_sgpr 61
		.amdhsa_reserve_vcc 1
		.amdhsa_reserve_flat_scratch 0
		.amdhsa_float_round_mode_32 0
		.amdhsa_float_round_mode_16_64 0
		.amdhsa_float_denorm_mode_32 3
		.amdhsa_float_denorm_mode_16_64 3
		.amdhsa_dx10_clamp 1
		.amdhsa_ieee_mode 1
		.amdhsa_fp16_overflow 0
		.amdhsa_exception_fp_ieee_invalid_op 0
		.amdhsa_exception_fp_denorm_src 0
		.amdhsa_exception_fp_ieee_div_zero 0
		.amdhsa_exception_fp_ieee_overflow 0
		.amdhsa_exception_fp_ieee_underflow 0
		.amdhsa_exception_fp_ieee_inexact 0
		.amdhsa_exception_int_div_zero 0
	.end_amdhsa_kernel
	.section	.text._Z11rank_kernelIiLj4ELb0EL18RadixRankAlgorithm0ELj128ELj8ELj10EEvPKT_Pi,"axG",@progbits,_Z11rank_kernelIiLj4ELb0EL18RadixRankAlgorithm0ELj128ELj8ELj10EEvPKT_Pi,comdat
.Lfunc_end6:
	.size	_Z11rank_kernelIiLj4ELb0EL18RadixRankAlgorithm0ELj128ELj8ELj10EEvPKT_Pi, .Lfunc_end6-_Z11rank_kernelIiLj4ELb0EL18RadixRankAlgorithm0ELj128ELj8ELj10EEvPKT_Pi
                                        ; -- End function
	.set _Z11rank_kernelIiLj4ELb0EL18RadixRankAlgorithm0ELj128ELj8ELj10EEvPKT_Pi.num_vgpr, 39
	.set _Z11rank_kernelIiLj4ELb0EL18RadixRankAlgorithm0ELj128ELj8ELj10EEvPKT_Pi.num_agpr, 0
	.set _Z11rank_kernelIiLj4ELb0EL18RadixRankAlgorithm0ELj128ELj8ELj10EEvPKT_Pi.numbered_sgpr, 32
	.set _Z11rank_kernelIiLj4ELb0EL18RadixRankAlgorithm0ELj128ELj8ELj10EEvPKT_Pi.num_named_barrier, 0
	.set _Z11rank_kernelIiLj4ELb0EL18RadixRankAlgorithm0ELj128ELj8ELj10EEvPKT_Pi.private_seg_size, 0
	.set _Z11rank_kernelIiLj4ELb0EL18RadixRankAlgorithm0ELj128ELj8ELj10EEvPKT_Pi.uses_vcc, 1
	.set _Z11rank_kernelIiLj4ELb0EL18RadixRankAlgorithm0ELj128ELj8ELj10EEvPKT_Pi.uses_flat_scratch, 0
	.set _Z11rank_kernelIiLj4ELb0EL18RadixRankAlgorithm0ELj128ELj8ELj10EEvPKT_Pi.has_dyn_sized_stack, 0
	.set _Z11rank_kernelIiLj4ELb0EL18RadixRankAlgorithm0ELj128ELj8ELj10EEvPKT_Pi.has_recursion, 0
	.set _Z11rank_kernelIiLj4ELb0EL18RadixRankAlgorithm0ELj128ELj8ELj10EEvPKT_Pi.has_indirect_call, 0
	.section	.AMDGPU.csdata,"",@progbits
; Kernel info:
; codeLenInByte = 1456
; TotalNumSgprs: 36
; NumVgprs: 39
; ScratchSize: 0
; MemoryBound: 0
; FloatMode: 240
; IeeeMode: 1
; LDSByteSize: 4104 bytes/workgroup (compile time only)
; SGPRBlocks: 8
; VGPRBlocks: 9
; NumSGPRsForWavesPerEU: 65
; NumVGPRsForWavesPerEU: 39
; Occupancy: 6
; WaveLimiterHint : 0
; COMPUTE_PGM_RSRC2:SCRATCH_EN: 0
; COMPUTE_PGM_RSRC2:USER_SGPR: 6
; COMPUTE_PGM_RSRC2:TRAP_HANDLER: 0
; COMPUTE_PGM_RSRC2:TGID_X_EN: 1
; COMPUTE_PGM_RSRC2:TGID_Y_EN: 0
; COMPUTE_PGM_RSRC2:TGID_Z_EN: 0
; COMPUTE_PGM_RSRC2:TIDIG_COMP_CNT: 0
	.section	.text._Z11rank_kernelIiLj4ELb0EL18RadixRankAlgorithm1ELj128ELj8ELj10EEvPKT_Pi,"axG",@progbits,_Z11rank_kernelIiLj4ELb0EL18RadixRankAlgorithm1ELj128ELj8ELj10EEvPKT_Pi,comdat
	.protected	_Z11rank_kernelIiLj4ELb0EL18RadixRankAlgorithm1ELj128ELj8ELj10EEvPKT_Pi ; -- Begin function _Z11rank_kernelIiLj4ELb0EL18RadixRankAlgorithm1ELj128ELj8ELj10EEvPKT_Pi
	.globl	_Z11rank_kernelIiLj4ELb0EL18RadixRankAlgorithm1ELj128ELj8ELj10EEvPKT_Pi
	.p2align	8
	.type	_Z11rank_kernelIiLj4ELb0EL18RadixRankAlgorithm1ELj128ELj8ELj10EEvPKT_Pi,@function
_Z11rank_kernelIiLj4ELb0EL18RadixRankAlgorithm1ELj128ELj8ELj10EEvPKT_Pi: ; @_Z11rank_kernelIiLj4ELb0EL18RadixRankAlgorithm1ELj128ELj8ELj10EEvPKT_Pi
; %bb.0:
	s_load_dwordx4 s[20:23], s[4:5], 0x0
	s_lshl_b32 s26, s6, 10
	s_mov_b32 s27, 0
	s_lshl_b64 s[24:25], s[26:27], 2
	v_lshlrev_b32_e32 v9, 5, v0
	s_waitcnt lgkmcnt(0)
	s_add_u32 s0, s20, s24
	s_addc_u32 s1, s21, s25
	global_load_dwordx4 v[1:4], v9, s[0:1]
	global_load_dwordx4 v[5:8], v9, s[0:1] offset:16
	v_mbcnt_lo_u32_b32 v12, -1, 0
	v_mbcnt_hi_u32_b32 v15, -1, v12
	v_subrev_co_u32_e64 v19, s[6:7], 1, v15
	v_and_b32_e32 v20, 64, v15
	v_or_b32_e32 v14, 63, v0
	v_lshrrev_b32_e32 v16, 4, v0
	v_cmp_lt_i32_e64 s[18:19], v19, v20
	v_mul_i32_i24_e32 v24, 0xffffffe4, v0
	v_and_b32_e32 v17, 15, v15
	v_and_b32_e32 v18, 16, v15
	v_cmp_lt_u32_e64 s[2:3], 31, v15
	v_cmp_eq_u32_e64 s[4:5], v0, v14
	v_and_b32_e32 v14, 4, v16
	v_and_b32_e32 v16, 1, v15
	v_cndmask_b32_e64 v15, v19, v15, s[18:19]
	v_mov_b32_e32 v10, 0
	s_movk_i32 s26, 0x37f
	s_movk_i32 s30, 0x380
	v_lshlrev_b32_e32 v11, 3, v0
	v_cmp_gt_u32_e32 vcc, 2, v0
	v_cmp_lt_u32_e64 s[0:1], 63, v0
	v_lshlrev_b32_e32 v12, 2, v0
	v_or_b32_e32 v13, 0xffffff80, v0
	v_cmp_eq_u32_e64 s[8:9], 0, v17
	v_cmp_lt_u32_e64 s[10:11], 1, v17
	v_cmp_lt_u32_e64 s[12:13], 3, v17
	;; [unrolled: 1-line block ×3, first 2 shown]
	v_cmp_eq_u32_e64 s[16:17], 0, v18
	v_cmp_eq_u32_e64 s[18:19], 0, v16
	v_lshlrev_b32_e32 v15, 2, v15
	v_add_u32_e32 v24, v9, v24
	s_waitcnt vmcnt(1)
	v_xor_b32_e32 v16, 0x80000000, v1
	v_xor_b32_e32 v17, 0x80000000, v2
	;; [unrolled: 1-line block ×4, first 2 shown]
	s_waitcnt vmcnt(0)
	v_xor_b32_e32 v20, 0x80000000, v5
	v_xor_b32_e32 v21, 0x80000000, v6
	;; [unrolled: 1-line block ×4, first 2 shown]
	s_branch .LBB7_2
.LBB7_1:                                ;   in Loop: Header=BB7_2 Depth=1
	s_add_i32 s27, s27, 1
	s_cmp_eq_u32 s27, 10
	s_cbranch_scc1 .LBB7_12
.LBB7_2:                                ; =>This Loop Header: Depth=1
                                        ;     Child Loop BB7_4 Depth 2
                                        ;       Child Loop BB7_5 Depth 3
	s_mov_b32 s31, 0
	s_branch .LBB7_4
.LBB7_3:                                ;   in Loop: Header=BB7_4 Depth=2
	s_or_b64 exec, exec, s[20:21]
	s_waitcnt lgkmcnt(0)
	v_add_u32_e32 v4, v41, v4
	ds_bpermute_b32 v4, v15, v4
	ds_read_b32 v42, v10 offset:4100
	s_add_i32 s20, s31, 4
	s_cmp_lt_u32 s31, 28
	s_mov_b32 s31, s20
	s_waitcnt lgkmcnt(1)
	v_cndmask_b32_e64 v4, v4, v41, s[6:7]
	s_waitcnt lgkmcnt(0)
	v_lshl_add_u32 v4, v42, 16, v4
	v_add_u32_e32 v5, v4, v5
	v_add_u32_e32 v6, v5, v6
	;; [unrolled: 1-line block ×7, first 2 shown]
	ds_write2_b64 v9, v[4:5], v[6:7] offset1:1
	ds_write2_b64 v9, v[41:42], v[1:2] offset0:2 offset1:3
	s_waitcnt lgkmcnt(0)
	s_barrier
	s_cbranch_scc0 .LBB7_1
.LBB7_4:                                ;   Parent Loop BB7_2 Depth=1
                                        ; =>  This Loop Header: Depth=2
                                        ;       Child Loop BB7_5 Depth 3
	s_mov_b64 s[28:29], 0
	v_mov_b32_e32 v1, v13
	v_mov_b32_e32 v2, v12
.LBB7_5:                                ;   Parent Loop BB7_2 Depth=1
                                        ;     Parent Loop BB7_4 Depth=2
                                        ; =>    This Inner Loop Header: Depth=3
	v_add_u32_e32 v1, 0x80, v1
	v_cmp_lt_u32_e64 s[20:21], s26, v1
	ds_write_b32 v2, v10
	s_or_b64 s[28:29], s[20:21], s[28:29]
	v_add_u32_e32 v2, 0x200, v2
	s_andn2_b64 exec, exec, s[28:29]
	s_cbranch_execnz .LBB7_5
; %bb.6:                                ;   in Loop: Header=BB7_4 Depth=2
	s_or_b64 exec, exec, s[28:29]
	s_sub_i32 s20, 28, s31
	v_lshlrev_b32_e32 v1, s20, v16
	v_lshrrev_b32_e32 v2, 21, v1
	v_and_or_b32 v2, v2, s30, v0
	v_alignbit_b32 v1, v2, v1, 31
	v_lshlrev_b32_e32 v26, 1, v1
	ds_read_u16 v25, v26
	v_lshlrev_b32_e32 v1, s20, v17
	v_lshrrev_b32_e32 v2, 21, v1
	v_and_or_b32 v2, v2, s30, v0
	v_alignbit_b32 v1, v2, v1, 31
	s_waitcnt lgkmcnt(0)
	v_add_u16_e32 v2, 1, v25
	ds_write_b16 v26, v2
	v_lshlrev_b32_e32 v28, 1, v1
	ds_read_u16 v27, v28
	v_lshlrev_b32_e32 v1, s20, v18
	v_lshrrev_b32_e32 v2, 21, v1
	v_and_or_b32 v2, v2, s30, v0
	v_alignbit_b32 v1, v2, v1, 31
	s_waitcnt lgkmcnt(0)
	v_add_u16_e32 v3, 1, v27
	ds_write_b16 v28, v3
	;; [unrolled: 9-line block ×3, first 2 shown]
	v_lshlrev_b32_e32 v33, 1, v1
	ds_read_u16 v31, v33
	v_lshlrev_b32_e32 v1, s20, v20
	s_waitcnt lgkmcnt(0)
	v_add_u16_e32 v2, 1, v31
	ds_write_b16 v33, v2
	v_lshrrev_b32_e32 v2, 21, v1
	v_and_or_b32 v2, v2, s30, v0
	v_alignbit_b32 v1, v2, v1, 31
	v_lshlrev_b32_e32 v34, 1, v1
	ds_read_u16 v32, v34
	s_waitcnt lgkmcnt(0)
	v_add_u16_e32 v1, 1, v32
	ds_write_b16 v34, v1
	v_lshlrev_b32_e32 v1, s20, v21
	v_lshrrev_b32_e32 v2, 21, v1
	v_and_or_b32 v2, v2, s30, v0
	v_alignbit_b32 v1, v2, v1, 31
	v_lshlrev_b32_e32 v36, 1, v1
	ds_read_u16 v35, v36
	s_waitcnt lgkmcnt(0)
	v_add_u16_e32 v1, 1, v35
	ds_write_b16 v36, v1
	v_lshlrev_b32_e32 v1, s20, v22
	;; [unrolled: 9-line block ×3, first 2 shown]
	v_lshrrev_b32_e32 v2, 21, v1
	v_and_or_b32 v2, v2, s30, v0
	v_alignbit_b32 v1, v2, v1, 31
	v_lshlrev_b32_e32 v40, 1, v1
	ds_read_u16 v38, v40
	s_waitcnt lgkmcnt(0)
	v_add_u16_e32 v1, 1, v38
	ds_write_b16 v40, v1
	s_waitcnt lgkmcnt(0)
	s_barrier
	ds_read2_b64 v[5:8], v9 offset1:1
	ds_read2_b64 v[1:4], v9 offset0:2 offset1:3
	s_waitcnt lgkmcnt(1)
	v_add_u32_e32 v41, v6, v5
	v_add3_u32 v41, v41, v7, v8
	s_waitcnt lgkmcnt(0)
	v_add3_u32 v41, v41, v1, v2
	v_add3_u32 v4, v41, v3, v4
	s_nop 1
	v_mov_b32_dpp v41, v4 row_shr:1 row_mask:0xf bank_mask:0xf
	v_cndmask_b32_e64 v41, v41, 0, s[8:9]
	v_add_u32_e32 v4, v41, v4
	s_nop 1
	v_mov_b32_dpp v41, v4 row_shr:2 row_mask:0xf bank_mask:0xf
	v_cndmask_b32_e64 v41, 0, v41, s[10:11]
	v_add_u32_e32 v4, v4, v41
	s_nop 1
	v_mov_b32_dpp v41, v4 row_shr:4 row_mask:0xf bank_mask:0xf
	v_cndmask_b32_e64 v41, 0, v41, s[12:13]
	v_add_u32_e32 v4, v4, v41
	s_nop 1
	v_mov_b32_dpp v41, v4 row_shr:8 row_mask:0xf bank_mask:0xf
	v_cndmask_b32_e64 v41, 0, v41, s[14:15]
	v_add_u32_e32 v4, v4, v41
	s_nop 1
	v_mov_b32_dpp v41, v4 row_bcast:15 row_mask:0xf bank_mask:0xf
	v_cndmask_b32_e64 v41, v41, 0, s[16:17]
	v_add_u32_e32 v4, v4, v41
	s_nop 1
	v_mov_b32_dpp v41, v4 row_bcast:31 row_mask:0xf bank_mask:0xf
	v_cndmask_b32_e64 v41, 0, v41, s[2:3]
	v_add_u32_e32 v4, v4, v41
	s_and_saveexec_b64 s[20:21], s[4:5]
; %bb.7:                                ;   in Loop: Header=BB7_4 Depth=2
	ds_write_b32 v14, v4 offset:4096
; %bb.8:                                ;   in Loop: Header=BB7_4 Depth=2
	s_or_b64 exec, exec, s[20:21]
	s_waitcnt lgkmcnt(0)
	s_barrier
	s_and_saveexec_b64 s[20:21], vcc
	s_cbranch_execz .LBB7_10
; %bb.9:                                ;   in Loop: Header=BB7_4 Depth=2
	ds_read_b32 v41, v24 offset:4096
	s_waitcnt lgkmcnt(0)
	s_nop 0
	v_mov_b32_dpp v42, v41 row_shr:1 row_mask:0xf bank_mask:0xf
	v_cndmask_b32_e64 v42, v42, 0, s[18:19]
	v_add_u32_e32 v41, v42, v41
	ds_write_b32 v24, v41 offset:4096
.LBB7_10:                               ;   in Loop: Header=BB7_4 Depth=2
	s_or_b64 exec, exec, s[20:21]
	v_mov_b32_e32 v41, 0
	s_waitcnt lgkmcnt(0)
	s_barrier
	s_and_saveexec_b64 s[20:21], s[0:1]
	s_cbranch_execz .LBB7_3
; %bb.11:                               ;   in Loop: Header=BB7_4 Depth=2
	ds_read_b32 v41, v14 offset:4092
	s_branch .LBB7_3
.LBB7_12:
	ds_read_u16 v3, v33
	ds_read_u16 v2, v30
	;; [unrolled: 1-line block ×8, first 2 shown]
	s_add_u32 s0, s22, s24
	s_waitcnt lgkmcnt(4)
	v_add_u32_sdwa v0, v0, v25 dst_sel:DWORD dst_unused:UNUSED_PAD src0_sel:DWORD src1_sel:WORD_0
	v_add_u32_sdwa v1, v1, v27 dst_sel:DWORD dst_unused:UNUSED_PAD src0_sel:DWORD src1_sel:WORD_0
	;; [unrolled: 1-line block ×4, first 2 shown]
	s_addc_u32 s1, s23, s25
	v_lshlrev_b32_e32 v8, 2, v11
	s_waitcnt lgkmcnt(0)
	v_add_u32_sdwa v4, v4, v32 dst_sel:DWORD dst_unused:UNUSED_PAD src0_sel:DWORD src1_sel:WORD_0
	v_add_u32_sdwa v5, v5, v35 dst_sel:DWORD dst_unused:UNUSED_PAD src0_sel:DWORD src1_sel:WORD_0
	;; [unrolled: 1-line block ×4, first 2 shown]
	global_store_dwordx4 v8, v[0:3], s[0:1]
	global_store_dwordx4 v8, v[4:7], s[0:1] offset:16
	s_endpgm
	.section	.rodata,"a",@progbits
	.p2align	6, 0x0
	.amdhsa_kernel _Z11rank_kernelIiLj4ELb0EL18RadixRankAlgorithm1ELj128ELj8ELj10EEvPKT_Pi
		.amdhsa_group_segment_fixed_size 4104
		.amdhsa_private_segment_fixed_size 0
		.amdhsa_kernarg_size 16
		.amdhsa_user_sgpr_count 6
		.amdhsa_user_sgpr_private_segment_buffer 1
		.amdhsa_user_sgpr_dispatch_ptr 0
		.amdhsa_user_sgpr_queue_ptr 0
		.amdhsa_user_sgpr_kernarg_segment_ptr 1
		.amdhsa_user_sgpr_dispatch_id 0
		.amdhsa_user_sgpr_flat_scratch_init 0
		.amdhsa_user_sgpr_private_segment_size 0
		.amdhsa_uses_dynamic_stack 0
		.amdhsa_system_sgpr_private_segment_wavefront_offset 0
		.amdhsa_system_sgpr_workgroup_id_x 1
		.amdhsa_system_sgpr_workgroup_id_y 0
		.amdhsa_system_sgpr_workgroup_id_z 0
		.amdhsa_system_sgpr_workgroup_info 0
		.amdhsa_system_vgpr_workitem_id 0
		.amdhsa_next_free_vgpr 43
		.amdhsa_next_free_sgpr 61
		.amdhsa_reserve_vcc 1
		.amdhsa_reserve_flat_scratch 0
		.amdhsa_float_round_mode_32 0
		.amdhsa_float_round_mode_16_64 0
		.amdhsa_float_denorm_mode_32 3
		.amdhsa_float_denorm_mode_16_64 3
		.amdhsa_dx10_clamp 1
		.amdhsa_ieee_mode 1
		.amdhsa_fp16_overflow 0
		.amdhsa_exception_fp_ieee_invalid_op 0
		.amdhsa_exception_fp_denorm_src 0
		.amdhsa_exception_fp_ieee_div_zero 0
		.amdhsa_exception_fp_ieee_overflow 0
		.amdhsa_exception_fp_ieee_underflow 0
		.amdhsa_exception_fp_ieee_inexact 0
		.amdhsa_exception_int_div_zero 0
	.end_amdhsa_kernel
	.section	.text._Z11rank_kernelIiLj4ELb0EL18RadixRankAlgorithm1ELj128ELj8ELj10EEvPKT_Pi,"axG",@progbits,_Z11rank_kernelIiLj4ELb0EL18RadixRankAlgorithm1ELj128ELj8ELj10EEvPKT_Pi,comdat
.Lfunc_end7:
	.size	_Z11rank_kernelIiLj4ELb0EL18RadixRankAlgorithm1ELj128ELj8ELj10EEvPKT_Pi, .Lfunc_end7-_Z11rank_kernelIiLj4ELb0EL18RadixRankAlgorithm1ELj128ELj8ELj10EEvPKT_Pi
                                        ; -- End function
	.set _Z11rank_kernelIiLj4ELb0EL18RadixRankAlgorithm1ELj128ELj8ELj10EEvPKT_Pi.num_vgpr, 43
	.set _Z11rank_kernelIiLj4ELb0EL18RadixRankAlgorithm1ELj128ELj8ELj10EEvPKT_Pi.num_agpr, 0
	.set _Z11rank_kernelIiLj4ELb0EL18RadixRankAlgorithm1ELj128ELj8ELj10EEvPKT_Pi.numbered_sgpr, 32
	.set _Z11rank_kernelIiLj4ELb0EL18RadixRankAlgorithm1ELj128ELj8ELj10EEvPKT_Pi.num_named_barrier, 0
	.set _Z11rank_kernelIiLj4ELb0EL18RadixRankAlgorithm1ELj128ELj8ELj10EEvPKT_Pi.private_seg_size, 0
	.set _Z11rank_kernelIiLj4ELb0EL18RadixRankAlgorithm1ELj128ELj8ELj10EEvPKT_Pi.uses_vcc, 1
	.set _Z11rank_kernelIiLj4ELb0EL18RadixRankAlgorithm1ELj128ELj8ELj10EEvPKT_Pi.uses_flat_scratch, 0
	.set _Z11rank_kernelIiLj4ELb0EL18RadixRankAlgorithm1ELj128ELj8ELj10EEvPKT_Pi.has_dyn_sized_stack, 0
	.set _Z11rank_kernelIiLj4ELb0EL18RadixRankAlgorithm1ELj128ELj8ELj10EEvPKT_Pi.has_recursion, 0
	.set _Z11rank_kernelIiLj4ELb0EL18RadixRankAlgorithm1ELj128ELj8ELj10EEvPKT_Pi.has_indirect_call, 0
	.section	.AMDGPU.csdata,"",@progbits
; Kernel info:
; codeLenInByte = 1420
; TotalNumSgprs: 36
; NumVgprs: 43
; ScratchSize: 0
; MemoryBound: 0
; FloatMode: 240
; IeeeMode: 1
; LDSByteSize: 4104 bytes/workgroup (compile time only)
; SGPRBlocks: 8
; VGPRBlocks: 10
; NumSGPRsForWavesPerEU: 65
; NumVGPRsForWavesPerEU: 43
; Occupancy: 5
; WaveLimiterHint : 0
; COMPUTE_PGM_RSRC2:SCRATCH_EN: 0
; COMPUTE_PGM_RSRC2:USER_SGPR: 6
; COMPUTE_PGM_RSRC2:TRAP_HANDLER: 0
; COMPUTE_PGM_RSRC2:TGID_X_EN: 1
; COMPUTE_PGM_RSRC2:TGID_Y_EN: 0
; COMPUTE_PGM_RSRC2:TGID_Z_EN: 0
; COMPUTE_PGM_RSRC2:TIDIG_COMP_CNT: 0
	.section	.text._Z11rank_kernelIiLj4ELb0EL18RadixRankAlgorithm2ELj128ELj8ELj10EEvPKT_Pi,"axG",@progbits,_Z11rank_kernelIiLj4ELb0EL18RadixRankAlgorithm2ELj128ELj8ELj10EEvPKT_Pi,comdat
	.protected	_Z11rank_kernelIiLj4ELb0EL18RadixRankAlgorithm2ELj128ELj8ELj10EEvPKT_Pi ; -- Begin function _Z11rank_kernelIiLj4ELb0EL18RadixRankAlgorithm2ELj128ELj8ELj10EEvPKT_Pi
	.globl	_Z11rank_kernelIiLj4ELb0EL18RadixRankAlgorithm2ELj128ELj8ELj10EEvPKT_Pi
	.p2align	8
	.type	_Z11rank_kernelIiLj4ELb0EL18RadixRankAlgorithm2ELj128ELj8ELj10EEvPKT_Pi,@function
_Z11rank_kernelIiLj4ELb0EL18RadixRankAlgorithm2ELj128ELj8ELj10EEvPKT_Pi: ; @_Z11rank_kernelIiLj4ELb0EL18RadixRankAlgorithm2ELj128ELj8ELj10EEvPKT_Pi
; %bb.0:
	s_load_dwordx4 s[24:27], s[4:5], 0x0
	s_load_dword s20, s[4:5], 0x1c
	s_lshl_b32 s30, s6, 10
	s_mov_b32 s31, 0
	s_lshl_b64 s[28:29], s[30:31], 2
	s_waitcnt lgkmcnt(0)
	s_add_u32 s0, s24, s28
	s_addc_u32 s1, s25, s29
	v_lshlrev_b32_e32 v3, 5, v0
	global_load_dwordx4 v[10:13], v3, s[0:1]
	global_load_dwordx4 v[14:17], v3, s[0:1] offset:16
	v_mbcnt_lo_u32_b32 v4, -1, 0
	v_mbcnt_hi_u32_b32 v4, -1, v4
	s_lshr_b32 s21, s20, 16
	v_or_b32_e32 v7, 63, v0
	v_subrev_co_u32_e64 v19, s[6:7], 1, v4
	v_and_b32_e32 v20, 64, v4
	s_and_b32 s20, s20, 0xffff
	v_mad_u32_u24 v1, v2, s21, v1
	v_lshlrev_b32_e32 v5, 3, v0
	v_lshlrev_b32_e32 v6, 2, v0
	v_cmp_gt_u32_e32 vcc, 2, v0
	v_cmp_lt_u32_e64 s[0:1], 63, v0
	v_lshrrev_b32_e32 v8, 4, v0
	v_cmp_eq_u32_e64 s[4:5], v0, v7
	v_cmp_lt_i32_e64 s[18:19], v19, v20
	v_mad_u32_u24 v0, v1, s20, v0
	v_and_b32_e32 v9, 15, v4
	v_and_b32_e32 v18, 16, v4
	v_cmp_lt_u32_e64 s[2:3], 31, v4
	v_and_b32_e32 v7, 4, v8
	v_and_b32_e32 v8, 1, v4
	v_cndmask_b32_e64 v4, v19, v4, s[18:19]
	v_lshrrev_b32_e32 v0, 4, v0
	v_mov_b32_e32 v3, 0
	v_cmp_eq_u32_e64 s[8:9], 0, v9
	v_cmp_lt_u32_e64 s[10:11], 1, v9
	v_cmp_lt_u32_e64 s[12:13], 3, v9
	;; [unrolled: 1-line block ×3, first 2 shown]
	v_cmp_eq_u32_e64 s[16:17], 0, v18
	v_cmp_eq_u32_e64 s[18:19], 0, v8
	v_add_u32_e32 v8, -4, v7
	v_lshlrev_b32_e32 v9, 2, v4
	v_and_b32_e32 v2, 0xffffffc, v0
	s_waitcnt vmcnt(1)
	v_xor_b32_e32 v10, 0x80000000, v10
	v_xor_b32_e32 v11, 0x80000000, v11
	;; [unrolled: 1-line block ×4, first 2 shown]
	s_waitcnt vmcnt(0)
	v_xor_b32_e32 v14, 0x80000000, v14
	v_xor_b32_e32 v15, 0x80000000, v15
	;; [unrolled: 1-line block ×4, first 2 shown]
	s_branch .LBB8_2
.LBB8_1:                                ;   in Loop: Header=BB8_2 Depth=1
	s_add_i32 s31, s31, 1
	s_cmp_eq_u32 s31, 10
	s_cbranch_scc1 .LBB8_26
.LBB8_2:                                ; =>This Loop Header: Depth=1
                                        ;     Child Loop BB8_4 Depth 2
	s_mov_b32 s24, -4
	s_mov_b32 s25, 28
	s_branch .LBB8_4
.LBB8_3:                                ;   in Loop: Header=BB8_4 Depth=2
	s_or_b64 exec, exec, s[20:21]
	s_waitcnt lgkmcnt(0)
	v_add_u32_e32 v0, v1, v0
	ds_bpermute_b32 v0, v9, v0
	s_add_i32 s25, s25, -4
	s_add_i32 s24, s24, 4
	s_cmp_lt_u32 s24, 28
	s_waitcnt lgkmcnt(0)
	v_cndmask_b32_e64 v0, v0, v1, s[6:7]
	ds_write_b32 v6, v0 offset:8
	s_waitcnt lgkmcnt(0)
	s_barrier
	s_cbranch_scc0 .LBB8_1
.LBB8_4:                                ;   Parent Loop BB8_2 Depth=1
                                        ; =>  This Inner Loop Header: Depth=2
	v_lshlrev_b32_e32 v0, s25, v10
	v_lshrrev_b32_e32 v0, 28, v0
	v_and_b32_e32 v1, 1, v0
	v_add_co_u32_e64 v4, s[20:21], -1, v1
	v_addc_co_u32_e64 v19, s[20:21], 0, -1, s[20:21]
	v_cmp_ne_u32_e64 s[20:21], 0, v1
	v_xor_b32_e32 v4, s20, v4
	v_xor_b32_e32 v1, s21, v19
	v_and_b32_e32 v19, exec_lo, v4
	v_lshlrev_b32_e32 v4, 30, v0
	v_cmp_gt_i64_e64 s[20:21], 0, v[3:4]
	v_not_b32_e32 v4, v4
	v_ashrrev_i32_e32 v4, 31, v4
	v_xor_b32_e32 v20, s21, v4
	v_xor_b32_e32 v4, s20, v4
	v_and_b32_e32 v19, v19, v4
	v_lshlrev_b32_e32 v4, 29, v0
	v_cmp_gt_i64_e64 s[20:21], 0, v[3:4]
	v_not_b32_e32 v4, v4
	v_and_b32_e32 v1, exec_hi, v1
	v_ashrrev_i32_e32 v4, 31, v4
	v_and_b32_e32 v1, v1, v20
	v_xor_b32_e32 v20, s21, v4
	v_xor_b32_e32 v4, s20, v4
	v_and_b32_e32 v19, v19, v4
	v_lshlrev_b32_e32 v4, 28, v0
	v_mul_u32_u24_e32 v18, 12, v0
	v_cmp_gt_i64_e64 s[20:21], 0, v[3:4]
	v_not_b32_e32 v0, v4
	v_ashrrev_i32_e32 v0, 31, v0
	v_xor_b32_e32 v4, s21, v0
	v_xor_b32_e32 v0, s20, v0
	v_and_b32_e32 v1, v1, v20
	v_and_b32_e32 v0, v19, v0
	;; [unrolled: 1-line block ×3, first 2 shown]
	v_mbcnt_lo_u32_b32 v4, v0, 0
	v_mbcnt_hi_u32_b32 v19, v1, v4
	v_cmp_ne_u64_e64 s[20:21], 0, v[0:1]
	v_cmp_eq_u32_e64 s[22:23], 0, v19
	s_and_b64 s[22:23], s[20:21], s[22:23]
	ds_write_b32 v6, v3 offset:8
	s_waitcnt lgkmcnt(0)
	s_barrier
	; wave barrier
	s_and_saveexec_b64 s[20:21], s[22:23]
; %bb.5:                                ;   in Loop: Header=BB8_4 Depth=2
	v_bcnt_u32_b32 v0, v0, 0
	v_bcnt_u32_b32 v0, v1, v0
	v_add_u32_e32 v1, v2, v18
	ds_write_b32 v1, v0 offset:8
; %bb.6:                                ;   in Loop: Header=BB8_4 Depth=2
	s_or_b64 exec, exec, s[20:21]
	v_lshlrev_b32_e32 v0, s25, v11
	v_lshrrev_b32_e32 v0, 28, v0
	v_mad_u32_u24 v1, v0, 12, v2
	; wave barrier
	ds_read_b32 v20, v1 offset:8
	v_and_b32_e32 v1, 1, v0
	v_add_co_u32_e64 v4, s[20:21], -1, v1
	v_addc_co_u32_e64 v22, s[20:21], 0, -1, s[20:21]
	v_cmp_ne_u32_e64 s[20:21], 0, v1
	v_xor_b32_e32 v4, s20, v4
	v_xor_b32_e32 v1, s21, v22
	v_and_b32_e32 v22, exec_lo, v4
	v_lshlrev_b32_e32 v4, 30, v0
	v_cmp_gt_i64_e64 s[20:21], 0, v[3:4]
	v_not_b32_e32 v4, v4
	v_ashrrev_i32_e32 v4, 31, v4
	v_xor_b32_e32 v23, s21, v4
	v_xor_b32_e32 v4, s20, v4
	v_and_b32_e32 v22, v22, v4
	v_lshlrev_b32_e32 v4, 29, v0
	v_cmp_gt_i64_e64 s[20:21], 0, v[3:4]
	v_not_b32_e32 v4, v4
	v_and_b32_e32 v1, exec_hi, v1
	v_ashrrev_i32_e32 v4, 31, v4
	v_and_b32_e32 v1, v1, v23
	v_xor_b32_e32 v23, s21, v4
	v_xor_b32_e32 v4, s20, v4
	v_and_b32_e32 v22, v22, v4
	v_lshlrev_b32_e32 v4, 28, v0
	v_mul_u32_u24_e32 v21, 12, v0
	v_cmp_gt_i64_e64 s[20:21], 0, v[3:4]
	v_not_b32_e32 v0, v4
	v_ashrrev_i32_e32 v0, 31, v0
	v_xor_b32_e32 v4, s21, v0
	v_xor_b32_e32 v0, s20, v0
	v_and_b32_e32 v1, v1, v23
	v_and_b32_e32 v0, v22, v0
	;; [unrolled: 1-line block ×3, first 2 shown]
	v_mbcnt_lo_u32_b32 v4, v0, 0
	v_mbcnt_hi_u32_b32 v22, v1, v4
	v_cmp_ne_u64_e64 s[20:21], 0, v[0:1]
	v_cmp_eq_u32_e64 s[22:23], 0, v22
	s_and_b64 s[22:23], s[20:21], s[22:23]
	; wave barrier
	s_and_saveexec_b64 s[20:21], s[22:23]
	s_cbranch_execz .LBB8_8
; %bb.7:                                ;   in Loop: Header=BB8_4 Depth=2
	v_bcnt_u32_b32 v0, v0, 0
	v_bcnt_u32_b32 v0, v1, v0
	s_waitcnt lgkmcnt(0)
	v_add_u32_e32 v0, v20, v0
	v_add_u32_e32 v1, v2, v21
	ds_write_b32 v1, v0 offset:8
.LBB8_8:                                ;   in Loop: Header=BB8_4 Depth=2
	s_or_b64 exec, exec, s[20:21]
	v_lshlrev_b32_e32 v0, s25, v12
	v_lshrrev_b32_e32 v0, 28, v0
	v_mad_u32_u24 v1, v0, 12, v2
	; wave barrier
	ds_read_b32 v23, v1 offset:8
	v_and_b32_e32 v1, 1, v0
	v_add_co_u32_e64 v4, s[20:21], -1, v1
	v_addc_co_u32_e64 v25, s[20:21], 0, -1, s[20:21]
	v_cmp_ne_u32_e64 s[20:21], 0, v1
	v_xor_b32_e32 v4, s20, v4
	v_xor_b32_e32 v1, s21, v25
	v_and_b32_e32 v25, exec_lo, v4
	v_lshlrev_b32_e32 v4, 30, v0
	v_cmp_gt_i64_e64 s[20:21], 0, v[3:4]
	v_not_b32_e32 v4, v4
	v_ashrrev_i32_e32 v4, 31, v4
	v_xor_b32_e32 v26, s21, v4
	v_xor_b32_e32 v4, s20, v4
	v_and_b32_e32 v25, v25, v4
	v_lshlrev_b32_e32 v4, 29, v0
	v_cmp_gt_i64_e64 s[20:21], 0, v[3:4]
	v_not_b32_e32 v4, v4
	v_and_b32_e32 v1, exec_hi, v1
	v_ashrrev_i32_e32 v4, 31, v4
	v_and_b32_e32 v1, v1, v26
	v_xor_b32_e32 v26, s21, v4
	v_xor_b32_e32 v4, s20, v4
	v_and_b32_e32 v25, v25, v4
	v_lshlrev_b32_e32 v4, 28, v0
	v_mul_u32_u24_e32 v24, 12, v0
	v_cmp_gt_i64_e64 s[20:21], 0, v[3:4]
	v_not_b32_e32 v0, v4
	v_ashrrev_i32_e32 v0, 31, v0
	v_xor_b32_e32 v4, s21, v0
	v_xor_b32_e32 v0, s20, v0
	v_and_b32_e32 v1, v1, v26
	v_and_b32_e32 v0, v25, v0
	;; [unrolled: 1-line block ×3, first 2 shown]
	v_mbcnt_lo_u32_b32 v4, v0, 0
	v_mbcnt_hi_u32_b32 v25, v1, v4
	v_cmp_ne_u64_e64 s[20:21], 0, v[0:1]
	v_cmp_eq_u32_e64 s[22:23], 0, v25
	s_and_b64 s[22:23], s[20:21], s[22:23]
	; wave barrier
	s_and_saveexec_b64 s[20:21], s[22:23]
	s_cbranch_execz .LBB8_10
; %bb.9:                                ;   in Loop: Header=BB8_4 Depth=2
	v_bcnt_u32_b32 v0, v0, 0
	v_bcnt_u32_b32 v0, v1, v0
	s_waitcnt lgkmcnt(0)
	v_add_u32_e32 v0, v23, v0
	v_add_u32_e32 v1, v2, v24
	ds_write_b32 v1, v0 offset:8
.LBB8_10:                               ;   in Loop: Header=BB8_4 Depth=2
	s_or_b64 exec, exec, s[20:21]
	v_lshlrev_b32_e32 v0, s25, v13
	v_lshrrev_b32_e32 v0, 28, v0
	v_mad_u32_u24 v1, v0, 12, v2
	; wave barrier
	ds_read_b32 v26, v1 offset:8
	v_and_b32_e32 v1, 1, v0
	v_add_co_u32_e64 v4, s[20:21], -1, v1
	v_addc_co_u32_e64 v28, s[20:21], 0, -1, s[20:21]
	v_cmp_ne_u32_e64 s[20:21], 0, v1
	v_xor_b32_e32 v4, s20, v4
	v_xor_b32_e32 v1, s21, v28
	v_and_b32_e32 v28, exec_lo, v4
	v_lshlrev_b32_e32 v4, 30, v0
	v_cmp_gt_i64_e64 s[20:21], 0, v[3:4]
	v_not_b32_e32 v4, v4
	v_ashrrev_i32_e32 v4, 31, v4
	v_xor_b32_e32 v29, s21, v4
	v_xor_b32_e32 v4, s20, v4
	v_and_b32_e32 v28, v28, v4
	v_lshlrev_b32_e32 v4, 29, v0
	v_cmp_gt_i64_e64 s[20:21], 0, v[3:4]
	v_not_b32_e32 v4, v4
	v_and_b32_e32 v1, exec_hi, v1
	v_ashrrev_i32_e32 v4, 31, v4
	v_and_b32_e32 v1, v1, v29
	v_xor_b32_e32 v29, s21, v4
	v_xor_b32_e32 v4, s20, v4
	v_and_b32_e32 v28, v28, v4
	v_lshlrev_b32_e32 v4, 28, v0
	v_mul_u32_u24_e32 v27, 12, v0
	v_cmp_gt_i64_e64 s[20:21], 0, v[3:4]
	v_not_b32_e32 v0, v4
	v_ashrrev_i32_e32 v0, 31, v0
	v_xor_b32_e32 v4, s21, v0
	v_xor_b32_e32 v0, s20, v0
	v_and_b32_e32 v1, v1, v29
	v_and_b32_e32 v0, v28, v0
	v_and_b32_e32 v1, v1, v4
	v_mbcnt_lo_u32_b32 v4, v0, 0
	v_mbcnt_hi_u32_b32 v28, v1, v4
	v_cmp_ne_u64_e64 s[20:21], 0, v[0:1]
	v_cmp_eq_u32_e64 s[22:23], 0, v28
	s_and_b64 s[22:23], s[20:21], s[22:23]
	; wave barrier
	s_and_saveexec_b64 s[20:21], s[22:23]
	s_cbranch_execz .LBB8_12
; %bb.11:                               ;   in Loop: Header=BB8_4 Depth=2
	v_bcnt_u32_b32 v0, v0, 0
	v_bcnt_u32_b32 v0, v1, v0
	s_waitcnt lgkmcnt(0)
	v_add_u32_e32 v0, v26, v0
	v_add_u32_e32 v1, v2, v27
	ds_write_b32 v1, v0 offset:8
.LBB8_12:                               ;   in Loop: Header=BB8_4 Depth=2
	s_or_b64 exec, exec, s[20:21]
	v_lshlrev_b32_e32 v0, s25, v14
	v_lshrrev_b32_e32 v0, 28, v0
	v_mad_u32_u24 v1, v0, 12, v2
	; wave barrier
	ds_read_b32 v29, v1 offset:8
	v_and_b32_e32 v1, 1, v0
	v_add_co_u32_e64 v4, s[20:21], -1, v1
	v_addc_co_u32_e64 v31, s[20:21], 0, -1, s[20:21]
	v_cmp_ne_u32_e64 s[20:21], 0, v1
	v_xor_b32_e32 v4, s20, v4
	v_xor_b32_e32 v1, s21, v31
	v_and_b32_e32 v31, exec_lo, v4
	v_lshlrev_b32_e32 v4, 30, v0
	v_cmp_gt_i64_e64 s[20:21], 0, v[3:4]
	v_not_b32_e32 v4, v4
	v_ashrrev_i32_e32 v4, 31, v4
	v_xor_b32_e32 v32, s21, v4
	v_xor_b32_e32 v4, s20, v4
	v_and_b32_e32 v31, v31, v4
	v_lshlrev_b32_e32 v4, 29, v0
	v_cmp_gt_i64_e64 s[20:21], 0, v[3:4]
	v_not_b32_e32 v4, v4
	v_and_b32_e32 v1, exec_hi, v1
	v_ashrrev_i32_e32 v4, 31, v4
	v_and_b32_e32 v1, v1, v32
	v_xor_b32_e32 v32, s21, v4
	v_xor_b32_e32 v4, s20, v4
	v_and_b32_e32 v31, v31, v4
	v_lshlrev_b32_e32 v4, 28, v0
	v_mul_u32_u24_e32 v30, 12, v0
	v_cmp_gt_i64_e64 s[20:21], 0, v[3:4]
	v_not_b32_e32 v0, v4
	v_ashrrev_i32_e32 v0, 31, v0
	v_xor_b32_e32 v4, s21, v0
	v_xor_b32_e32 v0, s20, v0
	v_and_b32_e32 v1, v1, v32
	v_and_b32_e32 v0, v31, v0
	v_and_b32_e32 v1, v1, v4
	v_mbcnt_lo_u32_b32 v4, v0, 0
	v_mbcnt_hi_u32_b32 v31, v1, v4
	v_cmp_ne_u64_e64 s[20:21], 0, v[0:1]
	v_cmp_eq_u32_e64 s[22:23], 0, v31
	s_and_b64 s[22:23], s[20:21], s[22:23]
	; wave barrier
	s_and_saveexec_b64 s[20:21], s[22:23]
	s_cbranch_execz .LBB8_14
; %bb.13:                               ;   in Loop: Header=BB8_4 Depth=2
	v_bcnt_u32_b32 v0, v0, 0
	v_bcnt_u32_b32 v0, v1, v0
	s_waitcnt lgkmcnt(0)
	v_add_u32_e32 v0, v29, v0
	v_add_u32_e32 v1, v2, v30
	ds_write_b32 v1, v0 offset:8
.LBB8_14:                               ;   in Loop: Header=BB8_4 Depth=2
	;; [unrolled: 55-line block ×5, first 2 shown]
	s_or_b64 exec, exec, s[20:21]
	; wave barrier
	s_waitcnt lgkmcnt(0)
	s_barrier
	ds_read_b32 v0, v6 offset:8
	s_waitcnt lgkmcnt(0)
	s_nop 0
	v_mov_b32_dpp v1, v0 row_shr:1 row_mask:0xf bank_mask:0xf
	v_cndmask_b32_e64 v1, v1, 0, s[8:9]
	v_add_u32_e32 v0, v1, v0
	s_nop 1
	v_mov_b32_dpp v1, v0 row_shr:2 row_mask:0xf bank_mask:0xf
	v_cndmask_b32_e64 v1, 0, v1, s[10:11]
	v_add_u32_e32 v0, v0, v1
	;; [unrolled: 4-line block ×4, first 2 shown]
	s_nop 1
	v_mov_b32_dpp v1, v0 row_bcast:15 row_mask:0xf bank_mask:0xf
	v_cndmask_b32_e64 v1, v1, 0, s[16:17]
	v_add_u32_e32 v0, v0, v1
	s_nop 1
	v_mov_b32_dpp v1, v0 row_bcast:31 row_mask:0xf bank_mask:0xf
	v_cndmask_b32_e64 v1, 0, v1, s[2:3]
	v_add_u32_e32 v0, v0, v1
	s_and_saveexec_b64 s[20:21], s[4:5]
; %bb.21:                               ;   in Loop: Header=BB8_4 Depth=2
	ds_write_b32 v7, v0
; %bb.22:                               ;   in Loop: Header=BB8_4 Depth=2
	s_or_b64 exec, exec, s[20:21]
	s_waitcnt lgkmcnt(0)
	s_barrier
	s_and_saveexec_b64 s[20:21], vcc
	s_cbranch_execz .LBB8_24
; %bb.23:                               ;   in Loop: Header=BB8_4 Depth=2
	ds_read_b32 v1, v6
	s_waitcnt lgkmcnt(0)
	s_nop 0
	v_mov_b32_dpp v40, v1 row_shr:1 row_mask:0xf bank_mask:0xf
	v_cndmask_b32_e64 v40, v40, 0, s[18:19]
	v_add_u32_e32 v1, v40, v1
	ds_write_b32 v6, v1
.LBB8_24:                               ;   in Loop: Header=BB8_4 Depth=2
	s_or_b64 exec, exec, s[20:21]
	v_mov_b32_e32 v1, 0
	s_waitcnt lgkmcnt(0)
	s_barrier
	s_and_saveexec_b64 s[20:21], s[0:1]
	s_cbranch_execz .LBB8_3
; %bb.25:                               ;   in Loop: Header=BB8_4 Depth=2
	ds_read_b32 v1, v8
	s_branch .LBB8_3
.LBB8_26:
	v_add_u32_e32 v0, v2, v24
	v_add_u32_e32 v1, v2, v21
	;; [unrolled: 1-line block ×3, first 2 shown]
	ds_read_b32 v1, v1 offset:8
	ds_read_b32 v3, v3 offset:8
	;; [unrolled: 1-line block ×3, first 2 shown]
	v_add_u32_e32 v9, v2, v33
	s_add_u32 s0, s26, s28
	s_addc_u32 s1, s27, s29
	s_waitcnt lgkmcnt(2)
	v_add3_u32 v7, v22, v20, v1
	v_add_u32_e32 v1, v2, v27
	s_waitcnt lgkmcnt(0)
	v_add3_u32 v8, v25, v23, v0
	v_add_u32_e32 v6, v3, v19
	v_add_u32_e32 v0, v2, v39
	;; [unrolled: 1-line block ×4, first 2 shown]
	ds_read_b32 v1, v1 offset:8
	ds_read_b32 v2, v2 offset:8
	;; [unrolled: 1-line block ×5, first 2 shown]
	s_waitcnt lgkmcnt(3)
	v_add3_u32 v0, v31, v29, v2
	v_add3_u32 v9, v28, v26, v1
	s_waitcnt lgkmcnt(1)
	v_add3_u32 v2, v37, v35, v3
	s_waitcnt lgkmcnt(0)
	v_add3_u32 v3, v4, v38, v11
	v_lshlrev_b32_e32 v4, 2, v5
	v_add3_u32 v1, v34, v32, v10
	global_store_dwordx4 v4, v[6:9], s[0:1]
	global_store_dwordx4 v4, v[0:3], s[0:1] offset:16
	s_endpgm
	.section	.rodata,"a",@progbits
	.p2align	6, 0x0
	.amdhsa_kernel _Z11rank_kernelIiLj4ELb0EL18RadixRankAlgorithm2ELj128ELj8ELj10EEvPKT_Pi
		.amdhsa_group_segment_fixed_size 520
		.amdhsa_private_segment_fixed_size 0
		.amdhsa_kernarg_size 272
		.amdhsa_user_sgpr_count 6
		.amdhsa_user_sgpr_private_segment_buffer 1
		.amdhsa_user_sgpr_dispatch_ptr 0
		.amdhsa_user_sgpr_queue_ptr 0
		.amdhsa_user_sgpr_kernarg_segment_ptr 1
		.amdhsa_user_sgpr_dispatch_id 0
		.amdhsa_user_sgpr_flat_scratch_init 0
		.amdhsa_user_sgpr_private_segment_size 0
		.amdhsa_uses_dynamic_stack 0
		.amdhsa_system_sgpr_private_segment_wavefront_offset 0
		.amdhsa_system_sgpr_workgroup_id_x 1
		.amdhsa_system_sgpr_workgroup_id_y 0
		.amdhsa_system_sgpr_workgroup_id_z 0
		.amdhsa_system_sgpr_workgroup_info 0
		.amdhsa_system_vgpr_workitem_id 2
		.amdhsa_next_free_vgpr 42
		.amdhsa_next_free_sgpr 32
		.amdhsa_reserve_vcc 1
		.amdhsa_reserve_flat_scratch 0
		.amdhsa_float_round_mode_32 0
		.amdhsa_float_round_mode_16_64 0
		.amdhsa_float_denorm_mode_32 3
		.amdhsa_float_denorm_mode_16_64 3
		.amdhsa_dx10_clamp 1
		.amdhsa_ieee_mode 1
		.amdhsa_fp16_overflow 0
		.amdhsa_exception_fp_ieee_invalid_op 0
		.amdhsa_exception_fp_denorm_src 0
		.amdhsa_exception_fp_ieee_div_zero 0
		.amdhsa_exception_fp_ieee_overflow 0
		.amdhsa_exception_fp_ieee_underflow 0
		.amdhsa_exception_fp_ieee_inexact 0
		.amdhsa_exception_int_div_zero 0
	.end_amdhsa_kernel
	.section	.text._Z11rank_kernelIiLj4ELb0EL18RadixRankAlgorithm2ELj128ELj8ELj10EEvPKT_Pi,"axG",@progbits,_Z11rank_kernelIiLj4ELb0EL18RadixRankAlgorithm2ELj128ELj8ELj10EEvPKT_Pi,comdat
.Lfunc_end8:
	.size	_Z11rank_kernelIiLj4ELb0EL18RadixRankAlgorithm2ELj128ELj8ELj10EEvPKT_Pi, .Lfunc_end8-_Z11rank_kernelIiLj4ELb0EL18RadixRankAlgorithm2ELj128ELj8ELj10EEvPKT_Pi
                                        ; -- End function
	.set _Z11rank_kernelIiLj4ELb0EL18RadixRankAlgorithm2ELj128ELj8ELj10EEvPKT_Pi.num_vgpr, 42
	.set _Z11rank_kernelIiLj4ELb0EL18RadixRankAlgorithm2ELj128ELj8ELj10EEvPKT_Pi.num_agpr, 0
	.set _Z11rank_kernelIiLj4ELb0EL18RadixRankAlgorithm2ELj128ELj8ELj10EEvPKT_Pi.numbered_sgpr, 32
	.set _Z11rank_kernelIiLj4ELb0EL18RadixRankAlgorithm2ELj128ELj8ELj10EEvPKT_Pi.num_named_barrier, 0
	.set _Z11rank_kernelIiLj4ELb0EL18RadixRankAlgorithm2ELj128ELj8ELj10EEvPKT_Pi.private_seg_size, 0
	.set _Z11rank_kernelIiLj4ELb0EL18RadixRankAlgorithm2ELj128ELj8ELj10EEvPKT_Pi.uses_vcc, 1
	.set _Z11rank_kernelIiLj4ELb0EL18RadixRankAlgorithm2ELj128ELj8ELj10EEvPKT_Pi.uses_flat_scratch, 0
	.set _Z11rank_kernelIiLj4ELb0EL18RadixRankAlgorithm2ELj128ELj8ELj10EEvPKT_Pi.has_dyn_sized_stack, 0
	.set _Z11rank_kernelIiLj4ELb0EL18RadixRankAlgorithm2ELj128ELj8ELj10EEvPKT_Pi.has_recursion, 0
	.set _Z11rank_kernelIiLj4ELb0EL18RadixRankAlgorithm2ELj128ELj8ELj10EEvPKT_Pi.has_indirect_call, 0
	.section	.AMDGPU.csdata,"",@progbits
; Kernel info:
; codeLenInByte = 3012
; TotalNumSgprs: 36
; NumVgprs: 42
; ScratchSize: 0
; MemoryBound: 0
; FloatMode: 240
; IeeeMode: 1
; LDSByteSize: 520 bytes/workgroup (compile time only)
; SGPRBlocks: 4
; VGPRBlocks: 10
; NumSGPRsForWavesPerEU: 36
; NumVGPRsForWavesPerEU: 42
; Occupancy: 5
; WaveLimiterHint : 0
; COMPUTE_PGM_RSRC2:SCRATCH_EN: 0
; COMPUTE_PGM_RSRC2:USER_SGPR: 6
; COMPUTE_PGM_RSRC2:TRAP_HANDLER: 0
; COMPUTE_PGM_RSRC2:TGID_X_EN: 1
; COMPUTE_PGM_RSRC2:TGID_Y_EN: 0
; COMPUTE_PGM_RSRC2:TGID_Z_EN: 0
; COMPUTE_PGM_RSRC2:TIDIG_COMP_CNT: 2
	.section	.text._Z11rank_kernelIiLj4ELb0EL18RadixRankAlgorithm0ELj128ELj16ELj10EEvPKT_Pi,"axG",@progbits,_Z11rank_kernelIiLj4ELb0EL18RadixRankAlgorithm0ELj128ELj16ELj10EEvPKT_Pi,comdat
	.protected	_Z11rank_kernelIiLj4ELb0EL18RadixRankAlgorithm0ELj128ELj16ELj10EEvPKT_Pi ; -- Begin function _Z11rank_kernelIiLj4ELb0EL18RadixRankAlgorithm0ELj128ELj16ELj10EEvPKT_Pi
	.globl	_Z11rank_kernelIiLj4ELb0EL18RadixRankAlgorithm0ELj128ELj16ELj10EEvPKT_Pi
	.p2align	8
	.type	_Z11rank_kernelIiLj4ELb0EL18RadixRankAlgorithm0ELj128ELj16ELj10EEvPKT_Pi,@function
_Z11rank_kernelIiLj4ELb0EL18RadixRankAlgorithm0ELj128ELj16ELj10EEvPKT_Pi: ; @_Z11rank_kernelIiLj4ELb0EL18RadixRankAlgorithm0ELj128ELj16ELj10EEvPKT_Pi
; %bb.0:
	s_load_dwordx4 s[20:23], s[4:5], 0x0
	s_lshl_b32 s26, s6, 11
	s_mov_b32 s27, 0
	s_lshl_b64 s[24:25], s[26:27], 2
	v_lshlrev_b32_e32 v1, 6, v0
	s_waitcnt lgkmcnt(0)
	s_add_u32 s0, s20, s24
	s_addc_u32 s1, s21, s25
	global_load_dwordx4 v[8:11], v1, s[0:1]
	global_load_dwordx4 v[13:16], v1, s[0:1] offset:16
	global_load_dwordx4 v[17:20], v1, s[0:1] offset:32
	global_load_dwordx4 v[22:25], v1, s[0:1] offset:48
	v_mbcnt_lo_u32_b32 v4, -1, 0
	v_mbcnt_hi_u32_b32 v7, -1, v4
	v_subrev_co_u32_e64 v28, s[6:7], 1, v7
	v_and_b32_e32 v29, 64, v7
	v_or_b32_e32 v6, 63, v0
	v_lshrrev_b32_e32 v12, 4, v0
	v_cmp_lt_i32_e64 s[18:19], v28, v29
	v_lshlrev_b32_e32 v3, 5, v0
	v_mul_i32_i24_e32 v26, 0xffffffe4, v0
	v_and_b32_e32 v21, 15, v7
	v_and_b32_e32 v27, 16, v7
	v_cmp_lt_u32_e64 s[2:3], 31, v7
	v_cmp_eq_u32_e64 s[4:5], v0, v6
	v_and_b32_e32 v6, 4, v12
	v_and_b32_e32 v12, 1, v7
	v_cndmask_b32_e64 v7, v28, v7, s[18:19]
	v_mov_b32_e32 v2, 0
	s_movk_i32 s26, 0x37f
	s_movk_i32 s30, 0x380
	v_lshlrev_b32_e32 v1, 4, v0
	v_cmp_gt_u32_e32 vcc, 2, v0
	v_cmp_lt_u32_e64 s[0:1], 63, v0
	v_lshlrev_b32_e32 v4, 2, v0
	v_or_b32_e32 v5, 0xffffff80, v0
	v_cmp_eq_u32_e64 s[8:9], 0, v21
	v_cmp_lt_u32_e64 s[10:11], 1, v21
	v_cmp_lt_u32_e64 s[12:13], 3, v21
	;; [unrolled: 1-line block ×3, first 2 shown]
	v_cmp_eq_u32_e64 s[16:17], 0, v27
	v_cmp_eq_u32_e64 s[18:19], 0, v12
	v_lshlrev_b32_e32 v7, 2, v7
	v_add_u32_e32 v26, v3, v26
	s_waitcnt vmcnt(3)
	v_xor_b32_e32 v8, 0x80000000, v8
	v_xor_b32_e32 v9, 0x80000000, v9
	v_xor_b32_e32 v10, 0x80000000, v10
	v_xor_b32_e32 v11, 0x80000000, v11
	s_waitcnt vmcnt(2)
	v_xor_b32_e32 v12, 0x80000000, v13
	v_xor_b32_e32 v14, 0x80000000, v14
	v_xor_b32_e32 v15, 0x80000000, v15
	v_xor_b32_e32 v16, 0x80000000, v16
	;; [unrolled: 5-line block ×4, first 2 shown]
	s_branch .LBB9_2
.LBB9_1:                                ;   in Loop: Header=BB9_2 Depth=1
	s_add_i32 s27, s27, 1
	s_cmp_eq_u32 s27, 10
	s_cbranch_scc1 .LBB9_12
.LBB9_2:                                ; =>This Loop Header: Depth=1
                                        ;     Child Loop BB9_4 Depth 2
                                        ;       Child Loop BB9_5 Depth 3
	s_mov_b32 s31, 0
	s_branch .LBB9_4
.LBB9_3:                                ;   in Loop: Header=BB9_4 Depth=2
	s_or_b64 exec, exec, s[20:21]
	s_waitcnt lgkmcnt(0)
	v_add_u32_e32 v57, v58, v57
	ds_bpermute_b32 v57, v7, v57
	s_add_i32 s20, s31, 4
	s_cmp_lt_u32 s31, 28
	s_mov_b32 s31, s20
	s_waitcnt lgkmcnt(0)
	v_cndmask_b32_e64 v57, v57, v58, s[6:7]
	ds_read_b32 v58, v2 offset:4100
	s_waitcnt lgkmcnt(0)
	v_lshl_add_u32 v61, v58, 16, v57
	ds_read2_b64 v[57:60], v3 offset1:1
	s_waitcnt lgkmcnt(0)
	v_add_u32_e32 v62, v61, v57
	v_add_u32_e32 v57, v58, v62
	;; [unrolled: 1-line block ×3, first 2 shown]
	ds_write2_b64 v3, v[61:62], v[57:58] offset1:1
	v_add_u32_e32 v57, v60, v58
	ds_read_b64 v[58:59], v3 offset:16
	ds_read_b32 v60, v3 offset:24
	s_waitcnt lgkmcnt(1)
	v_add_u32_e32 v58, v58, v57
	v_add_u32_e32 v59, v59, v58
	s_waitcnt lgkmcnt(0)
	v_add_u32_e32 v60, v60, v59
	ds_write2_b64 v3, v[57:58], v[59:60] offset0:2 offset1:3
	s_waitcnt lgkmcnt(0)
	s_barrier
	s_cbranch_scc0 .LBB9_1
.LBB9_4:                                ;   Parent Loop BB9_2 Depth=1
                                        ; =>  This Loop Header: Depth=2
                                        ;       Child Loop BB9_5 Depth 3
	s_mov_b64 s[28:29], 0
	v_mov_b32_e32 v13, v5
	v_mov_b32_e32 v22, v4
.LBB9_5:                                ;   Parent Loop BB9_2 Depth=1
                                        ;     Parent Loop BB9_4 Depth=2
                                        ; =>    This Inner Loop Header: Depth=3
	v_add_u32_e32 v13, 0x80, v13
	v_cmp_lt_u32_e64 s[20:21], s26, v13
	ds_write_b32 v22, v2
	s_or_b64 s[28:29], s[20:21], s[28:29]
	v_add_u32_e32 v22, 0x200, v22
	s_andn2_b64 exec, exec, s[28:29]
	s_cbranch_execnz .LBB9_5
; %bb.6:                                ;   in Loop: Header=BB9_4 Depth=2
	s_or_b64 exec, exec, s[28:29]
	s_sub_i32 s20, 28, s31
	v_lshlrev_b32_e32 v13, s20, v8
	v_lshrrev_b32_e32 v22, 21, v13
	v_and_or_b32 v22, v22, s30, v0
	v_alignbit_b32 v13, v22, v13, 31
	v_lshlrev_b32_e32 v22, 1, v13
	ds_read_u16 v13, v22
	v_lshlrev_b32_e32 v27, s20, v9
	v_lshrrev_b32_e32 v28, 21, v27
	v_and_or_b32 v28, v28, s30, v0
	v_alignbit_b32 v27, v28, v27, 31
	s_waitcnt lgkmcnt(0)
	v_add_u16_e32 v28, 1, v13
	ds_write_b16 v22, v28
	v_lshlrev_b32_e32 v28, 1, v27
	ds_read_u16 v27, v28
	v_lshlrev_b32_e32 v29, s20, v10
	v_lshrrev_b32_e32 v30, 21, v29
	v_and_or_b32 v30, v30, s30, v0
	v_alignbit_b32 v29, v30, v29, 31
	s_waitcnt lgkmcnt(0)
	v_add_u16_e32 v31, 1, v27
	ds_write_b16 v28, v31
	;; [unrolled: 9-line block ×3, first 2 shown]
	v_lshlrev_b32_e32 v32, 1, v31
	ds_read_u16 v31, v32
	v_lshlrev_b32_e32 v33, s20, v12
	s_waitcnt lgkmcnt(0)
	v_add_u16_e32 v34, 1, v31
	ds_write_b16 v32, v34
	v_lshrrev_b32_e32 v34, 21, v33
	v_and_or_b32 v34, v34, s30, v0
	v_alignbit_b32 v33, v34, v33, 31
	v_lshlrev_b32_e32 v34, 1, v33
	ds_read_u16 v33, v34
	s_waitcnt lgkmcnt(0)
	v_add_u16_e32 v35, 1, v33
	ds_write_b16 v34, v35
	v_lshlrev_b32_e32 v35, s20, v14
	v_lshrrev_b32_e32 v36, 21, v35
	v_and_or_b32 v36, v36, s30, v0
	v_alignbit_b32 v35, v36, v35, 31
	v_lshlrev_b32_e32 v36, 1, v35
	ds_read_u16 v35, v36
	s_waitcnt lgkmcnt(0)
	v_add_u16_e32 v37, 1, v35
	ds_write_b16 v36, v37
	v_lshlrev_b32_e32 v37, s20, v15
	;; [unrolled: 9-line block ×11, first 2 shown]
	v_lshrrev_b32_e32 v56, 21, v54
	v_and_or_b32 v56, v56, s30, v0
	v_alignbit_b32 v54, v56, v54, 31
	v_lshlrev_b32_e32 v56, 1, v54
	ds_read_u16 v54, v56
	s_waitcnt lgkmcnt(0)
	v_add_u16_e32 v57, 1, v54
	ds_write_b16 v56, v57
	s_waitcnt lgkmcnt(0)
	s_barrier
	ds_read2_b64 v[57:60], v3 offset1:1
	s_waitcnt lgkmcnt(0)
	v_add_u32_e32 v57, v58, v57
	v_add3_u32 v61, v57, v59, v60
	ds_read2_b64 v[57:60], v3 offset0:2 offset1:3
	s_waitcnt lgkmcnt(0)
	v_add3_u32 v57, v61, v57, v58
	v_add3_u32 v57, v57, v59, v60
	s_nop 1
	v_mov_b32_dpp v58, v57 row_shr:1 row_mask:0xf bank_mask:0xf
	v_cndmask_b32_e64 v58, v58, 0, s[8:9]
	v_add_u32_e32 v57, v58, v57
	s_nop 1
	v_mov_b32_dpp v58, v57 row_shr:2 row_mask:0xf bank_mask:0xf
	v_cndmask_b32_e64 v58, 0, v58, s[10:11]
	v_add_u32_e32 v57, v57, v58
	;; [unrolled: 4-line block ×4, first 2 shown]
	s_nop 1
	v_mov_b32_dpp v58, v57 row_bcast:15 row_mask:0xf bank_mask:0xf
	v_cndmask_b32_e64 v58, v58, 0, s[16:17]
	v_add_u32_e32 v57, v57, v58
	s_nop 1
	v_mov_b32_dpp v58, v57 row_bcast:31 row_mask:0xf bank_mask:0xf
	v_cndmask_b32_e64 v58, 0, v58, s[2:3]
	v_add_u32_e32 v57, v57, v58
	s_and_saveexec_b64 s[20:21], s[4:5]
; %bb.7:                                ;   in Loop: Header=BB9_4 Depth=2
	ds_write_b32 v6, v57 offset:4096
; %bb.8:                                ;   in Loop: Header=BB9_4 Depth=2
	s_or_b64 exec, exec, s[20:21]
	s_waitcnt lgkmcnt(0)
	s_barrier
	s_and_saveexec_b64 s[20:21], vcc
	s_cbranch_execz .LBB9_10
; %bb.9:                                ;   in Loop: Header=BB9_4 Depth=2
	ds_read_b32 v58, v26 offset:4096
	s_waitcnt lgkmcnt(0)
	s_nop 0
	v_mov_b32_dpp v59, v58 row_shr:1 row_mask:0xf bank_mask:0xf
	v_cndmask_b32_e64 v59, v59, 0, s[18:19]
	v_add_u32_e32 v58, v59, v58
	ds_write_b32 v26, v58 offset:4096
.LBB9_10:                               ;   in Loop: Header=BB9_4 Depth=2
	s_or_b64 exec, exec, s[20:21]
	v_mov_b32_e32 v58, 0
	s_waitcnt lgkmcnt(0)
	s_barrier
	s_and_saveexec_b64 s[20:21], s[0:1]
	s_cbranch_execz .LBB9_3
; %bb.11:                               ;   in Loop: Header=BB9_4 Depth=2
	ds_read_b32 v58, v6 offset:4092
	s_branch .LBB9_3
.LBB9_12:
	ds_read_u16 v0, v56
	ds_read_u16 v2, v55
	;; [unrolled: 1-line block ×3, first 2 shown]
	s_add_u32 s0, s22, s24
	s_addc_u32 s1, s23, s25
	s_waitcnt lgkmcnt(2)
	v_add_u32_sdwa v5, v0, v54 dst_sel:DWORD dst_unused:UNUSED_PAD src0_sel:DWORD src1_sel:WORD_0
	ds_read_u16 v0, v50
	ds_read_u16 v6, v48
	;; [unrolled: 1-line block ×4, first 2 shown]
	s_waitcnt lgkmcnt(5)
	v_add_u32_sdwa v4, v2, v52 dst_sel:DWORD dst_unused:UNUSED_PAD src0_sel:DWORD src1_sel:WORD_0
	s_waitcnt lgkmcnt(3)
	v_add_u32_sdwa v2, v0, v49 dst_sel:DWORD dst_unused:UNUSED_PAD src0_sel:DWORD src1_sel:WORD_0
	ds_read_u16 v0, v42
	s_waitcnt lgkmcnt(2)
	v_add_u32_sdwa v8, v7, v45 dst_sel:DWORD dst_unused:UNUSED_PAD src0_sel:DWORD src1_sel:WORD_0
	s_waitcnt lgkmcnt(1)
	v_add_u32_sdwa v7, v10, v43 dst_sel:DWORD dst_unused:UNUSED_PAD src0_sel:DWORD src1_sel:WORD_0
	ds_read_u16 v10, v40
	ds_read_u16 v11, v38
	;; [unrolled: 1-line block ×8, first 2 shown]
	v_add_u32_sdwa v9, v6, v47 dst_sel:DWORD dst_unused:UNUSED_PAD src0_sel:DWORD src1_sel:WORD_0
	s_waitcnt lgkmcnt(8)
	v_add_u32_sdwa v6, v0, v41 dst_sel:DWORD dst_unused:UNUSED_PAD src0_sel:DWORD src1_sel:WORD_0
	s_waitcnt lgkmcnt(3)
	;; [unrolled: 2-line block ×5, first 2 shown]
	v_add_u32_sdwa v18, v22, v13 dst_sel:DWORD dst_unused:UNUSED_PAD src0_sel:DWORD src1_sel:WORD_0
	v_lshlrev_b32_e32 v0, 2, v1
	v_add_u32_sdwa v3, v3, v51 dst_sel:DWORD dst_unused:UNUSED_PAD src0_sel:DWORD src1_sel:WORD_0
	v_add_u32_sdwa v17, v10, v39 dst_sel:DWORD dst_unused:UNUSED_PAD src0_sel:DWORD src1_sel:WORD_0
	;; [unrolled: 1-line block ×5, first 2 shown]
	global_store_dwordx4 v0, v[18:21], s[0:1]
	global_store_dwordx4 v0, v[14:17], s[0:1] offset:16
	global_store_dwordx4 v0, v[6:9], s[0:1] offset:32
	;; [unrolled: 1-line block ×3, first 2 shown]
	s_endpgm
	.section	.rodata,"a",@progbits
	.p2align	6, 0x0
	.amdhsa_kernel _Z11rank_kernelIiLj4ELb0EL18RadixRankAlgorithm0ELj128ELj16ELj10EEvPKT_Pi
		.amdhsa_group_segment_fixed_size 4104
		.amdhsa_private_segment_fixed_size 0
		.amdhsa_kernarg_size 16
		.amdhsa_user_sgpr_count 6
		.amdhsa_user_sgpr_private_segment_buffer 1
		.amdhsa_user_sgpr_dispatch_ptr 0
		.amdhsa_user_sgpr_queue_ptr 0
		.amdhsa_user_sgpr_kernarg_segment_ptr 1
		.amdhsa_user_sgpr_dispatch_id 0
		.amdhsa_user_sgpr_flat_scratch_init 0
		.amdhsa_user_sgpr_private_segment_size 0
		.amdhsa_uses_dynamic_stack 0
		.amdhsa_system_sgpr_private_segment_wavefront_offset 0
		.amdhsa_system_sgpr_workgroup_id_x 1
		.amdhsa_system_sgpr_workgroup_id_y 0
		.amdhsa_system_sgpr_workgroup_id_z 0
		.amdhsa_system_sgpr_workgroup_info 0
		.amdhsa_system_vgpr_workitem_id 0
		.amdhsa_next_free_vgpr 63
		.amdhsa_next_free_sgpr 61
		.amdhsa_reserve_vcc 1
		.amdhsa_reserve_flat_scratch 0
		.amdhsa_float_round_mode_32 0
		.amdhsa_float_round_mode_16_64 0
		.amdhsa_float_denorm_mode_32 3
		.amdhsa_float_denorm_mode_16_64 3
		.amdhsa_dx10_clamp 1
		.amdhsa_ieee_mode 1
		.amdhsa_fp16_overflow 0
		.amdhsa_exception_fp_ieee_invalid_op 0
		.amdhsa_exception_fp_denorm_src 0
		.amdhsa_exception_fp_ieee_div_zero 0
		.amdhsa_exception_fp_ieee_overflow 0
		.amdhsa_exception_fp_ieee_underflow 0
		.amdhsa_exception_fp_ieee_inexact 0
		.amdhsa_exception_int_div_zero 0
	.end_amdhsa_kernel
	.section	.text._Z11rank_kernelIiLj4ELb0EL18RadixRankAlgorithm0ELj128ELj16ELj10EEvPKT_Pi,"axG",@progbits,_Z11rank_kernelIiLj4ELb0EL18RadixRankAlgorithm0ELj128ELj16ELj10EEvPKT_Pi,comdat
.Lfunc_end9:
	.size	_Z11rank_kernelIiLj4ELb0EL18RadixRankAlgorithm0ELj128ELj16ELj10EEvPKT_Pi, .Lfunc_end9-_Z11rank_kernelIiLj4ELb0EL18RadixRankAlgorithm0ELj128ELj16ELj10EEvPKT_Pi
                                        ; -- End function
	.set _Z11rank_kernelIiLj4ELb0EL18RadixRankAlgorithm0ELj128ELj16ELj10EEvPKT_Pi.num_vgpr, 63
	.set _Z11rank_kernelIiLj4ELb0EL18RadixRankAlgorithm0ELj128ELj16ELj10EEvPKT_Pi.num_agpr, 0
	.set _Z11rank_kernelIiLj4ELb0EL18RadixRankAlgorithm0ELj128ELj16ELj10EEvPKT_Pi.numbered_sgpr, 32
	.set _Z11rank_kernelIiLj4ELb0EL18RadixRankAlgorithm0ELj128ELj16ELj10EEvPKT_Pi.num_named_barrier, 0
	.set _Z11rank_kernelIiLj4ELb0EL18RadixRankAlgorithm0ELj128ELj16ELj10EEvPKT_Pi.private_seg_size, 0
	.set _Z11rank_kernelIiLj4ELb0EL18RadixRankAlgorithm0ELj128ELj16ELj10EEvPKT_Pi.uses_vcc, 1
	.set _Z11rank_kernelIiLj4ELb0EL18RadixRankAlgorithm0ELj128ELj16ELj10EEvPKT_Pi.uses_flat_scratch, 0
	.set _Z11rank_kernelIiLj4ELb0EL18RadixRankAlgorithm0ELj128ELj16ELj10EEvPKT_Pi.has_dyn_sized_stack, 0
	.set _Z11rank_kernelIiLj4ELb0EL18RadixRankAlgorithm0ELj128ELj16ELj10EEvPKT_Pi.has_recursion, 0
	.set _Z11rank_kernelIiLj4ELb0EL18RadixRankAlgorithm0ELj128ELj16ELj10EEvPKT_Pi.has_indirect_call, 0
	.section	.AMDGPU.csdata,"",@progbits
; Kernel info:
; codeLenInByte = 2140
; TotalNumSgprs: 36
; NumVgprs: 63
; ScratchSize: 0
; MemoryBound: 0
; FloatMode: 240
; IeeeMode: 1
; LDSByteSize: 4104 bytes/workgroup (compile time only)
; SGPRBlocks: 8
; VGPRBlocks: 15
; NumSGPRsForWavesPerEU: 65
; NumVGPRsForWavesPerEU: 63
; Occupancy: 4
; WaveLimiterHint : 0
; COMPUTE_PGM_RSRC2:SCRATCH_EN: 0
; COMPUTE_PGM_RSRC2:USER_SGPR: 6
; COMPUTE_PGM_RSRC2:TRAP_HANDLER: 0
; COMPUTE_PGM_RSRC2:TGID_X_EN: 1
; COMPUTE_PGM_RSRC2:TGID_Y_EN: 0
; COMPUTE_PGM_RSRC2:TGID_Z_EN: 0
; COMPUTE_PGM_RSRC2:TIDIG_COMP_CNT: 0
	.section	.text._Z11rank_kernelIiLj4ELb0EL18RadixRankAlgorithm1ELj128ELj16ELj10EEvPKT_Pi,"axG",@progbits,_Z11rank_kernelIiLj4ELb0EL18RadixRankAlgorithm1ELj128ELj16ELj10EEvPKT_Pi,comdat
	.protected	_Z11rank_kernelIiLj4ELb0EL18RadixRankAlgorithm1ELj128ELj16ELj10EEvPKT_Pi ; -- Begin function _Z11rank_kernelIiLj4ELb0EL18RadixRankAlgorithm1ELj128ELj16ELj10EEvPKT_Pi
	.globl	_Z11rank_kernelIiLj4ELb0EL18RadixRankAlgorithm1ELj128ELj16ELj10EEvPKT_Pi
	.p2align	8
	.type	_Z11rank_kernelIiLj4ELb0EL18RadixRankAlgorithm1ELj128ELj16ELj10EEvPKT_Pi,@function
_Z11rank_kernelIiLj4ELb0EL18RadixRankAlgorithm1ELj128ELj16ELj10EEvPKT_Pi: ; @_Z11rank_kernelIiLj4ELb0EL18RadixRankAlgorithm1ELj128ELj16ELj10EEvPKT_Pi
; %bb.0:
	s_load_dwordx4 s[20:23], s[4:5], 0x0
	s_lshl_b32 s26, s6, 11
	s_mov_b32 s27, 0
	s_lshl_b64 s[24:25], s[26:27], 2
	v_lshlrev_b32_e32 v9, 6, v0
	s_waitcnt lgkmcnt(0)
	s_add_u32 s0, s20, s24
	s_addc_u32 s1, s21, s25
	global_load_dwordx4 v[1:4], v9, s[0:1]
	global_load_dwordx4 v[5:8], v9, s[0:1] offset:16
	global_load_dwordx4 v[25:28], v9, s[0:1] offset:32
	;; [unrolled: 1-line block ×3, first 2 shown]
	v_mbcnt_lo_u32_b32 v12, -1, 0
	v_mbcnt_hi_u32_b32 v15, -1, v12
	v_subrev_co_u32_e64 v19, s[6:7], 1, v15
	v_and_b32_e32 v20, 64, v15
	v_or_b32_e32 v14, 63, v0
	v_lshrrev_b32_e32 v16, 4, v0
	v_cmp_lt_i32_e64 s[18:19], v19, v20
	v_lshlrev_b32_e32 v11, 5, v0
	v_mul_i32_i24_e32 v21, 0xffffffe4, v0
	v_and_b32_e32 v17, 15, v15
	v_and_b32_e32 v18, 16, v15
	v_cmp_lt_u32_e64 s[2:3], 31, v15
	v_cmp_eq_u32_e64 s[4:5], v0, v14
	v_and_b32_e32 v14, 4, v16
	v_and_b32_e32 v16, 1, v15
	v_cndmask_b32_e64 v15, v19, v15, s[18:19]
	v_mov_b32_e32 v10, 0
	s_movk_i32 s26, 0x37f
	s_movk_i32 s30, 0x380
	v_lshlrev_b32_e32 v9, 4, v0
	v_cmp_gt_u32_e32 vcc, 2, v0
	v_cmp_lt_u32_e64 s[0:1], 63, v0
	v_lshlrev_b32_e32 v12, 2, v0
	v_or_b32_e32 v13, 0xffffff80, v0
	v_cmp_eq_u32_e64 s[8:9], 0, v17
	v_cmp_lt_u32_e64 s[10:11], 1, v17
	v_cmp_lt_u32_e64 s[12:13], 3, v17
	;; [unrolled: 1-line block ×3, first 2 shown]
	v_cmp_eq_u32_e64 s[16:17], 0, v18
	v_cmp_eq_u32_e64 s[18:19], 0, v16
	v_lshlrev_b32_e32 v15, 2, v15
	v_add_u32_e32 v35, v11, v21
	s_waitcnt vmcnt(3)
	v_xor_b32_e32 v16, 0x80000000, v1
	v_xor_b32_e32 v17, 0x80000000, v2
	v_xor_b32_e32 v18, 0x80000000, v3
	v_xor_b32_e32 v19, 0x80000000, v4
	s_waitcnt vmcnt(2)
	v_xor_b32_e32 v20, 0x80000000, v5
	v_xor_b32_e32 v22, 0x80000000, v6
	v_xor_b32_e32 v23, 0x80000000, v7
	v_xor_b32_e32 v24, 0x80000000, v8
	;; [unrolled: 5-line block ×4, first 2 shown]
	s_branch .LBB10_2
.LBB10_1:                               ;   in Loop: Header=BB10_2 Depth=1
	s_add_i32 s27, s27, 1
	s_cmp_eq_u32 s27, 10
	s_cbranch_scc1 .LBB10_12
.LBB10_2:                               ; =>This Loop Header: Depth=1
                                        ;     Child Loop BB10_4 Depth 2
                                        ;       Child Loop BB10_5 Depth 3
	s_mov_b32 s31, 0
	s_branch .LBB10_4
.LBB10_3:                               ;   in Loop: Header=BB10_4 Depth=2
	s_or_b64 exec, exec, s[20:21]
	s_waitcnt lgkmcnt(0)
	v_add_u32_e32 v4, v65, v4
	ds_bpermute_b32 v4, v15, v4
	ds_read_b32 v66, v10 offset:4100
	s_add_i32 s20, s31, 4
	s_cmp_lt_u32 s31, 28
	s_mov_b32 s31, s20
	s_waitcnt lgkmcnt(1)
	v_cndmask_b32_e64 v4, v4, v65, s[6:7]
	s_waitcnt lgkmcnt(0)
	v_lshl_add_u32 v4, v66, 16, v4
	v_add_u32_e32 v5, v4, v5
	v_add_u32_e32 v6, v5, v6
	;; [unrolled: 1-line block ×7, first 2 shown]
	ds_write2_b64 v11, v[4:5], v[6:7] offset1:1
	ds_write2_b64 v11, v[65:66], v[1:2] offset0:2 offset1:3
	s_waitcnt lgkmcnt(0)
	s_barrier
	s_cbranch_scc0 .LBB10_1
.LBB10_4:                               ;   Parent Loop BB10_2 Depth=1
                                        ; =>  This Loop Header: Depth=2
                                        ;       Child Loop BB10_5 Depth 3
	s_mov_b64 s[28:29], 0
	v_mov_b32_e32 v1, v13
	v_mov_b32_e32 v2, v12
.LBB10_5:                               ;   Parent Loop BB10_2 Depth=1
                                        ;     Parent Loop BB10_4 Depth=2
                                        ; =>    This Inner Loop Header: Depth=3
	v_add_u32_e32 v1, 0x80, v1
	v_cmp_lt_u32_e64 s[20:21], s26, v1
	ds_write_b32 v2, v10
	s_or_b64 s[28:29], s[20:21], s[28:29]
	v_add_u32_e32 v2, 0x200, v2
	s_andn2_b64 exec, exec, s[28:29]
	s_cbranch_execnz .LBB10_5
; %bb.6:                                ;   in Loop: Header=BB10_4 Depth=2
	s_or_b64 exec, exec, s[28:29]
	s_sub_i32 s20, 28, s31
	v_lshlrev_b32_e32 v1, s20, v16
	v_lshrrev_b32_e32 v2, 21, v1
	v_and_or_b32 v2, v2, s30, v0
	v_alignbit_b32 v1, v2, v1, 31
	v_lshlrev_b32_e32 v30, 1, v1
	ds_read_u16 v21, v30
	v_lshlrev_b32_e32 v1, s20, v17
	v_lshrrev_b32_e32 v2, 21, v1
	v_and_or_b32 v2, v2, s30, v0
	v_alignbit_b32 v1, v2, v1, 31
	s_waitcnt lgkmcnt(0)
	v_add_u16_e32 v2, 1, v21
	ds_write_b16 v30, v2
	v_lshlrev_b32_e32 v36, 1, v1
	ds_read_u16 v34, v36
	v_lshlrev_b32_e32 v1, s20, v18
	v_lshrrev_b32_e32 v2, 21, v1
	v_and_or_b32 v2, v2, s30, v0
	v_alignbit_b32 v1, v2, v1, 31
	s_waitcnt lgkmcnt(0)
	v_add_u16_e32 v3, 1, v34
	ds_write_b16 v36, v3
	;; [unrolled: 9-line block ×3, first 2 shown]
	v_lshlrev_b32_e32 v40, 1, v1
	ds_read_u16 v39, v40
	v_lshlrev_b32_e32 v1, s20, v20
	s_waitcnt lgkmcnt(0)
	v_add_u16_e32 v2, 1, v39
	ds_write_b16 v40, v2
	v_lshrrev_b32_e32 v2, 21, v1
	v_and_or_b32 v2, v2, s30, v0
	v_alignbit_b32 v1, v2, v1, 31
	v_lshlrev_b32_e32 v42, 1, v1
	ds_read_u16 v41, v42
	s_waitcnt lgkmcnt(0)
	v_add_u16_e32 v1, 1, v41
	ds_write_b16 v42, v1
	v_lshlrev_b32_e32 v1, s20, v22
	v_lshrrev_b32_e32 v2, 21, v1
	v_and_or_b32 v2, v2, s30, v0
	v_alignbit_b32 v1, v2, v1, 31
	v_lshlrev_b32_e32 v44, 1, v1
	ds_read_u16 v43, v44
	s_waitcnt lgkmcnt(0)
	v_add_u16_e32 v1, 1, v43
	ds_write_b16 v44, v1
	v_lshlrev_b32_e32 v1, s20, v23
	;; [unrolled: 9-line block ×11, first 2 shown]
	v_lshrrev_b32_e32 v2, 21, v1
	v_and_or_b32 v2, v2, s30, v0
	v_alignbit_b32 v1, v2, v1, 31
	v_lshlrev_b32_e32 v64, 1, v1
	ds_read_u16 v62, v64
	s_waitcnt lgkmcnt(0)
	v_add_u16_e32 v1, 1, v62
	ds_write_b16 v64, v1
	s_waitcnt lgkmcnt(0)
	s_barrier
	ds_read2_b64 v[5:8], v11 offset1:1
	ds_read2_b64 v[1:4], v11 offset0:2 offset1:3
	s_waitcnt lgkmcnt(1)
	v_add_u32_e32 v65, v6, v5
	v_add3_u32 v65, v65, v7, v8
	s_waitcnt lgkmcnt(0)
	v_add3_u32 v65, v65, v1, v2
	v_add3_u32 v4, v65, v3, v4
	s_nop 1
	v_mov_b32_dpp v65, v4 row_shr:1 row_mask:0xf bank_mask:0xf
	v_cndmask_b32_e64 v65, v65, 0, s[8:9]
	v_add_u32_e32 v4, v65, v4
	s_nop 1
	v_mov_b32_dpp v65, v4 row_shr:2 row_mask:0xf bank_mask:0xf
	v_cndmask_b32_e64 v65, 0, v65, s[10:11]
	v_add_u32_e32 v4, v4, v65
	;; [unrolled: 4-line block ×4, first 2 shown]
	s_nop 1
	v_mov_b32_dpp v65, v4 row_bcast:15 row_mask:0xf bank_mask:0xf
	v_cndmask_b32_e64 v65, v65, 0, s[16:17]
	v_add_u32_e32 v4, v4, v65
	s_nop 1
	v_mov_b32_dpp v65, v4 row_bcast:31 row_mask:0xf bank_mask:0xf
	v_cndmask_b32_e64 v65, 0, v65, s[2:3]
	v_add_u32_e32 v4, v4, v65
	s_and_saveexec_b64 s[20:21], s[4:5]
; %bb.7:                                ;   in Loop: Header=BB10_4 Depth=2
	ds_write_b32 v14, v4 offset:4096
; %bb.8:                                ;   in Loop: Header=BB10_4 Depth=2
	s_or_b64 exec, exec, s[20:21]
	s_waitcnt lgkmcnt(0)
	s_barrier
	s_and_saveexec_b64 s[20:21], vcc
	s_cbranch_execz .LBB10_10
; %bb.9:                                ;   in Loop: Header=BB10_4 Depth=2
	ds_read_b32 v65, v35 offset:4096
	s_waitcnt lgkmcnt(0)
	s_nop 0
	v_mov_b32_dpp v66, v65 row_shr:1 row_mask:0xf bank_mask:0xf
	v_cndmask_b32_e64 v66, v66, 0, s[18:19]
	v_add_u32_e32 v65, v66, v65
	ds_write_b32 v35, v65 offset:4096
.LBB10_10:                              ;   in Loop: Header=BB10_4 Depth=2
	s_or_b64 exec, exec, s[20:21]
	v_mov_b32_e32 v65, 0
	s_waitcnt lgkmcnt(0)
	s_barrier
	s_and_saveexec_b64 s[20:21], s[0:1]
	s_cbranch_execz .LBB10_3
; %bb.11:                               ;   in Loop: Header=BB10_4 Depth=2
	ds_read_b32 v65, v14 offset:4092
	s_branch .LBB10_3
.LBB10_12:
	ds_read_u16 v0, v64
	ds_read_u16 v1, v63
	;; [unrolled: 1-line block ×3, first 2 shown]
	s_add_u32 s0, s22, s24
	s_addc_u32 s1, s23, s25
	s_waitcnt lgkmcnt(2)
	v_add_u32_sdwa v3, v0, v62 dst_sel:DWORD dst_unused:UNUSED_PAD src0_sel:DWORD src1_sel:WORD_0
	s_waitcnt lgkmcnt(1)
	v_add_u32_sdwa v2, v1, v60 dst_sel:DWORD dst_unused:UNUSED_PAD src0_sel:DWORD src1_sel:WORD_0
	ds_read_u16 v0, v58
	ds_read_u16 v5, v56
	;; [unrolled: 1-line block ×3, first 2 shown]
	s_waitcnt lgkmcnt(3)
	v_add_u32_sdwa v1, v4, v59 dst_sel:DWORD dst_unused:UNUSED_PAD src0_sel:DWORD src1_sel:WORD_0
	ds_read_u16 v4, v52
	ds_read_u16 v8, v50
	;; [unrolled: 1-line block ×10, first 2 shown]
	s_waitcnt lgkmcnt(11)
	v_add_u32_sdwa v7, v5, v55 dst_sel:DWORD dst_unused:UNUSED_PAD src0_sel:DWORD src1_sel:WORD_0
	s_waitcnt lgkmcnt(7)
	v_add_u32_sdwa v13, v10, v47 dst_sel:DWORD dst_unused:UNUSED_PAD src0_sel:DWORD src1_sel:WORD_0
	v_add_u32_sdwa v5, v4, v51 dst_sel:DWORD dst_unused:UNUSED_PAD src0_sel:DWORD src1_sel:WORD_0
	;; [unrolled: 1-line block ×3, first 2 shown]
	s_waitcnt lgkmcnt(6)
	v_add_u32_sdwa v12, v11, v45 dst_sel:DWORD dst_unused:UNUSED_PAD src0_sel:DWORD src1_sel:WORD_0
	s_waitcnt lgkmcnt(5)
	v_add_u32_sdwa v11, v14, v43 dst_sel:DWORD dst_unused:UNUSED_PAD src0_sel:DWORD src1_sel:WORD_0
	;; [unrolled: 2-line block ×7, first 2 shown]
	v_lshlrev_b32_e32 v8, 2, v9
	v_add_u32_sdwa v0, v0, v57 dst_sel:DWORD dst_unused:UNUSED_PAD src0_sel:DWORD src1_sel:WORD_0
	v_add_u32_sdwa v6, v6, v53 dst_sel:DWORD dst_unused:UNUSED_PAD src0_sel:DWORD src1_sel:WORD_0
	global_store_dwordx4 v8, v[14:17], s[0:1]
	global_store_dwordx4 v8, v[10:13], s[0:1] offset:16
	global_store_dwordx4 v8, v[4:7], s[0:1] offset:32
	;; [unrolled: 1-line block ×3, first 2 shown]
	s_endpgm
	.section	.rodata,"a",@progbits
	.p2align	6, 0x0
	.amdhsa_kernel _Z11rank_kernelIiLj4ELb0EL18RadixRankAlgorithm1ELj128ELj16ELj10EEvPKT_Pi
		.amdhsa_group_segment_fixed_size 4104
		.amdhsa_private_segment_fixed_size 0
		.amdhsa_kernarg_size 16
		.amdhsa_user_sgpr_count 6
		.amdhsa_user_sgpr_private_segment_buffer 1
		.amdhsa_user_sgpr_dispatch_ptr 0
		.amdhsa_user_sgpr_queue_ptr 0
		.amdhsa_user_sgpr_kernarg_segment_ptr 1
		.amdhsa_user_sgpr_dispatch_id 0
		.amdhsa_user_sgpr_flat_scratch_init 0
		.amdhsa_user_sgpr_private_segment_size 0
		.amdhsa_uses_dynamic_stack 0
		.amdhsa_system_sgpr_private_segment_wavefront_offset 0
		.amdhsa_system_sgpr_workgroup_id_x 1
		.amdhsa_system_sgpr_workgroup_id_y 0
		.amdhsa_system_sgpr_workgroup_id_z 0
		.amdhsa_system_sgpr_workgroup_info 0
		.amdhsa_system_vgpr_workitem_id 0
		.amdhsa_next_free_vgpr 67
		.amdhsa_next_free_sgpr 61
		.amdhsa_reserve_vcc 1
		.amdhsa_reserve_flat_scratch 0
		.amdhsa_float_round_mode_32 0
		.amdhsa_float_round_mode_16_64 0
		.amdhsa_float_denorm_mode_32 3
		.amdhsa_float_denorm_mode_16_64 3
		.amdhsa_dx10_clamp 1
		.amdhsa_ieee_mode 1
		.amdhsa_fp16_overflow 0
		.amdhsa_exception_fp_ieee_invalid_op 0
		.amdhsa_exception_fp_denorm_src 0
		.amdhsa_exception_fp_ieee_div_zero 0
		.amdhsa_exception_fp_ieee_overflow 0
		.amdhsa_exception_fp_ieee_underflow 0
		.amdhsa_exception_fp_ieee_inexact 0
		.amdhsa_exception_int_div_zero 0
	.end_amdhsa_kernel
	.section	.text._Z11rank_kernelIiLj4ELb0EL18RadixRankAlgorithm1ELj128ELj16ELj10EEvPKT_Pi,"axG",@progbits,_Z11rank_kernelIiLj4ELb0EL18RadixRankAlgorithm1ELj128ELj16ELj10EEvPKT_Pi,comdat
.Lfunc_end10:
	.size	_Z11rank_kernelIiLj4ELb0EL18RadixRankAlgorithm1ELj128ELj16ELj10EEvPKT_Pi, .Lfunc_end10-_Z11rank_kernelIiLj4ELb0EL18RadixRankAlgorithm1ELj128ELj16ELj10EEvPKT_Pi
                                        ; -- End function
	.set _Z11rank_kernelIiLj4ELb0EL18RadixRankAlgorithm1ELj128ELj16ELj10EEvPKT_Pi.num_vgpr, 67
	.set _Z11rank_kernelIiLj4ELb0EL18RadixRankAlgorithm1ELj128ELj16ELj10EEvPKT_Pi.num_agpr, 0
	.set _Z11rank_kernelIiLj4ELb0EL18RadixRankAlgorithm1ELj128ELj16ELj10EEvPKT_Pi.numbered_sgpr, 32
	.set _Z11rank_kernelIiLj4ELb0EL18RadixRankAlgorithm1ELj128ELj16ELj10EEvPKT_Pi.num_named_barrier, 0
	.set _Z11rank_kernelIiLj4ELb0EL18RadixRankAlgorithm1ELj128ELj16ELj10EEvPKT_Pi.private_seg_size, 0
	.set _Z11rank_kernelIiLj4ELb0EL18RadixRankAlgorithm1ELj128ELj16ELj10EEvPKT_Pi.uses_vcc, 1
	.set _Z11rank_kernelIiLj4ELb0EL18RadixRankAlgorithm1ELj128ELj16ELj10EEvPKT_Pi.uses_flat_scratch, 0
	.set _Z11rank_kernelIiLj4ELb0EL18RadixRankAlgorithm1ELj128ELj16ELj10EEvPKT_Pi.has_dyn_sized_stack, 0
	.set _Z11rank_kernelIiLj4ELb0EL18RadixRankAlgorithm1ELj128ELj16ELj10EEvPKT_Pi.has_recursion, 0
	.set _Z11rank_kernelIiLj4ELb0EL18RadixRankAlgorithm1ELj128ELj16ELj10EEvPKT_Pi.has_indirect_call, 0
	.section	.AMDGPU.csdata,"",@progbits
; Kernel info:
; codeLenInByte = 2112
; TotalNumSgprs: 36
; NumVgprs: 67
; ScratchSize: 0
; MemoryBound: 0
; FloatMode: 240
; IeeeMode: 1
; LDSByteSize: 4104 bytes/workgroup (compile time only)
; SGPRBlocks: 8
; VGPRBlocks: 16
; NumSGPRsForWavesPerEU: 65
; NumVGPRsForWavesPerEU: 67
; Occupancy: 3
; WaveLimiterHint : 0
; COMPUTE_PGM_RSRC2:SCRATCH_EN: 0
; COMPUTE_PGM_RSRC2:USER_SGPR: 6
; COMPUTE_PGM_RSRC2:TRAP_HANDLER: 0
; COMPUTE_PGM_RSRC2:TGID_X_EN: 1
; COMPUTE_PGM_RSRC2:TGID_Y_EN: 0
; COMPUTE_PGM_RSRC2:TGID_Z_EN: 0
; COMPUTE_PGM_RSRC2:TIDIG_COMP_CNT: 0
	.section	.text._Z11rank_kernelIiLj4ELb0EL18RadixRankAlgorithm2ELj128ELj16ELj10EEvPKT_Pi,"axG",@progbits,_Z11rank_kernelIiLj4ELb0EL18RadixRankAlgorithm2ELj128ELj16ELj10EEvPKT_Pi,comdat
	.protected	_Z11rank_kernelIiLj4ELb0EL18RadixRankAlgorithm2ELj128ELj16ELj10EEvPKT_Pi ; -- Begin function _Z11rank_kernelIiLj4ELb0EL18RadixRankAlgorithm2ELj128ELj16ELj10EEvPKT_Pi
	.globl	_Z11rank_kernelIiLj4ELb0EL18RadixRankAlgorithm2ELj128ELj16ELj10EEvPKT_Pi
	.p2align	8
	.type	_Z11rank_kernelIiLj4ELb0EL18RadixRankAlgorithm2ELj128ELj16ELj10EEvPKT_Pi,@function
_Z11rank_kernelIiLj4ELb0EL18RadixRankAlgorithm2ELj128ELj16ELj10EEvPKT_Pi: ; @_Z11rank_kernelIiLj4ELb0EL18RadixRankAlgorithm2ELj128ELj16ELj10EEvPKT_Pi
; %bb.0:
	s_load_dwordx4 s[24:27], s[4:5], 0x0
	s_load_dword s20, s[4:5], 0x1c
	s_lshl_b32 s30, s6, 11
	s_mov_b32 s31, 0
	s_lshl_b64 s[28:29], s[30:31], 2
	s_waitcnt lgkmcnt(0)
	s_add_u32 s0, s24, s28
	s_addc_u32 s1, s25, s29
	v_lshlrev_b32_e32 v3, 6, v0
	global_load_dwordx4 v[10:13], v3, s[0:1]
	global_load_dwordx4 v[14:17], v3, s[0:1] offset:16
	global_load_dwordx4 v[19:22], v3, s[0:1] offset:32
	;; [unrolled: 1-line block ×3, first 2 shown]
	v_mbcnt_lo_u32_b32 v3, -1, 0
	v_mbcnt_hi_u32_b32 v6, -1, v3
	s_lshr_b32 s21, s20, 16
	v_or_b32_e32 v4, 63, v0
	v_subrev_co_u32_e64 v9, s[4:5], 1, v6
	v_and_b32_e32 v18, 64, v6
	s_and_b32 s20, s20, 0xffff
	v_mad_u32_u24 v1, v2, s21, v1
	v_lshlrev_b32_e32 v3, 4, v0
	v_cmp_gt_u32_e32 vcc, 2, v0
	v_cmp_lt_u32_e64 s[0:1], 63, v0
	v_lshlrev_b32_e32 v5, 2, v0
	v_lshrrev_b32_e32 v7, 4, v0
	v_cmp_eq_u32_e64 s[2:3], v0, v4
	v_and_b32_e32 v4, 15, v6
	v_cmp_lt_i32_e64 s[18:19], v9, v18
	v_mad_u32_u24 v0, v1, s20, v0
	v_and_b32_e32 v8, 16, v6
	v_and_b32_e32 v27, 1, v6
	;; [unrolled: 1-line block ×3, first 2 shown]
	v_cmp_eq_u32_e64 s[8:9], 0, v4
	v_cmp_lt_u32_e64 s[10:11], 1, v4
	v_cmp_lt_u32_e64 s[12:13], 3, v4
	;; [unrolled: 1-line block ×3, first 2 shown]
	v_cndmask_b32_e64 v4, v9, v6, s[18:19]
	v_lshrrev_b32_e32 v0, 4, v0
	v_cmp_lt_u32_e64 s[6:7], 31, v6
	v_cmp_eq_u32_e64 s[16:17], 0, v8
	v_cmp_eq_u32_e64 s[18:19], 0, v27
	v_add_u32_e32 v8, -4, v7
	v_lshlrev_b32_e32 v9, 2, v4
	v_and_b32_e32 v4, 0xffffffc, v0
	v_mov_b32_e32 v0, 0
	s_waitcnt vmcnt(3)
	v_xor_b32_e32 v10, 0x80000000, v10
	v_xor_b32_e32 v11, 0x80000000, v11
	v_xor_b32_e32 v12, 0x80000000, v12
	v_xor_b32_e32 v13, 0x80000000, v13
	s_waitcnt vmcnt(2)
	v_xor_b32_e32 v14, 0x80000000, v14
	v_xor_b32_e32 v15, 0x80000000, v15
	v_xor_b32_e32 v16, 0x80000000, v16
	v_xor_b32_e32 v17, 0x80000000, v17
	;; [unrolled: 5-line block ×4, first 2 shown]
	s_branch .LBB11_2
.LBB11_1:                               ;   in Loop: Header=BB11_2 Depth=1
	s_add_i32 s31, s31, 1
	s_cmp_eq_u32 s31, 10
	s_cbranch_scc1 .LBB11_42
.LBB11_2:                               ; =>This Loop Header: Depth=1
                                        ;     Child Loop BB11_4 Depth 2
	s_mov_b32 s24, -4
	s_mov_b32 s25, 28
	s_branch .LBB11_4
.LBB11_3:                               ;   in Loop: Header=BB11_4 Depth=2
	s_or_b64 exec, exec, s[20:21]
	s_waitcnt lgkmcnt(0)
	v_add_u32_e32 v1, v2, v1
	ds_bpermute_b32 v1, v9, v1
	s_add_i32 s25, s25, -4
	s_add_i32 s24, s24, 4
	s_cmp_lt_u32 s24, 28
	s_waitcnt lgkmcnt(0)
	v_cndmask_b32_e64 v1, v1, v2, s[4:5]
	ds_write_b32 v5, v1 offset:8
	s_waitcnt lgkmcnt(0)
	s_barrier
	s_cbranch_scc0 .LBB11_1
.LBB11_4:                               ;   Parent Loop BB11_2 Depth=1
                                        ; =>  This Inner Loop Header: Depth=2
	v_lshlrev_b32_e32 v1, s25, v10
	v_lshrrev_b32_e32 v2, 28, v1
	v_and_b32_e32 v1, 1, v2
	v_add_co_u32_e64 v18, s[20:21], -1, v1
	v_addc_co_u32_e64 v27, s[20:21], 0, -1, s[20:21]
	v_cmp_ne_u32_e64 s[20:21], 0, v1
	v_xor_b32_e32 v1, s21, v27
	v_and_b32_e32 v27, exec_hi, v1
	v_lshlrev_b32_e32 v1, 30, v2
	v_xor_b32_e32 v18, s20, v18
	v_cmp_gt_i64_e64 s[20:21], 0, v[0:1]
	v_not_b32_e32 v1, v1
	v_ashrrev_i32_e32 v1, 31, v1
	v_and_b32_e32 v18, exec_lo, v18
	v_xor_b32_e32 v28, s21, v1
	v_xor_b32_e32 v1, s20, v1
	v_and_b32_e32 v18, v18, v1
	v_lshlrev_b32_e32 v1, 29, v2
	v_cmp_gt_i64_e64 s[20:21], 0, v[0:1]
	v_not_b32_e32 v1, v1
	v_ashrrev_i32_e32 v1, 31, v1
	v_and_b32_e32 v27, v27, v28
	v_xor_b32_e32 v28, s21, v1
	v_xor_b32_e32 v1, s20, v1
	v_and_b32_e32 v18, v18, v1
	v_lshlrev_b32_e32 v1, 28, v2
	v_cmp_gt_i64_e64 s[20:21], 0, v[0:1]
	v_not_b32_e32 v1, v1
	v_ashrrev_i32_e32 v1, 31, v1
	v_mul_u32_u24_e32 v6, 12, v2
	v_xor_b32_e32 v2, s21, v1
	v_xor_b32_e32 v1, s20, v1
	v_and_b32_e32 v27, v27, v28
	v_and_b32_e32 v1, v18, v1
	;; [unrolled: 1-line block ×3, first 2 shown]
	v_mbcnt_lo_u32_b32 v18, v1, 0
	v_mbcnt_hi_u32_b32 v18, v2, v18
	v_cmp_ne_u64_e64 s[20:21], 0, v[1:2]
	v_cmp_eq_u32_e64 s[22:23], 0, v18
	s_and_b64 s[22:23], s[20:21], s[22:23]
	ds_write_b32 v5, v0 offset:8
	s_waitcnt lgkmcnt(0)
	s_barrier
	; wave barrier
	s_and_saveexec_b64 s[20:21], s[22:23]
; %bb.5:                                ;   in Loop: Header=BB11_4 Depth=2
	v_bcnt_u32_b32 v1, v1, 0
	v_bcnt_u32_b32 v1, v2, v1
	v_add_u32_e32 v2, v4, v6
	ds_write_b32 v2, v1 offset:8
; %bb.6:                                ;   in Loop: Header=BB11_4 Depth=2
	s_or_b64 exec, exec, s[20:21]
	v_lshlrev_b32_e32 v1, s25, v11
	v_lshrrev_b32_e32 v2, 28, v1
	v_mad_u32_u24 v1, v2, 12, v4
	; wave barrier
	ds_read_b32 v27, v1 offset:8
	v_and_b32_e32 v1, 1, v2
	v_add_co_u32_e64 v29, s[20:21], -1, v1
	v_addc_co_u32_e64 v30, s[20:21], 0, -1, s[20:21]
	v_cmp_ne_u32_e64 s[20:21], 0, v1
	v_xor_b32_e32 v1, s21, v30
	v_and_b32_e32 v30, exec_hi, v1
	v_lshlrev_b32_e32 v1, 30, v2
	v_xor_b32_e32 v29, s20, v29
	v_cmp_gt_i64_e64 s[20:21], 0, v[0:1]
	v_not_b32_e32 v1, v1
	v_ashrrev_i32_e32 v1, 31, v1
	v_and_b32_e32 v29, exec_lo, v29
	v_xor_b32_e32 v31, s21, v1
	v_xor_b32_e32 v1, s20, v1
	v_and_b32_e32 v29, v29, v1
	v_lshlrev_b32_e32 v1, 29, v2
	v_cmp_gt_i64_e64 s[20:21], 0, v[0:1]
	v_not_b32_e32 v1, v1
	v_ashrrev_i32_e32 v1, 31, v1
	v_and_b32_e32 v30, v30, v31
	v_xor_b32_e32 v31, s21, v1
	v_xor_b32_e32 v1, s20, v1
	v_and_b32_e32 v29, v29, v1
	v_lshlrev_b32_e32 v1, 28, v2
	v_cmp_gt_i64_e64 s[20:21], 0, v[0:1]
	v_not_b32_e32 v1, v1
	v_ashrrev_i32_e32 v1, 31, v1
	v_mul_u32_u24_e32 v28, 12, v2
	v_xor_b32_e32 v2, s21, v1
	v_xor_b32_e32 v1, s20, v1
	v_and_b32_e32 v30, v30, v31
	v_and_b32_e32 v1, v29, v1
	;; [unrolled: 1-line block ×3, first 2 shown]
	v_mbcnt_lo_u32_b32 v29, v1, 0
	v_mbcnt_hi_u32_b32 v29, v2, v29
	v_cmp_ne_u64_e64 s[20:21], 0, v[1:2]
	v_cmp_eq_u32_e64 s[22:23], 0, v29
	s_and_b64 s[22:23], s[20:21], s[22:23]
	; wave barrier
	s_and_saveexec_b64 s[20:21], s[22:23]
	s_cbranch_execz .LBB11_8
; %bb.7:                                ;   in Loop: Header=BB11_4 Depth=2
	v_bcnt_u32_b32 v1, v1, 0
	v_bcnt_u32_b32 v1, v2, v1
	s_waitcnt lgkmcnt(0)
	v_add_u32_e32 v1, v27, v1
	v_add_u32_e32 v2, v4, v28
	ds_write_b32 v2, v1 offset:8
.LBB11_8:                               ;   in Loop: Header=BB11_4 Depth=2
	s_or_b64 exec, exec, s[20:21]
	v_lshlrev_b32_e32 v1, s25, v12
	v_lshrrev_b32_e32 v2, 28, v1
	v_mad_u32_u24 v1, v2, 12, v4
	; wave barrier
	ds_read_b32 v30, v1 offset:8
	v_and_b32_e32 v1, 1, v2
	v_add_co_u32_e64 v32, s[20:21], -1, v1
	v_addc_co_u32_e64 v33, s[20:21], 0, -1, s[20:21]
	v_cmp_ne_u32_e64 s[20:21], 0, v1
	v_xor_b32_e32 v1, s21, v33
	v_and_b32_e32 v33, exec_hi, v1
	v_lshlrev_b32_e32 v1, 30, v2
	v_xor_b32_e32 v32, s20, v32
	v_cmp_gt_i64_e64 s[20:21], 0, v[0:1]
	v_not_b32_e32 v1, v1
	v_ashrrev_i32_e32 v1, 31, v1
	v_and_b32_e32 v32, exec_lo, v32
	v_xor_b32_e32 v34, s21, v1
	v_xor_b32_e32 v1, s20, v1
	v_and_b32_e32 v32, v32, v1
	v_lshlrev_b32_e32 v1, 29, v2
	v_cmp_gt_i64_e64 s[20:21], 0, v[0:1]
	v_not_b32_e32 v1, v1
	v_ashrrev_i32_e32 v1, 31, v1
	v_and_b32_e32 v33, v33, v34
	v_xor_b32_e32 v34, s21, v1
	v_xor_b32_e32 v1, s20, v1
	v_and_b32_e32 v32, v32, v1
	v_lshlrev_b32_e32 v1, 28, v2
	v_cmp_gt_i64_e64 s[20:21], 0, v[0:1]
	v_not_b32_e32 v1, v1
	v_ashrrev_i32_e32 v1, 31, v1
	v_mul_u32_u24_e32 v31, 12, v2
	v_xor_b32_e32 v2, s21, v1
	v_xor_b32_e32 v1, s20, v1
	v_and_b32_e32 v33, v33, v34
	v_and_b32_e32 v1, v32, v1
	;; [unrolled: 1-line block ×3, first 2 shown]
	v_mbcnt_lo_u32_b32 v32, v1, 0
	v_mbcnt_hi_u32_b32 v32, v2, v32
	v_cmp_ne_u64_e64 s[20:21], 0, v[1:2]
	v_cmp_eq_u32_e64 s[22:23], 0, v32
	s_and_b64 s[22:23], s[20:21], s[22:23]
	; wave barrier
	s_and_saveexec_b64 s[20:21], s[22:23]
	s_cbranch_execz .LBB11_10
; %bb.9:                                ;   in Loop: Header=BB11_4 Depth=2
	v_bcnt_u32_b32 v1, v1, 0
	v_bcnt_u32_b32 v1, v2, v1
	s_waitcnt lgkmcnt(0)
	v_add_u32_e32 v1, v30, v1
	v_add_u32_e32 v2, v4, v31
	ds_write_b32 v2, v1 offset:8
.LBB11_10:                              ;   in Loop: Header=BB11_4 Depth=2
	s_or_b64 exec, exec, s[20:21]
	v_lshlrev_b32_e32 v1, s25, v13
	v_lshrrev_b32_e32 v2, 28, v1
	v_mad_u32_u24 v1, v2, 12, v4
	; wave barrier
	ds_read_b32 v33, v1 offset:8
	v_and_b32_e32 v1, 1, v2
	v_add_co_u32_e64 v35, s[20:21], -1, v1
	v_addc_co_u32_e64 v36, s[20:21], 0, -1, s[20:21]
	v_cmp_ne_u32_e64 s[20:21], 0, v1
	v_xor_b32_e32 v1, s21, v36
	v_and_b32_e32 v36, exec_hi, v1
	v_lshlrev_b32_e32 v1, 30, v2
	v_xor_b32_e32 v35, s20, v35
	v_cmp_gt_i64_e64 s[20:21], 0, v[0:1]
	v_not_b32_e32 v1, v1
	v_ashrrev_i32_e32 v1, 31, v1
	v_and_b32_e32 v35, exec_lo, v35
	v_xor_b32_e32 v37, s21, v1
	v_xor_b32_e32 v1, s20, v1
	v_and_b32_e32 v35, v35, v1
	v_lshlrev_b32_e32 v1, 29, v2
	v_cmp_gt_i64_e64 s[20:21], 0, v[0:1]
	v_not_b32_e32 v1, v1
	v_ashrrev_i32_e32 v1, 31, v1
	v_and_b32_e32 v36, v36, v37
	v_xor_b32_e32 v37, s21, v1
	v_xor_b32_e32 v1, s20, v1
	v_and_b32_e32 v35, v35, v1
	v_lshlrev_b32_e32 v1, 28, v2
	v_cmp_gt_i64_e64 s[20:21], 0, v[0:1]
	v_not_b32_e32 v1, v1
	v_ashrrev_i32_e32 v1, 31, v1
	v_mul_u32_u24_e32 v34, 12, v2
	v_xor_b32_e32 v2, s21, v1
	v_xor_b32_e32 v1, s20, v1
	v_and_b32_e32 v36, v36, v37
	v_and_b32_e32 v1, v35, v1
	v_and_b32_e32 v2, v36, v2
	v_mbcnt_lo_u32_b32 v35, v1, 0
	v_mbcnt_hi_u32_b32 v35, v2, v35
	v_cmp_ne_u64_e64 s[20:21], 0, v[1:2]
	v_cmp_eq_u32_e64 s[22:23], 0, v35
	s_and_b64 s[22:23], s[20:21], s[22:23]
	; wave barrier
	s_and_saveexec_b64 s[20:21], s[22:23]
	s_cbranch_execz .LBB11_12
; %bb.11:                               ;   in Loop: Header=BB11_4 Depth=2
	v_bcnt_u32_b32 v1, v1, 0
	v_bcnt_u32_b32 v1, v2, v1
	s_waitcnt lgkmcnt(0)
	v_add_u32_e32 v1, v33, v1
	v_add_u32_e32 v2, v4, v34
	ds_write_b32 v2, v1 offset:8
.LBB11_12:                              ;   in Loop: Header=BB11_4 Depth=2
	s_or_b64 exec, exec, s[20:21]
	v_lshlrev_b32_e32 v1, s25, v14
	v_lshrrev_b32_e32 v2, 28, v1
	v_mad_u32_u24 v1, v2, 12, v4
	; wave barrier
	ds_read_b32 v36, v1 offset:8
	v_and_b32_e32 v1, 1, v2
	v_add_co_u32_e64 v38, s[20:21], -1, v1
	v_addc_co_u32_e64 v39, s[20:21], 0, -1, s[20:21]
	v_cmp_ne_u32_e64 s[20:21], 0, v1
	v_xor_b32_e32 v1, s21, v39
	v_and_b32_e32 v39, exec_hi, v1
	v_lshlrev_b32_e32 v1, 30, v2
	v_xor_b32_e32 v38, s20, v38
	v_cmp_gt_i64_e64 s[20:21], 0, v[0:1]
	v_not_b32_e32 v1, v1
	v_ashrrev_i32_e32 v1, 31, v1
	v_and_b32_e32 v38, exec_lo, v38
	v_xor_b32_e32 v40, s21, v1
	v_xor_b32_e32 v1, s20, v1
	v_and_b32_e32 v38, v38, v1
	v_lshlrev_b32_e32 v1, 29, v2
	v_cmp_gt_i64_e64 s[20:21], 0, v[0:1]
	v_not_b32_e32 v1, v1
	v_ashrrev_i32_e32 v1, 31, v1
	v_and_b32_e32 v39, v39, v40
	v_xor_b32_e32 v40, s21, v1
	v_xor_b32_e32 v1, s20, v1
	v_and_b32_e32 v38, v38, v1
	v_lshlrev_b32_e32 v1, 28, v2
	v_cmp_gt_i64_e64 s[20:21], 0, v[0:1]
	v_not_b32_e32 v1, v1
	v_ashrrev_i32_e32 v1, 31, v1
	v_mul_u32_u24_e32 v37, 12, v2
	v_xor_b32_e32 v2, s21, v1
	v_xor_b32_e32 v1, s20, v1
	v_and_b32_e32 v39, v39, v40
	v_and_b32_e32 v1, v38, v1
	v_and_b32_e32 v2, v39, v2
	v_mbcnt_lo_u32_b32 v38, v1, 0
	v_mbcnt_hi_u32_b32 v38, v2, v38
	v_cmp_ne_u64_e64 s[20:21], 0, v[1:2]
	v_cmp_eq_u32_e64 s[22:23], 0, v38
	s_and_b64 s[22:23], s[20:21], s[22:23]
	; wave barrier
	s_and_saveexec_b64 s[20:21], s[22:23]
	s_cbranch_execz .LBB11_14
; %bb.13:                               ;   in Loop: Header=BB11_4 Depth=2
	v_bcnt_u32_b32 v1, v1, 0
	v_bcnt_u32_b32 v1, v2, v1
	s_waitcnt lgkmcnt(0)
	v_add_u32_e32 v1, v36, v1
	v_add_u32_e32 v2, v4, v37
	ds_write_b32 v2, v1 offset:8
.LBB11_14:                              ;   in Loop: Header=BB11_4 Depth=2
	;; [unrolled: 55-line block ×13, first 2 shown]
	s_or_b64 exec, exec, s[20:21]
	; wave barrier
	s_waitcnt lgkmcnt(0)
	s_barrier
	ds_read_b32 v1, v5 offset:8
	s_waitcnt lgkmcnt(0)
	s_nop 0
	v_mov_b32_dpp v2, v1 row_shr:1 row_mask:0xf bank_mask:0xf
	v_cndmask_b32_e64 v2, v2, 0, s[8:9]
	v_add_u32_e32 v1, v2, v1
	s_nop 1
	v_mov_b32_dpp v2, v1 row_shr:2 row_mask:0xf bank_mask:0xf
	v_cndmask_b32_e64 v2, 0, v2, s[10:11]
	v_add_u32_e32 v1, v1, v2
	;; [unrolled: 4-line block ×4, first 2 shown]
	s_nop 1
	v_mov_b32_dpp v2, v1 row_bcast:15 row_mask:0xf bank_mask:0xf
	v_cndmask_b32_e64 v2, v2, 0, s[16:17]
	v_add_u32_e32 v1, v1, v2
	s_nop 1
	v_mov_b32_dpp v2, v1 row_bcast:31 row_mask:0xf bank_mask:0xf
	v_cndmask_b32_e64 v2, 0, v2, s[6:7]
	v_add_u32_e32 v1, v1, v2
	s_and_saveexec_b64 s[20:21], s[2:3]
; %bb.37:                               ;   in Loop: Header=BB11_4 Depth=2
	ds_write_b32 v7, v1
; %bb.38:                               ;   in Loop: Header=BB11_4 Depth=2
	s_or_b64 exec, exec, s[20:21]
	s_waitcnt lgkmcnt(0)
	s_barrier
	s_and_saveexec_b64 s[20:21], vcc
	s_cbranch_execz .LBB11_40
; %bb.39:                               ;   in Loop: Header=BB11_4 Depth=2
	ds_read_b32 v2, v5
	s_waitcnt lgkmcnt(0)
	s_nop 0
	v_mov_b32_dpp v72, v2 row_shr:1 row_mask:0xf bank_mask:0xf
	v_cndmask_b32_e64 v72, v72, 0, s[18:19]
	v_add_u32_e32 v2, v72, v2
	ds_write_b32 v5, v2
.LBB11_40:                              ;   in Loop: Header=BB11_4 Depth=2
	s_or_b64 exec, exec, s[20:21]
	v_mov_b32_e32 v2, 0
	s_waitcnt lgkmcnt(0)
	s_barrier
	s_and_saveexec_b64 s[20:21], s[0:1]
	s_cbranch_execz .LBB11_3
; %bb.41:                               ;   in Loop: Header=BB11_4 Depth=2
	ds_read_b32 v2, v8
	s_branch .LBB11_3
.LBB11_42:
	v_add_u32_e32 v0, v4, v70
	v_add_u32_e32 v1, v4, v67
	;; [unrolled: 1-line block ×8, first 2 shown]
	ds_read_b32 v0, v0 offset:8
	ds_read_b32 v1, v1 offset:8
	ds_read_b32 v2, v2 offset:8
	ds_read_b32 v5, v5 offset:8
	ds_read_b32 v11, v7 offset:8
	ds_read_b32 v12, v8 offset:8
	ds_read_b32 v15, v9 offset:8
	ds_read_b32 v16, v10 offset:8
	s_waitcnt lgkmcnt(7)
	v_add3_u32 v10, v71, v69, v0
	s_waitcnt lgkmcnt(6)
	v_add3_u32 v9, v68, v66, v1
	;; [unrolled: 2-line block ×8, first 2 shown]
	v_add_u32_e32 v0, v4, v46
	v_add_u32_e32 v1, v4, v43
	;; [unrolled: 1-line block ×8, first 2 shown]
	ds_read_b32 v0, v0 offset:8
	ds_read_b32 v1, v1 offset:8
	;; [unrolled: 1-line block ×8, first 2 shown]
	s_add_u32 s0, s26, s28
	s_waitcnt lgkmcnt(7)
	v_add3_u32 v22, v47, v45, v0
	s_waitcnt lgkmcnt(3)
	v_add3_u32 v26, v35, v33, v6
	;; [unrolled: 2-line block ×4, first 2 shown]
	s_waitcnt lgkmcnt(0)
	v_add_u32_e32 v23, v4, v18
	s_addc_u32 s1, s27, s29
	v_lshlrev_b32_e32 v0, 2, v3
	v_add3_u32 v21, v44, v42, v1
	v_add3_u32 v20, v41, v39, v2
	;; [unrolled: 1-line block ×3, first 2 shown]
	global_store_dwordx4 v0, v[23:26], s[0:1]
	global_store_dwordx4 v0, v[19:22], s[0:1] offset:16
	global_store_dwordx4 v0, v[11:14], s[0:1] offset:32
	;; [unrolled: 1-line block ×3, first 2 shown]
	s_endpgm
	.section	.rodata,"a",@progbits
	.p2align	6, 0x0
	.amdhsa_kernel _Z11rank_kernelIiLj4ELb0EL18RadixRankAlgorithm2ELj128ELj16ELj10EEvPKT_Pi
		.amdhsa_group_segment_fixed_size 520
		.amdhsa_private_segment_fixed_size 0
		.amdhsa_kernarg_size 272
		.amdhsa_user_sgpr_count 6
		.amdhsa_user_sgpr_private_segment_buffer 1
		.amdhsa_user_sgpr_dispatch_ptr 0
		.amdhsa_user_sgpr_queue_ptr 0
		.amdhsa_user_sgpr_kernarg_segment_ptr 1
		.amdhsa_user_sgpr_dispatch_id 0
		.amdhsa_user_sgpr_flat_scratch_init 0
		.amdhsa_user_sgpr_private_segment_size 0
		.amdhsa_uses_dynamic_stack 0
		.amdhsa_system_sgpr_private_segment_wavefront_offset 0
		.amdhsa_system_sgpr_workgroup_id_x 1
		.amdhsa_system_sgpr_workgroup_id_y 0
		.amdhsa_system_sgpr_workgroup_id_z 0
		.amdhsa_system_sgpr_workgroup_info 0
		.amdhsa_system_vgpr_workitem_id 2
		.amdhsa_next_free_vgpr 74
		.amdhsa_next_free_sgpr 32
		.amdhsa_reserve_vcc 1
		.amdhsa_reserve_flat_scratch 0
		.amdhsa_float_round_mode_32 0
		.amdhsa_float_round_mode_16_64 0
		.amdhsa_float_denorm_mode_32 3
		.amdhsa_float_denorm_mode_16_64 3
		.amdhsa_dx10_clamp 1
		.amdhsa_ieee_mode 1
		.amdhsa_fp16_overflow 0
		.amdhsa_exception_fp_ieee_invalid_op 0
		.amdhsa_exception_fp_denorm_src 0
		.amdhsa_exception_fp_ieee_div_zero 0
		.amdhsa_exception_fp_ieee_overflow 0
		.amdhsa_exception_fp_ieee_underflow 0
		.amdhsa_exception_fp_ieee_inexact 0
		.amdhsa_exception_int_div_zero 0
	.end_amdhsa_kernel
	.section	.text._Z11rank_kernelIiLj4ELb0EL18RadixRankAlgorithm2ELj128ELj16ELj10EEvPKT_Pi,"axG",@progbits,_Z11rank_kernelIiLj4ELb0EL18RadixRankAlgorithm2ELj128ELj16ELj10EEvPKT_Pi,comdat
.Lfunc_end11:
	.size	_Z11rank_kernelIiLj4ELb0EL18RadixRankAlgorithm2ELj128ELj16ELj10EEvPKT_Pi, .Lfunc_end11-_Z11rank_kernelIiLj4ELb0EL18RadixRankAlgorithm2ELj128ELj16ELj10EEvPKT_Pi
                                        ; -- End function
	.set _Z11rank_kernelIiLj4ELb0EL18RadixRankAlgorithm2ELj128ELj16ELj10EEvPKT_Pi.num_vgpr, 74
	.set _Z11rank_kernelIiLj4ELb0EL18RadixRankAlgorithm2ELj128ELj16ELj10EEvPKT_Pi.num_agpr, 0
	.set _Z11rank_kernelIiLj4ELb0EL18RadixRankAlgorithm2ELj128ELj16ELj10EEvPKT_Pi.numbered_sgpr, 32
	.set _Z11rank_kernelIiLj4ELb0EL18RadixRankAlgorithm2ELj128ELj16ELj10EEvPKT_Pi.num_named_barrier, 0
	.set _Z11rank_kernelIiLj4ELb0EL18RadixRankAlgorithm2ELj128ELj16ELj10EEvPKT_Pi.private_seg_size, 0
	.set _Z11rank_kernelIiLj4ELb0EL18RadixRankAlgorithm2ELj128ELj16ELj10EEvPKT_Pi.uses_vcc, 1
	.set _Z11rank_kernelIiLj4ELb0EL18RadixRankAlgorithm2ELj128ELj16ELj10EEvPKT_Pi.uses_flat_scratch, 0
	.set _Z11rank_kernelIiLj4ELb0EL18RadixRankAlgorithm2ELj128ELj16ELj10EEvPKT_Pi.has_dyn_sized_stack, 0
	.set _Z11rank_kernelIiLj4ELb0EL18RadixRankAlgorithm2ELj128ELj16ELj10EEvPKT_Pi.has_recursion, 0
	.set _Z11rank_kernelIiLj4ELb0EL18RadixRankAlgorithm2ELj128ELj16ELj10EEvPKT_Pi.has_indirect_call, 0
	.section	.AMDGPU.csdata,"",@progbits
; Kernel info:
; codeLenInByte = 5420
; TotalNumSgprs: 36
; NumVgprs: 74
; ScratchSize: 0
; MemoryBound: 0
; FloatMode: 240
; IeeeMode: 1
; LDSByteSize: 520 bytes/workgroup (compile time only)
; SGPRBlocks: 4
; VGPRBlocks: 18
; NumSGPRsForWavesPerEU: 36
; NumVGPRsForWavesPerEU: 74
; Occupancy: 3
; WaveLimiterHint : 0
; COMPUTE_PGM_RSRC2:SCRATCH_EN: 0
; COMPUTE_PGM_RSRC2:USER_SGPR: 6
; COMPUTE_PGM_RSRC2:TRAP_HANDLER: 0
; COMPUTE_PGM_RSRC2:TGID_X_EN: 1
; COMPUTE_PGM_RSRC2:TGID_Y_EN: 0
; COMPUTE_PGM_RSRC2:TGID_Z_EN: 0
; COMPUTE_PGM_RSRC2:TIDIG_COMP_CNT: 2
	.section	.text._Z11rank_kernelIiLj4ELb0EL18RadixRankAlgorithm0ELj128ELj32ELj10EEvPKT_Pi,"axG",@progbits,_Z11rank_kernelIiLj4ELb0EL18RadixRankAlgorithm0ELj128ELj32ELj10EEvPKT_Pi,comdat
	.protected	_Z11rank_kernelIiLj4ELb0EL18RadixRankAlgorithm0ELj128ELj32ELj10EEvPKT_Pi ; -- Begin function _Z11rank_kernelIiLj4ELb0EL18RadixRankAlgorithm0ELj128ELj32ELj10EEvPKT_Pi
	.globl	_Z11rank_kernelIiLj4ELb0EL18RadixRankAlgorithm0ELj128ELj32ELj10EEvPKT_Pi
	.p2align	8
	.type	_Z11rank_kernelIiLj4ELb0EL18RadixRankAlgorithm0ELj128ELj32ELj10EEvPKT_Pi,@function
_Z11rank_kernelIiLj4ELb0EL18RadixRankAlgorithm0ELj128ELj32ELj10EEvPKT_Pi: ; @_Z11rank_kernelIiLj4ELb0EL18RadixRankAlgorithm0ELj128ELj32ELj10EEvPKT_Pi
; %bb.0:
	s_load_dwordx4 s[20:23], s[4:5], 0x0
	s_lshl_b32 s26, s6, 12
	s_mov_b32 s27, 0
	s_lshl_b64 s[24:25], s[26:27], 2
	v_lshlrev_b32_e32 v1, 7, v0
	s_waitcnt lgkmcnt(0)
	s_add_u32 s0, s20, s24
	s_addc_u32 s1, s21, s25
	global_load_dwordx4 v[2:5], v1, s[0:1]
	global_load_dwordx4 v[20:23], v1, s[0:1] offset:16
	global_load_dwordx4 v[25:28], v1, s[0:1] offset:32
	global_load_dwordx4 v[29:32], v1, s[0:1] offset:48
	global_load_dwordx4 v[34:37], v1, s[0:1] offset:64
	global_load_dwordx4 v[39:42], v1, s[0:1] offset:80
	global_load_dwordx4 v[44:47], v1, s[0:1] offset:96
	global_load_dwordx4 v[49:52], v1, s[0:1] offset:112
	v_mbcnt_lo_u32_b32 v1, -1, 0
	v_mbcnt_hi_u32_b32 v9, -1, v1
	v_or_b32_e32 v7, 63, v0
	v_subrev_co_u32_e64 v14, s[4:5], 1, v9
	v_and_b32_e32 v15, 64, v9
	v_cmp_eq_u32_e64 s[2:3], v0, v7
	v_and_b32_e32 v7, 15, v9
	v_cmp_lt_i32_e64 s[18:19], v14, v15
	v_lshrrev_b32_e32 v10, 4, v0
	v_lshlrev_b32_e32 v1, 5, v0
	v_mul_i32_i24_e32 v12, 0xffffffe4, v0
	v_and_b32_e32 v13, 16, v9
	v_and_b32_e32 v16, 1, v9
	v_cmp_eq_u32_e64 s[8:9], 0, v7
	v_cmp_lt_u32_e64 s[10:11], 1, v7
	v_cmp_lt_u32_e64 s[12:13], 3, v7
	;; [unrolled: 1-line block ×3, first 2 shown]
	v_cndmask_b32_e64 v7, v14, v9, s[18:19]
	s_movk_i32 s26, 0x37f
	s_movk_i32 s30, 0x380
	v_mov_b32_e32 v6, 0
	v_cmp_gt_u32_e32 vcc, 2, v0
	v_cmp_lt_u32_e64 s[0:1], 63, v0
	v_lshlrev_b32_e32 v8, 2, v0
	v_cmp_lt_u32_e64 s[6:7], 31, v9
	v_and_b32_e32 v11, 4, v10
	v_add_u32_e32 v12, v1, v12
	v_cmp_eq_u32_e64 s[16:17], 0, v13
	v_cmp_eq_u32_e64 s[18:19], 0, v16
	v_lshlrev_b32_e32 v14, 2, v7
	v_or_b32_e32 v53, 0xffffff80, v0
	s_waitcnt vmcnt(7)
	v_xor_b32_e32 v16, 0x80000000, v2
	v_xor_b32_e32 v17, 0x80000000, v3
	v_xor_b32_e32 v18, 0x80000000, v4
	v_xor_b32_e32 v19, 0x80000000, v5
	s_waitcnt vmcnt(6)
	v_xor_b32_e32 v20, 0x80000000, v20
	v_xor_b32_e32 v21, 0x80000000, v21
	v_xor_b32_e32 v22, 0x80000000, v22
	v_xor_b32_e32 v23, 0x80000000, v23
	;; [unrolled: 5-line block ×8, first 2 shown]
	s_branch .LBB12_2
.LBB12_1:                               ;   in Loop: Header=BB12_2 Depth=1
	s_add_i32 s27, s27, 1
	s_cmp_eq_u32 s27, 10
	s_cbranch_scc1 .LBB12_12
.LBB12_2:                               ; =>This Loop Header: Depth=1
                                        ;     Child Loop BB12_4 Depth 2
                                        ;       Child Loop BB12_5 Depth 3
	s_mov_b32 s31, 0
	s_branch .LBB12_4
.LBB12_3:                               ;   in Loop: Header=BB12_4 Depth=2
	s_or_b64 exec, exec, s[20:21]
	s_waitcnt lgkmcnt(0)
	v_add_u32_e32 v104, v105, v104
	ds_bpermute_b32 v104, v14, v104
	ds_read_b32 v112, v6 offset:4100
	ds_read2_b64 v[106:109], v1 offset1:1
	ds_read_b64 v[110:111], v1 offset:16
	s_add_i32 s20, s31, 4
	s_cmp_lt_u32 s31, 28
	s_waitcnt lgkmcnt(3)
	v_cndmask_b32_e64 v104, v104, v105, s[4:5]
	s_waitcnt lgkmcnt(2)
	v_lshl_add_u32 v104, v112, 16, v104
	s_waitcnt lgkmcnt(1)
	v_add_u32_e32 v105, v104, v106
	v_add_u32_e32 v106, v107, v105
	;; [unrolled: 1-line block ×3, first 2 shown]
	ds_read_b32 v108, v1 offset:24
	ds_write2_b64 v1, v[104:105], v[106:107] offset1:1
	v_add_u32_e32 v104, v109, v107
	s_waitcnt lgkmcnt(2)
	v_add_u32_e32 v105, v110, v104
	v_add_u32_e32 v106, v111, v105
	s_waitcnt lgkmcnt(1)
	v_add_u32_e32 v107, v108, v106
	s_mov_b32 s31, s20
	ds_write2_b64 v1, v[104:105], v[106:107] offset0:2 offset1:3
	s_waitcnt lgkmcnt(0)
	s_barrier
	s_cbranch_scc0 .LBB12_1
.LBB12_4:                               ;   Parent Loop BB12_2 Depth=1
                                        ; =>  This Loop Header: Depth=2
                                        ;       Child Loop BB12_5 Depth 3
	s_mov_b64 s[28:29], 0
	v_mov_b32_e32 v2, v53
	v_mov_b32_e32 v3, v8
.LBB12_5:                               ;   Parent Loop BB12_2 Depth=1
                                        ;     Parent Loop BB12_4 Depth=2
                                        ; =>    This Inner Loop Header: Depth=3
	v_add_u32_e32 v2, 0x80, v2
	v_cmp_lt_u32_e64 s[20:21], s26, v2
	ds_write_b32 v3, v6
	s_or_b64 s[28:29], s[20:21], s[28:29]
	v_add_u32_e32 v3, 0x200, v3
	s_andn2_b64 exec, exec, s[28:29]
	s_cbranch_execnz .LBB12_5
; %bb.6:                                ;   in Loop: Header=BB12_4 Depth=2
	s_or_b64 exec, exec, s[28:29]
	s_sub_i32 s20, 28, s31
	v_lshlrev_b32_e32 v2, s20, v16
	v_lshrrev_b32_e32 v3, 21, v2
	v_and_or_b32 v3, v3, s30, v0
	v_alignbit_b32 v2, v3, v2, 31
	v_lshlrev_b32_e32 v3, 1, v2
	ds_read_u16 v2, v3
	v_lshlrev_b32_e32 v4, s20, v17
	v_lshrrev_b32_e32 v5, 21, v4
	v_and_or_b32 v5, v5, s30, v0
	v_alignbit_b32 v4, v5, v4, 31
	s_waitcnt lgkmcnt(0)
	v_add_u16_e32 v5, 1, v2
	ds_write_b16 v3, v5
	v_lshlrev_b32_e32 v5, 1, v4
	ds_read_u16 v4, v5
	v_lshlrev_b32_e32 v7, s20, v18
	v_lshrrev_b32_e32 v9, 21, v7
	v_and_or_b32 v9, v9, s30, v0
	v_alignbit_b32 v7, v9, v7, 31
	s_waitcnt lgkmcnt(0)
	v_add_u16_e32 v10, 1, v4
	ds_write_b16 v5, v10
	;; [unrolled: 9-line block ×3, first 2 shown]
	v_lshlrev_b32_e32 v13, 1, v10
	ds_read_u16 v10, v13
	v_lshlrev_b32_e32 v15, s20, v20
	s_waitcnt lgkmcnt(0)
	v_add_u16_e32 v24, 1, v10
	ds_write_b16 v13, v24
	v_lshrrev_b32_e32 v24, 21, v15
	v_and_or_b32 v24, v24, s30, v0
	v_alignbit_b32 v15, v24, v15, 31
	v_lshlrev_b32_e32 v24, 1, v15
	ds_read_u16 v15, v24
	s_waitcnt lgkmcnt(0)
	v_add_u16_e32 v33, 1, v15
	ds_write_b16 v24, v33
	v_lshlrev_b32_e32 v33, s20, v21
	v_lshrrev_b32_e32 v38, 21, v33
	v_and_or_b32 v38, v38, s30, v0
	v_alignbit_b32 v33, v38, v33, 31
	v_lshlrev_b32_e32 v38, 1, v33
	ds_read_u16 v33, v38
	s_waitcnt lgkmcnt(0)
	v_add_u16_e32 v45, 1, v33
	ds_write_b16 v38, v45
	v_lshlrev_b32_e32 v45, s20, v22
	;; [unrolled: 9-line block ×27, first 2 shown]
	v_lshrrev_b32_e32 v103, 21, v100
	v_and_or_b32 v103, v103, s30, v0
	v_alignbit_b32 v100, v103, v100, 31
	v_lshlrev_b32_e32 v103, 1, v100
	ds_read_u16 v100, v103
	s_waitcnt lgkmcnt(0)
	v_add_u16_e32 v104, 1, v100
	ds_write_b16 v103, v104
	s_waitcnt lgkmcnt(0)
	s_barrier
	ds_read2_b64 v[104:107], v1 offset1:1
	ds_read2_b64 v[108:111], v1 offset0:2 offset1:3
	s_waitcnt lgkmcnt(1)
	v_add_u32_e32 v104, v105, v104
	v_add3_u32 v104, v104, v106, v107
	s_waitcnt lgkmcnt(0)
	v_add3_u32 v104, v104, v108, v109
	v_add3_u32 v104, v104, v110, v111
	s_nop 1
	v_mov_b32_dpp v105, v104 row_shr:1 row_mask:0xf bank_mask:0xf
	v_cndmask_b32_e64 v105, v105, 0, s[8:9]
	v_add_u32_e32 v104, v105, v104
	s_nop 1
	v_mov_b32_dpp v105, v104 row_shr:2 row_mask:0xf bank_mask:0xf
	v_cndmask_b32_e64 v105, 0, v105, s[10:11]
	v_add_u32_e32 v104, v104, v105
	;; [unrolled: 4-line block ×4, first 2 shown]
	s_nop 1
	v_mov_b32_dpp v105, v104 row_bcast:15 row_mask:0xf bank_mask:0xf
	v_cndmask_b32_e64 v105, v105, 0, s[16:17]
	v_add_u32_e32 v104, v104, v105
	s_nop 1
	v_mov_b32_dpp v105, v104 row_bcast:31 row_mask:0xf bank_mask:0xf
	v_cndmask_b32_e64 v105, 0, v105, s[6:7]
	v_add_u32_e32 v104, v104, v105
	s_and_saveexec_b64 s[20:21], s[2:3]
; %bb.7:                                ;   in Loop: Header=BB12_4 Depth=2
	ds_write_b32 v11, v104 offset:4096
; %bb.8:                                ;   in Loop: Header=BB12_4 Depth=2
	s_or_b64 exec, exec, s[20:21]
	s_waitcnt lgkmcnt(0)
	s_barrier
	s_and_saveexec_b64 s[20:21], vcc
	s_cbranch_execz .LBB12_10
; %bb.9:                                ;   in Loop: Header=BB12_4 Depth=2
	ds_read_b32 v105, v12 offset:4096
	s_waitcnt lgkmcnt(0)
	s_nop 0
	v_mov_b32_dpp v106, v105 row_shr:1 row_mask:0xf bank_mask:0xf
	v_cndmask_b32_e64 v106, v106, 0, s[18:19]
	v_add_u32_e32 v105, v106, v105
	ds_write_b32 v12, v105 offset:4096
.LBB12_10:                              ;   in Loop: Header=BB12_4 Depth=2
	s_or_b64 exec, exec, s[20:21]
	v_mov_b32_e32 v105, 0
	s_waitcnt lgkmcnt(0)
	s_barrier
	s_and_saveexec_b64 s[20:21], s[0:1]
	s_cbranch_execz .LBB12_3
; %bb.11:                               ;   in Loop: Header=BB12_4 Depth=2
	ds_read_b32 v105, v11 offset:4092
	s_branch .LBB12_3
.LBB12_12:
	ds_read_u16 v0, v103
	ds_read_u16 v6, v102
	;; [unrolled: 1-line block ×3, first 2 shown]
	s_add_u32 s0, s22, s24
	s_addc_u32 s1, s23, s25
	s_waitcnt lgkmcnt(2)
	v_add_u32_sdwa v19, v0, v100 dst_sel:DWORD dst_unused:UNUSED_PAD src0_sel:DWORD src1_sel:WORD_0
	s_waitcnt lgkmcnt(1)
	v_add_u32_sdwa v18, v6, v99 dst_sel:DWORD dst_unused:UNUSED_PAD src0_sel:DWORD src1_sel:WORD_0
	ds_read_u16 v0, v97
	ds_read_u16 v6, v95
	s_waitcnt lgkmcnt(2)
	v_add_u32_sdwa v17, v8, v98 dst_sel:DWORD dst_unused:UNUSED_PAD src0_sel:DWORD src1_sel:WORD_0
	ds_read_u16 v8, v93
	ds_read_u16 v11, v91
	s_waitcnt lgkmcnt(3)
	v_add_u32_sdwa v16, v0, v96 dst_sel:DWORD dst_unused:UNUSED_PAD src0_sel:DWORD src1_sel:WORD_0
	ds_read_u16 v0, v89
	s_waitcnt lgkmcnt(3)
	v_add_u32_sdwa v23, v6, v94 dst_sel:DWORD dst_unused:UNUSED_PAD src0_sel:DWORD src1_sel:WORD_0
	s_waitcnt lgkmcnt(2)
	v_add_u32_sdwa v22, v8, v92 dst_sel:DWORD dst_unused:UNUSED_PAD src0_sel:DWORD src1_sel:WORD_0
	ds_read_u16 v6, v87
	ds_read_u16 v8, v85
	s_waitcnt lgkmcnt(3)
	v_add_u32_sdwa v21, v11, v90 dst_sel:DWORD dst_unused:UNUSED_PAD src0_sel:DWORD src1_sel:WORD_0
	s_waitcnt lgkmcnt(2)
	v_add_u32_sdwa v20, v0, v88 dst_sel:DWORD dst_unused:UNUSED_PAD src0_sel:DWORD src1_sel:WORD_0
	ds_read_u16 v0, v83
	ds_read_u16 v11, v81
	s_waitcnt lgkmcnt(3)
	v_add_u32_sdwa v28, v6, v86 dst_sel:DWORD dst_unused:UNUSED_PAD src0_sel:DWORD src1_sel:WORD_0
	ds_read_u16 v6, v79
	s_waitcnt lgkmcnt(3)
	v_add_u32_sdwa v27, v8, v84 dst_sel:DWORD dst_unused:UNUSED_PAD src0_sel:DWORD src1_sel:WORD_0
	s_waitcnt lgkmcnt(2)
	v_add_u32_sdwa v26, v0, v82 dst_sel:DWORD dst_unused:UNUSED_PAD src0_sel:DWORD src1_sel:WORD_0
	ds_read_u16 v0, v77
	ds_read_u16 v8, v75
	s_waitcnt lgkmcnt(3)
	v_add_u32_sdwa v25, v11, v80 dst_sel:DWORD dst_unused:UNUSED_PAD src0_sel:DWORD src1_sel:WORD_0
	;; [unrolled: 15-line block ×3, first 2 shown]
	s_waitcnt lgkmcnt(2)
	v_add_u32_sdwa v36, v0, v68 dst_sel:DWORD dst_unused:UNUSED_PAD src0_sel:DWORD src1_sel:WORD_0
	ds_read_u16 v0, v63
	ds_read_u16 v11, v61
	s_waitcnt lgkmcnt(3)
	v_add_u32_sdwa v35, v6, v66 dst_sel:DWORD dst_unused:UNUSED_PAD src0_sel:DWORD src1_sel:WORD_0
	ds_read_u16 v6, v59
	s_waitcnt lgkmcnt(3)
	v_add_u32_sdwa v34, v8, v64 dst_sel:DWORD dst_unused:UNUSED_PAD src0_sel:DWORD src1_sel:WORD_0
	s_waitcnt lgkmcnt(2)
	v_add_u32_sdwa v41, v0, v62 dst_sel:DWORD dst_unused:UNUSED_PAD src0_sel:DWORD src1_sel:WORD_0
	;; [unrolled: 2-line block ×3, first 2 shown]
	ds_read_u16 v0, v57
	ds_read_u16 v8, v55
	;; [unrolled: 1-line block ×3, first 2 shown]
	s_waitcnt lgkmcnt(3)
	v_add_u32_sdwa v39, v6, v58 dst_sel:DWORD dst_unused:UNUSED_PAD src0_sel:DWORD src1_sel:WORD_0
	ds_read_u16 v6, v38
	s_waitcnt lgkmcnt(3)
	v_add_u32_sdwa v38, v0, v56 dst_sel:DWORD dst_unused:UNUSED_PAD src0_sel:DWORD src1_sel:WORD_0
	s_waitcnt lgkmcnt(2)
	v_add_u32_sdwa v46, v8, v54 dst_sel:DWORD dst_unused:UNUSED_PAD src0_sel:DWORD src1_sel:WORD_0
	ds_read_u16 v0, v24
	s_waitcnt lgkmcnt(2)
	v_add_u32_sdwa v45, v11, v45 dst_sel:DWORD dst_unused:UNUSED_PAD src0_sel:DWORD src1_sel:WORD_0
	s_waitcnt lgkmcnt(1)
	v_add_u32_sdwa v44, v6, v33 dst_sel:DWORD dst_unused:UNUSED_PAD src0_sel:DWORD src1_sel:WORD_0
	ds_read_u16 v6, v13
	ds_read_u16 v8, v9
	;; [unrolled: 1-line block ×4, first 2 shown]
	s_waitcnt lgkmcnt(4)
	v_add_u32_sdwa v43, v0, v15 dst_sel:DWORD dst_unused:UNUSED_PAD src0_sel:DWORD src1_sel:WORD_0
	s_waitcnt lgkmcnt(3)
	v_add_u32_sdwa v6, v6, v10 dst_sel:DWORD dst_unused:UNUSED_PAD src0_sel:DWORD src1_sel:WORD_0
	;; [unrolled: 2-line block ×5, first 2 shown]
	v_lshlrev_b32_e32 v0, 2, v1
	global_store_dwordx4 v0, v[3:6], s[0:1]
	global_store_dwordx4 v0, v[43:46], s[0:1] offset:16
	global_store_dwordx4 v0, v[38:41], s[0:1] offset:32
	;; [unrolled: 1-line block ×7, first 2 shown]
	s_endpgm
	.section	.rodata,"a",@progbits
	.p2align	6, 0x0
	.amdhsa_kernel _Z11rank_kernelIiLj4ELb0EL18RadixRankAlgorithm0ELj128ELj32ELj10EEvPKT_Pi
		.amdhsa_group_segment_fixed_size 4104
		.amdhsa_private_segment_fixed_size 0
		.amdhsa_kernarg_size 16
		.amdhsa_user_sgpr_count 6
		.amdhsa_user_sgpr_private_segment_buffer 1
		.amdhsa_user_sgpr_dispatch_ptr 0
		.amdhsa_user_sgpr_queue_ptr 0
		.amdhsa_user_sgpr_kernarg_segment_ptr 1
		.amdhsa_user_sgpr_dispatch_id 0
		.amdhsa_user_sgpr_flat_scratch_init 0
		.amdhsa_user_sgpr_private_segment_size 0
		.amdhsa_uses_dynamic_stack 0
		.amdhsa_system_sgpr_private_segment_wavefront_offset 0
		.amdhsa_system_sgpr_workgroup_id_x 1
		.amdhsa_system_sgpr_workgroup_id_y 0
		.amdhsa_system_sgpr_workgroup_id_z 0
		.amdhsa_system_sgpr_workgroup_info 0
		.amdhsa_system_vgpr_workitem_id 0
		.amdhsa_next_free_vgpr 113
		.amdhsa_next_free_sgpr 61
		.amdhsa_reserve_vcc 1
		.amdhsa_reserve_flat_scratch 0
		.amdhsa_float_round_mode_32 0
		.amdhsa_float_round_mode_16_64 0
		.amdhsa_float_denorm_mode_32 3
		.amdhsa_float_denorm_mode_16_64 3
		.amdhsa_dx10_clamp 1
		.amdhsa_ieee_mode 1
		.amdhsa_fp16_overflow 0
		.amdhsa_exception_fp_ieee_invalid_op 0
		.amdhsa_exception_fp_denorm_src 0
		.amdhsa_exception_fp_ieee_div_zero 0
		.amdhsa_exception_fp_ieee_overflow 0
		.amdhsa_exception_fp_ieee_underflow 0
		.amdhsa_exception_fp_ieee_inexact 0
		.amdhsa_exception_int_div_zero 0
	.end_amdhsa_kernel
	.section	.text._Z11rank_kernelIiLj4ELb0EL18RadixRankAlgorithm0ELj128ELj32ELj10EEvPKT_Pi,"axG",@progbits,_Z11rank_kernelIiLj4ELb0EL18RadixRankAlgorithm0ELj128ELj32ELj10EEvPKT_Pi,comdat
.Lfunc_end12:
	.size	_Z11rank_kernelIiLj4ELb0EL18RadixRankAlgorithm0ELj128ELj32ELj10EEvPKT_Pi, .Lfunc_end12-_Z11rank_kernelIiLj4ELb0EL18RadixRankAlgorithm0ELj128ELj32ELj10EEvPKT_Pi
                                        ; -- End function
	.set _Z11rank_kernelIiLj4ELb0EL18RadixRankAlgorithm0ELj128ELj32ELj10EEvPKT_Pi.num_vgpr, 113
	.set _Z11rank_kernelIiLj4ELb0EL18RadixRankAlgorithm0ELj128ELj32ELj10EEvPKT_Pi.num_agpr, 0
	.set _Z11rank_kernelIiLj4ELb0EL18RadixRankAlgorithm0ELj128ELj32ELj10EEvPKT_Pi.numbered_sgpr, 32
	.set _Z11rank_kernelIiLj4ELb0EL18RadixRankAlgorithm0ELj128ELj32ELj10EEvPKT_Pi.num_named_barrier, 0
	.set _Z11rank_kernelIiLj4ELb0EL18RadixRankAlgorithm0ELj128ELj32ELj10EEvPKT_Pi.private_seg_size, 0
	.set _Z11rank_kernelIiLj4ELb0EL18RadixRankAlgorithm0ELj128ELj32ELj10EEvPKT_Pi.uses_vcc, 1
	.set _Z11rank_kernelIiLj4ELb0EL18RadixRankAlgorithm0ELj128ELj32ELj10EEvPKT_Pi.uses_flat_scratch, 0
	.set _Z11rank_kernelIiLj4ELb0EL18RadixRankAlgorithm0ELj128ELj32ELj10EEvPKT_Pi.has_dyn_sized_stack, 0
	.set _Z11rank_kernelIiLj4ELb0EL18RadixRankAlgorithm0ELj128ELj32ELj10EEvPKT_Pi.has_recursion, 0
	.set _Z11rank_kernelIiLj4ELb0EL18RadixRankAlgorithm0ELj128ELj32ELj10EEvPKT_Pi.has_indirect_call, 0
	.section	.AMDGPU.csdata,"",@progbits
; Kernel info:
; codeLenInByte = 3520
; TotalNumSgprs: 36
; NumVgprs: 113
; ScratchSize: 0
; MemoryBound: 0
; FloatMode: 240
; IeeeMode: 1
; LDSByteSize: 4104 bytes/workgroup (compile time only)
; SGPRBlocks: 8
; VGPRBlocks: 28
; NumSGPRsForWavesPerEU: 65
; NumVGPRsForWavesPerEU: 113
; Occupancy: 2
; WaveLimiterHint : 0
; COMPUTE_PGM_RSRC2:SCRATCH_EN: 0
; COMPUTE_PGM_RSRC2:USER_SGPR: 6
; COMPUTE_PGM_RSRC2:TRAP_HANDLER: 0
; COMPUTE_PGM_RSRC2:TGID_X_EN: 1
; COMPUTE_PGM_RSRC2:TGID_Y_EN: 0
; COMPUTE_PGM_RSRC2:TGID_Z_EN: 0
; COMPUTE_PGM_RSRC2:TIDIG_COMP_CNT: 0
	.section	.text._Z11rank_kernelIiLj4ELb0EL18RadixRankAlgorithm1ELj128ELj32ELj10EEvPKT_Pi,"axG",@progbits,_Z11rank_kernelIiLj4ELb0EL18RadixRankAlgorithm1ELj128ELj32ELj10EEvPKT_Pi,comdat
	.protected	_Z11rank_kernelIiLj4ELb0EL18RadixRankAlgorithm1ELj128ELj32ELj10EEvPKT_Pi ; -- Begin function _Z11rank_kernelIiLj4ELb0EL18RadixRankAlgorithm1ELj128ELj32ELj10EEvPKT_Pi
	.globl	_Z11rank_kernelIiLj4ELb0EL18RadixRankAlgorithm1ELj128ELj32ELj10EEvPKT_Pi
	.p2align	8
	.type	_Z11rank_kernelIiLj4ELb0EL18RadixRankAlgorithm1ELj128ELj32ELj10EEvPKT_Pi,@function
_Z11rank_kernelIiLj4ELb0EL18RadixRankAlgorithm1ELj128ELj32ELj10EEvPKT_Pi: ; @_Z11rank_kernelIiLj4ELb0EL18RadixRankAlgorithm1ELj128ELj32ELj10EEvPKT_Pi
; %bb.0:
	s_load_dwordx4 s[20:23], s[4:5], 0x0
	s_lshl_b32 s26, s6, 12
	s_mov_b32 s27, 0
	s_lshl_b64 s[24:25], s[26:27], 2
	v_lshlrev_b32_e32 v9, 7, v0
	s_waitcnt lgkmcnt(0)
	s_add_u32 s0, s20, s24
	s_addc_u32 s1, s21, s25
	global_load_dwordx4 v[1:4], v9, s[0:1]
	global_load_dwordx4 v[5:8], v9, s[0:1] offset:16
	global_load_dwordx4 v[10:13], v9, s[0:1] offset:32
	global_load_dwordx4 v[37:40], v9, s[0:1] offset:48
	global_load_dwordx4 v[42:45], v9, s[0:1] offset:64
	global_load_dwordx4 v[47:50], v9, s[0:1] offset:80
	global_load_dwordx4 v[52:55], v9, s[0:1] offset:96
	global_load_dwordx4 v[57:60], v9, s[0:1] offset:112
	v_mbcnt_lo_u32_b32 v9, -1, 0
	v_mbcnt_hi_u32_b32 v17, -1, v9
	v_or_b32_e32 v15, 63, v0
	v_subrev_co_u32_e64 v22, s[4:5], 1, v17
	v_and_b32_e32 v23, 64, v17
	v_cmp_eq_u32_e64 s[2:3], v0, v15
	v_and_b32_e32 v15, 15, v17
	v_cmp_lt_i32_e64 s[18:19], v22, v23
	v_lshrrev_b32_e32 v18, 4, v0
	v_lshlrev_b32_e32 v9, 5, v0
	v_mul_i32_i24_e32 v20, 0xffffffe4, v0
	v_and_b32_e32 v21, 16, v17
	v_and_b32_e32 v24, 1, v17
	v_cmp_eq_u32_e64 s[8:9], 0, v15
	v_cmp_lt_u32_e64 s[10:11], 1, v15
	v_cmp_lt_u32_e64 s[12:13], 3, v15
	;; [unrolled: 1-line block ×3, first 2 shown]
	v_cndmask_b32_e64 v15, v22, v17, s[18:19]
	s_movk_i32 s26, 0x37f
	s_movk_i32 s30, 0x380
	v_mov_b32_e32 v14, 0
	v_cmp_gt_u32_e32 vcc, 2, v0
	v_cmp_lt_u32_e64 s[0:1], 63, v0
	v_lshlrev_b32_e32 v16, 2, v0
	v_cmp_lt_u32_e64 s[6:7], 31, v17
	v_and_b32_e32 v19, 4, v18
	v_add_u32_e32 v20, v9, v20
	v_cmp_eq_u32_e64 s[16:17], 0, v21
	v_cmp_eq_u32_e64 s[18:19], 0, v24
	v_lshlrev_b32_e32 v22, 2, v15
	v_or_b32_e32 v61, 0xffffff80, v0
	s_waitcnt vmcnt(7)
	v_xor_b32_e32 v24, 0x80000000, v1
	v_xor_b32_e32 v25, 0x80000000, v2
	v_xor_b32_e32 v26, 0x80000000, v3
	v_xor_b32_e32 v27, 0x80000000, v4
	s_waitcnt vmcnt(6)
	v_xor_b32_e32 v28, 0x80000000, v5
	v_xor_b32_e32 v29, 0x80000000, v6
	v_xor_b32_e32 v30, 0x80000000, v7
	v_xor_b32_e32 v31, 0x80000000, v8
	;; [unrolled: 5-line block ×8, first 2 shown]
	s_branch .LBB13_2
.LBB13_1:                               ;   in Loop: Header=BB13_2 Depth=1
	s_add_i32 s27, s27, 1
	s_cmp_eq_u32 s27, 10
	s_cbranch_scc1 .LBB13_12
.LBB13_2:                               ; =>This Loop Header: Depth=1
                                        ;     Child Loop BB13_4 Depth 2
                                        ;       Child Loop BB13_5 Depth 3
	s_mov_b32 s31, 0
	s_branch .LBB13_4
.LBB13_3:                               ;   in Loop: Header=BB13_4 Depth=2
	s_or_b64 exec, exec, s[20:21]
	s_waitcnt lgkmcnt(0)
	v_add_u32_e32 v4, v112, v4
	ds_bpermute_b32 v4, v22, v4
	ds_read_b32 v113, v14 offset:4100
	s_add_i32 s20, s31, 4
	s_cmp_lt_u32 s31, 28
	s_mov_b32 s31, s20
	s_waitcnt lgkmcnt(1)
	v_cndmask_b32_e64 v4, v4, v112, s[4:5]
	s_waitcnt lgkmcnt(0)
	v_lshl_add_u32 v4, v113, 16, v4
	v_add_u32_e32 v5, v4, v5
	v_add_u32_e32 v6, v5, v6
	;; [unrolled: 1-line block ×7, first 2 shown]
	ds_write2_b64 v9, v[4:5], v[6:7] offset1:1
	ds_write2_b64 v9, v[112:113], v[1:2] offset0:2 offset1:3
	s_waitcnt lgkmcnt(0)
	s_barrier
	s_cbranch_scc0 .LBB13_1
.LBB13_4:                               ;   Parent Loop BB13_2 Depth=1
                                        ; =>  This Loop Header: Depth=2
                                        ;       Child Loop BB13_5 Depth 3
	s_mov_b64 s[28:29], 0
	v_mov_b32_e32 v1, v61
	v_mov_b32_e32 v2, v16
.LBB13_5:                               ;   Parent Loop BB13_2 Depth=1
                                        ;     Parent Loop BB13_4 Depth=2
                                        ; =>    This Inner Loop Header: Depth=3
	v_add_u32_e32 v1, 0x80, v1
	v_cmp_lt_u32_e64 s[20:21], s26, v1
	ds_write_b32 v2, v14
	s_or_b64 s[28:29], s[20:21], s[28:29]
	v_add_u32_e32 v2, 0x200, v2
	s_andn2_b64 exec, exec, s[28:29]
	s_cbranch_execnz .LBB13_5
; %bb.6:                                ;   in Loop: Header=BB13_4 Depth=2
	s_or_b64 exec, exec, s[28:29]
	s_sub_i32 s20, 28, s31
	v_lshlrev_b32_e32 v1, s20, v24
	v_lshrrev_b32_e32 v2, 21, v1
	v_and_or_b32 v2, v2, s30, v0
	v_alignbit_b32 v1, v2, v1, 31
	v_lshlrev_b32_e32 v11, 1, v1
	ds_read_u16 v10, v11
	v_lshlrev_b32_e32 v1, s20, v25
	v_lshrrev_b32_e32 v2, 21, v1
	v_and_or_b32 v2, v2, s30, v0
	v_alignbit_b32 v1, v2, v1, 31
	s_waitcnt lgkmcnt(0)
	v_add_u16_e32 v2, 1, v10
	ds_write_b16 v11, v2
	v_lshlrev_b32_e32 v13, 1, v1
	ds_read_u16 v12, v13
	v_lshlrev_b32_e32 v1, s20, v26
	v_lshrrev_b32_e32 v2, 21, v1
	v_and_or_b32 v2, v2, s30, v0
	v_alignbit_b32 v1, v2, v1, 31
	s_waitcnt lgkmcnt(0)
	v_add_u16_e32 v3, 1, v12
	ds_write_b16 v13, v3
	;; [unrolled: 9-line block ×3, first 2 shown]
	v_lshlrev_b32_e32 v21, 1, v1
	ds_read_u16 v18, v21
	v_lshlrev_b32_e32 v1, s20, v28
	s_waitcnt lgkmcnt(0)
	v_add_u16_e32 v2, 1, v18
	ds_write_b16 v21, v2
	v_lshrrev_b32_e32 v2, 21, v1
	v_and_or_b32 v2, v2, s30, v0
	v_alignbit_b32 v1, v2, v1, 31
	v_lshlrev_b32_e32 v32, 1, v1
	ds_read_u16 v23, v32
	s_waitcnt lgkmcnt(0)
	v_add_u16_e32 v1, 1, v23
	ds_write_b16 v32, v1
	v_lshlrev_b32_e32 v1, s20, v29
	v_lshrrev_b32_e32 v2, 21, v1
	v_and_or_b32 v2, v2, s30, v0
	v_alignbit_b32 v1, v2, v1, 31
	v_lshlrev_b32_e32 v46, 1, v1
	ds_read_u16 v41, v46
	s_waitcnt lgkmcnt(0)
	v_add_u16_e32 v1, 1, v41
	ds_write_b16 v46, v1
	v_lshlrev_b32_e32 v1, s20, v30
	;; [unrolled: 9-line block ×27, first 2 shown]
	v_lshrrev_b32_e32 v2, 21, v1
	v_and_or_b32 v2, v2, s30, v0
	v_alignbit_b32 v1, v2, v1, 31
	v_lshlrev_b32_e32 v111, 1, v1
	ds_read_u16 v108, v111
	s_waitcnt lgkmcnt(0)
	v_add_u16_e32 v1, 1, v108
	ds_write_b16 v111, v1
	s_waitcnt lgkmcnt(0)
	s_barrier
	ds_read2_b64 v[5:8], v9 offset1:1
	ds_read2_b64 v[1:4], v9 offset0:2 offset1:3
	s_waitcnt lgkmcnt(1)
	v_add_u32_e32 v112, v6, v5
	v_add3_u32 v112, v112, v7, v8
	s_waitcnt lgkmcnt(0)
	v_add3_u32 v112, v112, v1, v2
	v_add3_u32 v4, v112, v3, v4
	s_nop 1
	v_mov_b32_dpp v112, v4 row_shr:1 row_mask:0xf bank_mask:0xf
	v_cndmask_b32_e64 v112, v112, 0, s[8:9]
	v_add_u32_e32 v4, v112, v4
	s_nop 1
	v_mov_b32_dpp v112, v4 row_shr:2 row_mask:0xf bank_mask:0xf
	v_cndmask_b32_e64 v112, 0, v112, s[10:11]
	v_add_u32_e32 v4, v4, v112
	;; [unrolled: 4-line block ×4, first 2 shown]
	s_nop 1
	v_mov_b32_dpp v112, v4 row_bcast:15 row_mask:0xf bank_mask:0xf
	v_cndmask_b32_e64 v112, v112, 0, s[16:17]
	v_add_u32_e32 v4, v4, v112
	s_nop 1
	v_mov_b32_dpp v112, v4 row_bcast:31 row_mask:0xf bank_mask:0xf
	v_cndmask_b32_e64 v112, 0, v112, s[6:7]
	v_add_u32_e32 v4, v4, v112
	s_and_saveexec_b64 s[20:21], s[2:3]
; %bb.7:                                ;   in Loop: Header=BB13_4 Depth=2
	ds_write_b32 v19, v4 offset:4096
; %bb.8:                                ;   in Loop: Header=BB13_4 Depth=2
	s_or_b64 exec, exec, s[20:21]
	s_waitcnt lgkmcnt(0)
	s_barrier
	s_and_saveexec_b64 s[20:21], vcc
	s_cbranch_execz .LBB13_10
; %bb.9:                                ;   in Loop: Header=BB13_4 Depth=2
	ds_read_b32 v112, v20 offset:4096
	s_waitcnt lgkmcnt(0)
	s_nop 0
	v_mov_b32_dpp v113, v112 row_shr:1 row_mask:0xf bank_mask:0xf
	v_cndmask_b32_e64 v113, v113, 0, s[18:19]
	v_add_u32_e32 v112, v113, v112
	ds_write_b32 v20, v112 offset:4096
.LBB13_10:                              ;   in Loop: Header=BB13_4 Depth=2
	s_or_b64 exec, exec, s[20:21]
	v_mov_b32_e32 v112, 0
	s_waitcnt lgkmcnt(0)
	s_barrier
	s_and_saveexec_b64 s[20:21], s[0:1]
	s_cbranch_execz .LBB13_3
; %bb.11:                               ;   in Loop: Header=BB13_4 Depth=2
	ds_read_b32 v112, v19 offset:4092
	s_branch .LBB13_3
.LBB13_12:
	ds_read_u16 v0, v111
	ds_read_u16 v1, v110
	;; [unrolled: 1-line block ×3, first 2 shown]
	s_add_u32 s0, s22, s24
	s_addc_u32 s1, s23, s25
	s_waitcnt lgkmcnt(2)
	v_add_u32_sdwa v3, v0, v108 dst_sel:DWORD dst_unused:UNUSED_PAD src0_sel:DWORD src1_sel:WORD_0
	s_waitcnt lgkmcnt(1)
	v_add_u32_sdwa v2, v1, v107 dst_sel:DWORD dst_unused:UNUSED_PAD src0_sel:DWORD src1_sel:WORD_0
	ds_read_u16 v0, v105
	ds_read_u16 v5, v103
	s_waitcnt lgkmcnt(2)
	v_add_u32_sdwa v1, v4, v106 dst_sel:DWORD dst_unused:UNUSED_PAD src0_sel:DWORD src1_sel:WORD_0
	ds_read_u16 v4, v101
	ds_read_u16 v8, v99
	;; [unrolled: 1-line block ×3, first 2 shown]
	s_waitcnt lgkmcnt(4)
	v_add_u32_sdwa v0, v0, v104 dst_sel:DWORD dst_unused:UNUSED_PAD src0_sel:DWORD src1_sel:WORD_0
	s_waitcnt lgkmcnt(3)
	v_add_u32_sdwa v7, v5, v102 dst_sel:DWORD dst_unused:UNUSED_PAD src0_sel:DWORD src1_sel:WORD_0
	;; [unrolled: 2-line block ×4, first 2 shown]
	ds_read_u16 v8, v95
	ds_read_u16 v16, v93
	s_waitcnt lgkmcnt(2)
	v_add_u32_sdwa v4, v14, v96 dst_sel:DWORD dst_unused:UNUSED_PAD src0_sel:DWORD src1_sel:WORD_0
	ds_read_u16 v14, v91
	ds_read_u16 v19, v89
	s_waitcnt lgkmcnt(3)
	v_add_u32_sdwa v27, v8, v94 dst_sel:DWORD dst_unused:UNUSED_PAD src0_sel:DWORD src1_sel:WORD_0
	ds_read_u16 v8, v87
	s_waitcnt lgkmcnt(3)
	v_add_u32_sdwa v26, v16, v92 dst_sel:DWORD dst_unused:UNUSED_PAD src0_sel:DWORD src1_sel:WORD_0
	s_waitcnt lgkmcnt(2)
	v_add_u32_sdwa v25, v14, v90 dst_sel:DWORD dst_unused:UNUSED_PAD src0_sel:DWORD src1_sel:WORD_0
	ds_read_u16 v14, v85
	ds_read_u16 v16, v83
	s_waitcnt lgkmcnt(3)
	v_add_u32_sdwa v24, v19, v88 dst_sel:DWORD dst_unused:UNUSED_PAD src0_sel:DWORD src1_sel:WORD_0
	s_waitcnt lgkmcnt(2)
	v_add_u32_sdwa v31, v8, v86 dst_sel:DWORD dst_unused:UNUSED_PAD src0_sel:DWORD src1_sel:WORD_0
	ds_read_u16 v8, v81
	ds_read_u16 v19, v79
	s_waitcnt lgkmcnt(3)
	v_add_u32_sdwa v30, v14, v84 dst_sel:DWORD dst_unused:UNUSED_PAD src0_sel:DWORD src1_sel:WORD_0
	ds_read_u16 v14, v77
	s_waitcnt lgkmcnt(3)
	v_add_u32_sdwa v29, v16, v82 dst_sel:DWORD dst_unused:UNUSED_PAD src0_sel:DWORD src1_sel:WORD_0
	s_waitcnt lgkmcnt(2)
	v_add_u32_sdwa v28, v8, v80 dst_sel:DWORD dst_unused:UNUSED_PAD src0_sel:DWORD src1_sel:WORD_0
	ds_read_u16 v8, v75
	ds_read_u16 v16, v73
	s_waitcnt lgkmcnt(3)
	v_add_u32_sdwa v36, v19, v78 dst_sel:DWORD dst_unused:UNUSED_PAD src0_sel:DWORD src1_sel:WORD_0
	s_waitcnt lgkmcnt(2)
	v_add_u32_sdwa v35, v14, v76 dst_sel:DWORD dst_unused:UNUSED_PAD src0_sel:DWORD src1_sel:WORD_0
	ds_read_u16 v14, v71
	ds_read_u16 v19, v69
	s_waitcnt lgkmcnt(3)
	v_add_u32_sdwa v34, v8, v74 dst_sel:DWORD dst_unused:UNUSED_PAD src0_sel:DWORD src1_sel:WORD_0
	ds_read_u16 v8, v67
	s_waitcnt lgkmcnt(3)
	v_add_u32_sdwa v33, v16, v72 dst_sel:DWORD dst_unused:UNUSED_PAD src0_sel:DWORD src1_sel:WORD_0
	s_waitcnt lgkmcnt(2)
	v_add_u32_sdwa v40, v14, v70 dst_sel:DWORD dst_unused:UNUSED_PAD src0_sel:DWORD src1_sel:WORD_0
	;; [unrolled: 2-line block ×3, first 2 shown]
	ds_read_u16 v14, v65
	ds_read_u16 v16, v63
	ds_read_u16 v19, v58
	s_waitcnt lgkmcnt(3)
	v_add_u32_sdwa v38, v8, v66 dst_sel:DWORD dst_unused:UNUSED_PAD src0_sel:DWORD src1_sel:WORD_0
	ds_read_u16 v8, v46
	s_waitcnt lgkmcnt(3)
	v_add_u32_sdwa v37, v14, v64 dst_sel:DWORD dst_unused:UNUSED_PAD src0_sel:DWORD src1_sel:WORD_0
	s_waitcnt lgkmcnt(2)
	v_add_u32_sdwa v44, v16, v62 dst_sel:DWORD dst_unused:UNUSED_PAD src0_sel:DWORD src1_sel:WORD_0
	ds_read_u16 v14, v32
	s_waitcnt lgkmcnt(2)
	v_add_u32_sdwa v43, v19, v53 dst_sel:DWORD dst_unused:UNUSED_PAD src0_sel:DWORD src1_sel:WORD_0
	s_waitcnt lgkmcnt(1)
	v_add_u32_sdwa v42, v8, v41 dst_sel:DWORD dst_unused:UNUSED_PAD src0_sel:DWORD src1_sel:WORD_0
	ds_read_u16 v8, v21
	ds_read_u16 v16, v17
	;; [unrolled: 1-line block ×4, first 2 shown]
	s_waitcnt lgkmcnt(4)
	v_add_u32_sdwa v41, v14, v23 dst_sel:DWORD dst_unused:UNUSED_PAD src0_sel:DWORD src1_sel:WORD_0
	s_waitcnt lgkmcnt(3)
	v_add_u32_sdwa v14, v8, v18 dst_sel:DWORD dst_unused:UNUSED_PAD src0_sel:DWORD src1_sel:WORD_0
	;; [unrolled: 2-line block ×5, first 2 shown]
	v_lshlrev_b32_e32 v8, 2, v9
	global_store_dwordx4 v8, v[11:14], s[0:1]
	global_store_dwordx4 v8, v[41:44], s[0:1] offset:16
	global_store_dwordx4 v8, v[37:40], s[0:1] offset:32
	;; [unrolled: 1-line block ×7, first 2 shown]
	s_endpgm
	.section	.rodata,"a",@progbits
	.p2align	6, 0x0
	.amdhsa_kernel _Z11rank_kernelIiLj4ELb0EL18RadixRankAlgorithm1ELj128ELj32ELj10EEvPKT_Pi
		.amdhsa_group_segment_fixed_size 4104
		.amdhsa_private_segment_fixed_size 0
		.amdhsa_kernarg_size 16
		.amdhsa_user_sgpr_count 6
		.amdhsa_user_sgpr_private_segment_buffer 1
		.amdhsa_user_sgpr_dispatch_ptr 0
		.amdhsa_user_sgpr_queue_ptr 0
		.amdhsa_user_sgpr_kernarg_segment_ptr 1
		.amdhsa_user_sgpr_dispatch_id 0
		.amdhsa_user_sgpr_flat_scratch_init 0
		.amdhsa_user_sgpr_private_segment_size 0
		.amdhsa_uses_dynamic_stack 0
		.amdhsa_system_sgpr_private_segment_wavefront_offset 0
		.amdhsa_system_sgpr_workgroup_id_x 1
		.amdhsa_system_sgpr_workgroup_id_y 0
		.amdhsa_system_sgpr_workgroup_id_z 0
		.amdhsa_system_sgpr_workgroup_info 0
		.amdhsa_system_vgpr_workitem_id 0
		.amdhsa_next_free_vgpr 114
		.amdhsa_next_free_sgpr 61
		.amdhsa_reserve_vcc 1
		.amdhsa_reserve_flat_scratch 0
		.amdhsa_float_round_mode_32 0
		.amdhsa_float_round_mode_16_64 0
		.amdhsa_float_denorm_mode_32 3
		.amdhsa_float_denorm_mode_16_64 3
		.amdhsa_dx10_clamp 1
		.amdhsa_ieee_mode 1
		.amdhsa_fp16_overflow 0
		.amdhsa_exception_fp_ieee_invalid_op 0
		.amdhsa_exception_fp_denorm_src 0
		.amdhsa_exception_fp_ieee_div_zero 0
		.amdhsa_exception_fp_ieee_overflow 0
		.amdhsa_exception_fp_ieee_underflow 0
		.amdhsa_exception_fp_ieee_inexact 0
		.amdhsa_exception_int_div_zero 0
	.end_amdhsa_kernel
	.section	.text._Z11rank_kernelIiLj4ELb0EL18RadixRankAlgorithm1ELj128ELj32ELj10EEvPKT_Pi,"axG",@progbits,_Z11rank_kernelIiLj4ELb0EL18RadixRankAlgorithm1ELj128ELj32ELj10EEvPKT_Pi,comdat
.Lfunc_end13:
	.size	_Z11rank_kernelIiLj4ELb0EL18RadixRankAlgorithm1ELj128ELj32ELj10EEvPKT_Pi, .Lfunc_end13-_Z11rank_kernelIiLj4ELb0EL18RadixRankAlgorithm1ELj128ELj32ELj10EEvPKT_Pi
                                        ; -- End function
	.set _Z11rank_kernelIiLj4ELb0EL18RadixRankAlgorithm1ELj128ELj32ELj10EEvPKT_Pi.num_vgpr, 114
	.set _Z11rank_kernelIiLj4ELb0EL18RadixRankAlgorithm1ELj128ELj32ELj10EEvPKT_Pi.num_agpr, 0
	.set _Z11rank_kernelIiLj4ELb0EL18RadixRankAlgorithm1ELj128ELj32ELj10EEvPKT_Pi.numbered_sgpr, 32
	.set _Z11rank_kernelIiLj4ELb0EL18RadixRankAlgorithm1ELj128ELj32ELj10EEvPKT_Pi.num_named_barrier, 0
	.set _Z11rank_kernelIiLj4ELb0EL18RadixRankAlgorithm1ELj128ELj32ELj10EEvPKT_Pi.private_seg_size, 0
	.set _Z11rank_kernelIiLj4ELb0EL18RadixRankAlgorithm1ELj128ELj32ELj10EEvPKT_Pi.uses_vcc, 1
	.set _Z11rank_kernelIiLj4ELb0EL18RadixRankAlgorithm1ELj128ELj32ELj10EEvPKT_Pi.uses_flat_scratch, 0
	.set _Z11rank_kernelIiLj4ELb0EL18RadixRankAlgorithm1ELj128ELj32ELj10EEvPKT_Pi.has_dyn_sized_stack, 0
	.set _Z11rank_kernelIiLj4ELb0EL18RadixRankAlgorithm1ELj128ELj32ELj10EEvPKT_Pi.has_recursion, 0
	.set _Z11rank_kernelIiLj4ELb0EL18RadixRankAlgorithm1ELj128ELj32ELj10EEvPKT_Pi.has_indirect_call, 0
	.section	.AMDGPU.csdata,"",@progbits
; Kernel info:
; codeLenInByte = 3484
; TotalNumSgprs: 36
; NumVgprs: 114
; ScratchSize: 0
; MemoryBound: 0
; FloatMode: 240
; IeeeMode: 1
; LDSByteSize: 4104 bytes/workgroup (compile time only)
; SGPRBlocks: 8
; VGPRBlocks: 28
; NumSGPRsForWavesPerEU: 65
; NumVGPRsForWavesPerEU: 114
; Occupancy: 2
; WaveLimiterHint : 0
; COMPUTE_PGM_RSRC2:SCRATCH_EN: 0
; COMPUTE_PGM_RSRC2:USER_SGPR: 6
; COMPUTE_PGM_RSRC2:TRAP_HANDLER: 0
; COMPUTE_PGM_RSRC2:TGID_X_EN: 1
; COMPUTE_PGM_RSRC2:TGID_Y_EN: 0
; COMPUTE_PGM_RSRC2:TGID_Z_EN: 0
; COMPUTE_PGM_RSRC2:TIDIG_COMP_CNT: 0
	.section	.text._Z11rank_kernelIiLj4ELb0EL18RadixRankAlgorithm2ELj128ELj32ELj10EEvPKT_Pi,"axG",@progbits,_Z11rank_kernelIiLj4ELb0EL18RadixRankAlgorithm2ELj128ELj32ELj10EEvPKT_Pi,comdat
	.protected	_Z11rank_kernelIiLj4ELb0EL18RadixRankAlgorithm2ELj128ELj32ELj10EEvPKT_Pi ; -- Begin function _Z11rank_kernelIiLj4ELb0EL18RadixRankAlgorithm2ELj128ELj32ELj10EEvPKT_Pi
	.globl	_Z11rank_kernelIiLj4ELb0EL18RadixRankAlgorithm2ELj128ELj32ELj10EEvPKT_Pi
	.p2align	8
	.type	_Z11rank_kernelIiLj4ELb0EL18RadixRankAlgorithm2ELj128ELj32ELj10EEvPKT_Pi,@function
_Z11rank_kernelIiLj4ELb0EL18RadixRankAlgorithm2ELj128ELj32ELj10EEvPKT_Pi: ; @_Z11rank_kernelIiLj4ELb0EL18RadixRankAlgorithm2ELj128ELj32ELj10EEvPKT_Pi
; %bb.0:
	s_load_dwordx4 s[24:27], s[4:5], 0x0
	s_load_dword s20, s[4:5], 0x1c
	s_lshl_b32 s30, s6, 12
	s_mov_b32 s31, 0
	s_lshl_b64 s[28:29], s[30:31], 2
	s_waitcnt lgkmcnt(0)
	s_add_u32 s0, s24, s28
	s_addc_u32 s1, s25, s29
	v_lshlrev_b32_e32 v3, 7, v0
	global_load_dwordx4 v[13:16], v3, s[0:1]
	global_load_dwordx4 v[17:20], v3, s[0:1] offset:16
	global_load_dwordx4 v[21:24], v3, s[0:1] offset:32
	;; [unrolled: 1-line block ×7, first 2 shown]
	v_mbcnt_lo_u32_b32 v3, -1, 0
	v_mbcnt_hi_u32_b32 v5, -1, v3
	s_lshr_b32 s21, s20, 16
	v_or_b32_e32 v4, 63, v0
	v_subrev_co_u32_e64 v10, s[4:5], 1, v5
	v_and_b32_e32 v11, 64, v5
	s_and_b32 s20, s20, 0xffff
	v_mad_u32_u24 v1, v2, s21, v1
	v_cmp_gt_u32_e32 vcc, 2, v0
	v_cmp_lt_u32_e64 s[0:1], 63, v0
	v_lshlrev_b32_e32 v3, 5, v0
	v_lshlrev_b32_e32 v8, 2, v0
	v_lshrrev_b32_e32 v6, 4, v0
	v_cmp_eq_u32_e64 s[2:3], v0, v4
	v_and_b32_e32 v4, 15, v5
	v_cmp_lt_i32_e64 s[18:19], v10, v11
	v_mad_u32_u24 v0, v1, s20, v0
	v_and_b32_e32 v7, 16, v5
	v_and_b32_e32 v12, 1, v5
	v_and_b32_e32 v9, 4, v6
	v_cmp_eq_u32_e64 s[8:9], 0, v4
	v_cmp_lt_u32_e64 s[10:11], 1, v4
	v_cmp_lt_u32_e64 s[12:13], 3, v4
	;; [unrolled: 1-line block ×3, first 2 shown]
	v_cndmask_b32_e64 v4, v10, v5, s[18:19]
	v_lshrrev_b32_e32 v0, 4, v0
	v_cmp_lt_u32_e64 s[6:7], 31, v5
	v_cmp_eq_u32_e64 s[16:17], 0, v7
	v_cmp_eq_u32_e64 s[18:19], 0, v12
	v_add_u32_e32 v11, -4, v9
	v_lshlrev_b32_e32 v12, 2, v4
	v_and_b32_e32 v4, 0xffffffc, v0
	v_mov_b32_e32 v0, 0
	s_waitcnt vmcnt(7)
	v_xor_b32_e32 v13, 0x80000000, v13
	v_xor_b32_e32 v14, 0x80000000, v14
	v_xor_b32_e32 v15, 0x80000000, v15
	v_xor_b32_e32 v16, 0x80000000, v16
	s_waitcnt vmcnt(6)
	v_xor_b32_e32 v17, 0x80000000, v17
	v_xor_b32_e32 v18, 0x80000000, v18
	v_xor_b32_e32 v19, 0x80000000, v19
	v_xor_b32_e32 v20, 0x80000000, v20
	;; [unrolled: 5-line block ×8, first 2 shown]
	s_branch .LBB14_2
.LBB14_1:                               ;   in Loop: Header=BB14_2 Depth=1
	s_add_i32 s31, s31, 1
	s_cmp_eq_u32 s31, 10
	s_cbranch_scc1 .LBB14_74
.LBB14_2:                               ; =>This Loop Header: Depth=1
                                        ;     Child Loop BB14_4 Depth 2
	s_mov_b32 s24, -4
	s_mov_b32 s25, 28
	s_branch .LBB14_4
.LBB14_3:                               ;   in Loop: Header=BB14_4 Depth=2
	s_or_b64 exec, exec, s[20:21]
	s_waitcnt lgkmcnt(0)
	v_add_u32_e32 v1, v2, v1
	ds_bpermute_b32 v1, v12, v1
	s_add_i32 s25, s25, -4
	s_add_i32 s24, s24, 4
	s_cmp_lt_u32 s24, 28
	s_waitcnt lgkmcnt(0)
	v_cndmask_b32_e64 v1, v1, v2, s[4:5]
	ds_write_b32 v8, v1 offset:8
	s_waitcnt lgkmcnt(0)
	s_barrier
	s_cbranch_scc0 .LBB14_1
.LBB14_4:                               ;   Parent Loop BB14_2 Depth=1
                                        ; =>  This Inner Loop Header: Depth=2
	v_lshlrev_b32_e32 v1, s25, v13
	v_lshrrev_b32_e32 v2, 28, v1
	v_and_b32_e32 v1, 1, v2
	v_add_co_u32_e64 v6, s[20:21], -1, v1
	v_addc_co_u32_e64 v7, s[20:21], 0, -1, s[20:21]
	v_cmp_ne_u32_e64 s[20:21], 0, v1
	v_xor_b32_e32 v1, s21, v7
	v_and_b32_e32 v7, exec_hi, v1
	v_lshlrev_b32_e32 v1, 30, v2
	v_xor_b32_e32 v6, s20, v6
	v_cmp_gt_i64_e64 s[20:21], 0, v[0:1]
	v_not_b32_e32 v1, v1
	v_ashrrev_i32_e32 v1, 31, v1
	v_and_b32_e32 v6, exec_lo, v6
	v_xor_b32_e32 v10, s21, v1
	v_xor_b32_e32 v1, s20, v1
	v_and_b32_e32 v6, v6, v1
	v_lshlrev_b32_e32 v1, 29, v2
	v_cmp_gt_i64_e64 s[20:21], 0, v[0:1]
	v_not_b32_e32 v1, v1
	v_ashrrev_i32_e32 v1, 31, v1
	v_and_b32_e32 v7, v7, v10
	v_xor_b32_e32 v10, s21, v1
	v_xor_b32_e32 v1, s20, v1
	v_and_b32_e32 v6, v6, v1
	v_lshlrev_b32_e32 v1, 28, v2
	v_cmp_gt_i64_e64 s[20:21], 0, v[0:1]
	v_not_b32_e32 v1, v1
	v_ashrrev_i32_e32 v1, 31, v1
	v_mul_u32_u24_e32 v5, 12, v2
	v_xor_b32_e32 v2, s21, v1
	v_xor_b32_e32 v1, s20, v1
	v_and_b32_e32 v7, v7, v10
	v_and_b32_e32 v1, v6, v1
	;; [unrolled: 1-line block ×3, first 2 shown]
	v_mbcnt_lo_u32_b32 v6, v1, 0
	v_mbcnt_hi_u32_b32 v6, v2, v6
	v_cmp_ne_u64_e64 s[20:21], 0, v[1:2]
	v_cmp_eq_u32_e64 s[22:23], 0, v6
	s_and_b64 s[22:23], s[20:21], s[22:23]
	ds_write_b32 v8, v0 offset:8
	s_waitcnt lgkmcnt(0)
	s_barrier
	; wave barrier
	s_and_saveexec_b64 s[20:21], s[22:23]
; %bb.5:                                ;   in Loop: Header=BB14_4 Depth=2
	v_bcnt_u32_b32 v1, v1, 0
	v_bcnt_u32_b32 v1, v2, v1
	v_add_u32_e32 v2, v4, v5
	ds_write_b32 v2, v1 offset:8
; %bb.6:                                ;   in Loop: Header=BB14_4 Depth=2
	s_or_b64 exec, exec, s[20:21]
	v_lshlrev_b32_e32 v1, s25, v14
	v_lshrrev_b32_e32 v2, 28, v1
	v_mad_u32_u24 v1, v2, 12, v4
	; wave barrier
	ds_read_b32 v7, v1 offset:8
	v_and_b32_e32 v1, 1, v2
	v_add_co_u32_e64 v28, s[20:21], -1, v1
	v_addc_co_u32_e64 v46, s[20:21], 0, -1, s[20:21]
	v_cmp_ne_u32_e64 s[20:21], 0, v1
	v_xor_b32_e32 v1, s21, v46
	v_and_b32_e32 v46, exec_hi, v1
	v_lshlrev_b32_e32 v1, 30, v2
	v_xor_b32_e32 v28, s20, v28
	v_cmp_gt_i64_e64 s[20:21], 0, v[0:1]
	v_not_b32_e32 v1, v1
	v_ashrrev_i32_e32 v1, 31, v1
	v_and_b32_e32 v28, exec_lo, v28
	v_xor_b32_e32 v47, s21, v1
	v_xor_b32_e32 v1, s20, v1
	v_and_b32_e32 v28, v28, v1
	v_lshlrev_b32_e32 v1, 29, v2
	v_cmp_gt_i64_e64 s[20:21], 0, v[0:1]
	v_not_b32_e32 v1, v1
	v_ashrrev_i32_e32 v1, 31, v1
	v_and_b32_e32 v46, v46, v47
	v_xor_b32_e32 v47, s21, v1
	v_xor_b32_e32 v1, s20, v1
	v_and_b32_e32 v28, v28, v1
	v_lshlrev_b32_e32 v1, 28, v2
	v_cmp_gt_i64_e64 s[20:21], 0, v[0:1]
	v_not_b32_e32 v1, v1
	v_ashrrev_i32_e32 v1, 31, v1
	v_mul_u32_u24_e32 v10, 12, v2
	v_xor_b32_e32 v2, s21, v1
	v_xor_b32_e32 v1, s20, v1
	v_and_b32_e32 v46, v46, v47
	v_and_b32_e32 v1, v28, v1
	;; [unrolled: 1-line block ×3, first 2 shown]
	v_mbcnt_lo_u32_b32 v28, v1, 0
	v_mbcnt_hi_u32_b32 v28, v2, v28
	v_cmp_ne_u64_e64 s[20:21], 0, v[1:2]
	v_cmp_eq_u32_e64 s[22:23], 0, v28
	s_and_b64 s[22:23], s[20:21], s[22:23]
	; wave barrier
	s_and_saveexec_b64 s[20:21], s[22:23]
	s_cbranch_execz .LBB14_8
; %bb.7:                                ;   in Loop: Header=BB14_4 Depth=2
	v_bcnt_u32_b32 v1, v1, 0
	v_bcnt_u32_b32 v1, v2, v1
	s_waitcnt lgkmcnt(0)
	v_add_u32_e32 v1, v7, v1
	v_add_u32_e32 v2, v4, v10
	ds_write_b32 v2, v1 offset:8
.LBB14_8:                               ;   in Loop: Header=BB14_4 Depth=2
	s_or_b64 exec, exec, s[20:21]
	v_lshlrev_b32_e32 v1, s25, v15
	v_lshrrev_b32_e32 v2, 28, v1
	v_mad_u32_u24 v1, v2, 12, v4
	; wave barrier
	ds_read_b32 v46, v1 offset:8
	v_and_b32_e32 v1, 1, v2
	v_add_co_u32_e64 v48, s[20:21], -1, v1
	v_addc_co_u32_e64 v49, s[20:21], 0, -1, s[20:21]
	v_cmp_ne_u32_e64 s[20:21], 0, v1
	v_xor_b32_e32 v1, s21, v49
	v_and_b32_e32 v49, exec_hi, v1
	v_lshlrev_b32_e32 v1, 30, v2
	v_xor_b32_e32 v48, s20, v48
	v_cmp_gt_i64_e64 s[20:21], 0, v[0:1]
	v_not_b32_e32 v1, v1
	v_ashrrev_i32_e32 v1, 31, v1
	v_and_b32_e32 v48, exec_lo, v48
	v_xor_b32_e32 v50, s21, v1
	v_xor_b32_e32 v1, s20, v1
	v_and_b32_e32 v48, v48, v1
	v_lshlrev_b32_e32 v1, 29, v2
	v_cmp_gt_i64_e64 s[20:21], 0, v[0:1]
	v_not_b32_e32 v1, v1
	v_ashrrev_i32_e32 v1, 31, v1
	v_and_b32_e32 v49, v49, v50
	v_xor_b32_e32 v50, s21, v1
	v_xor_b32_e32 v1, s20, v1
	v_and_b32_e32 v48, v48, v1
	v_lshlrev_b32_e32 v1, 28, v2
	v_cmp_gt_i64_e64 s[20:21], 0, v[0:1]
	v_not_b32_e32 v1, v1
	v_ashrrev_i32_e32 v1, 31, v1
	v_mul_u32_u24_e32 v47, 12, v2
	v_xor_b32_e32 v2, s21, v1
	v_xor_b32_e32 v1, s20, v1
	v_and_b32_e32 v49, v49, v50
	v_and_b32_e32 v1, v48, v1
	;; [unrolled: 1-line block ×3, first 2 shown]
	v_mbcnt_lo_u32_b32 v48, v1, 0
	v_mbcnt_hi_u32_b32 v48, v2, v48
	v_cmp_ne_u64_e64 s[20:21], 0, v[1:2]
	v_cmp_eq_u32_e64 s[22:23], 0, v48
	s_and_b64 s[22:23], s[20:21], s[22:23]
	; wave barrier
	s_and_saveexec_b64 s[20:21], s[22:23]
	s_cbranch_execz .LBB14_10
; %bb.9:                                ;   in Loop: Header=BB14_4 Depth=2
	v_bcnt_u32_b32 v1, v1, 0
	v_bcnt_u32_b32 v1, v2, v1
	s_waitcnt lgkmcnt(0)
	v_add_u32_e32 v1, v46, v1
	v_add_u32_e32 v2, v4, v47
	ds_write_b32 v2, v1 offset:8
.LBB14_10:                              ;   in Loop: Header=BB14_4 Depth=2
	s_or_b64 exec, exec, s[20:21]
	v_lshlrev_b32_e32 v1, s25, v16
	v_lshrrev_b32_e32 v2, 28, v1
	v_mad_u32_u24 v1, v2, 12, v4
	; wave barrier
	ds_read_b32 v49, v1 offset:8
	v_and_b32_e32 v1, 1, v2
	v_add_co_u32_e64 v51, s[20:21], -1, v1
	v_addc_co_u32_e64 v52, s[20:21], 0, -1, s[20:21]
	v_cmp_ne_u32_e64 s[20:21], 0, v1
	v_xor_b32_e32 v1, s21, v52
	v_and_b32_e32 v52, exec_hi, v1
	v_lshlrev_b32_e32 v1, 30, v2
	v_xor_b32_e32 v51, s20, v51
	v_cmp_gt_i64_e64 s[20:21], 0, v[0:1]
	v_not_b32_e32 v1, v1
	v_ashrrev_i32_e32 v1, 31, v1
	v_and_b32_e32 v51, exec_lo, v51
	v_xor_b32_e32 v53, s21, v1
	v_xor_b32_e32 v1, s20, v1
	v_and_b32_e32 v51, v51, v1
	v_lshlrev_b32_e32 v1, 29, v2
	v_cmp_gt_i64_e64 s[20:21], 0, v[0:1]
	v_not_b32_e32 v1, v1
	v_ashrrev_i32_e32 v1, 31, v1
	v_and_b32_e32 v52, v52, v53
	v_xor_b32_e32 v53, s21, v1
	v_xor_b32_e32 v1, s20, v1
	v_and_b32_e32 v51, v51, v1
	v_lshlrev_b32_e32 v1, 28, v2
	v_cmp_gt_i64_e64 s[20:21], 0, v[0:1]
	v_not_b32_e32 v1, v1
	v_ashrrev_i32_e32 v1, 31, v1
	v_mul_u32_u24_e32 v50, 12, v2
	v_xor_b32_e32 v2, s21, v1
	v_xor_b32_e32 v1, s20, v1
	v_and_b32_e32 v52, v52, v53
	v_and_b32_e32 v1, v51, v1
	v_and_b32_e32 v2, v52, v2
	v_mbcnt_lo_u32_b32 v51, v1, 0
	v_mbcnt_hi_u32_b32 v51, v2, v51
	v_cmp_ne_u64_e64 s[20:21], 0, v[1:2]
	v_cmp_eq_u32_e64 s[22:23], 0, v51
	s_and_b64 s[22:23], s[20:21], s[22:23]
	; wave barrier
	s_and_saveexec_b64 s[20:21], s[22:23]
	s_cbranch_execz .LBB14_12
; %bb.11:                               ;   in Loop: Header=BB14_4 Depth=2
	v_bcnt_u32_b32 v1, v1, 0
	v_bcnt_u32_b32 v1, v2, v1
	s_waitcnt lgkmcnt(0)
	v_add_u32_e32 v1, v49, v1
	v_add_u32_e32 v2, v4, v50
	ds_write_b32 v2, v1 offset:8
.LBB14_12:                              ;   in Loop: Header=BB14_4 Depth=2
	s_or_b64 exec, exec, s[20:21]
	v_lshlrev_b32_e32 v1, s25, v17
	v_lshrrev_b32_e32 v2, 28, v1
	v_mad_u32_u24 v1, v2, 12, v4
	; wave barrier
	ds_read_b32 v52, v1 offset:8
	v_and_b32_e32 v1, 1, v2
	v_add_co_u32_e64 v54, s[20:21], -1, v1
	v_addc_co_u32_e64 v55, s[20:21], 0, -1, s[20:21]
	v_cmp_ne_u32_e64 s[20:21], 0, v1
	v_xor_b32_e32 v1, s21, v55
	v_and_b32_e32 v55, exec_hi, v1
	v_lshlrev_b32_e32 v1, 30, v2
	v_xor_b32_e32 v54, s20, v54
	v_cmp_gt_i64_e64 s[20:21], 0, v[0:1]
	v_not_b32_e32 v1, v1
	v_ashrrev_i32_e32 v1, 31, v1
	v_and_b32_e32 v54, exec_lo, v54
	v_xor_b32_e32 v56, s21, v1
	v_xor_b32_e32 v1, s20, v1
	v_and_b32_e32 v54, v54, v1
	v_lshlrev_b32_e32 v1, 29, v2
	v_cmp_gt_i64_e64 s[20:21], 0, v[0:1]
	v_not_b32_e32 v1, v1
	v_ashrrev_i32_e32 v1, 31, v1
	v_and_b32_e32 v55, v55, v56
	v_xor_b32_e32 v56, s21, v1
	v_xor_b32_e32 v1, s20, v1
	v_and_b32_e32 v54, v54, v1
	v_lshlrev_b32_e32 v1, 28, v2
	v_cmp_gt_i64_e64 s[20:21], 0, v[0:1]
	v_not_b32_e32 v1, v1
	v_ashrrev_i32_e32 v1, 31, v1
	v_mul_u32_u24_e32 v53, 12, v2
	v_xor_b32_e32 v2, s21, v1
	v_xor_b32_e32 v1, s20, v1
	v_and_b32_e32 v55, v55, v56
	v_and_b32_e32 v1, v54, v1
	v_and_b32_e32 v2, v55, v2
	v_mbcnt_lo_u32_b32 v54, v1, 0
	v_mbcnt_hi_u32_b32 v54, v2, v54
	v_cmp_ne_u64_e64 s[20:21], 0, v[1:2]
	v_cmp_eq_u32_e64 s[22:23], 0, v54
	s_and_b64 s[22:23], s[20:21], s[22:23]
	; wave barrier
	s_and_saveexec_b64 s[20:21], s[22:23]
	s_cbranch_execz .LBB14_14
; %bb.13:                               ;   in Loop: Header=BB14_4 Depth=2
	v_bcnt_u32_b32 v1, v1, 0
	v_bcnt_u32_b32 v1, v2, v1
	s_waitcnt lgkmcnt(0)
	v_add_u32_e32 v1, v52, v1
	v_add_u32_e32 v2, v4, v53
	ds_write_b32 v2, v1 offset:8
.LBB14_14:                              ;   in Loop: Header=BB14_4 Depth=2
	;; [unrolled: 55-line block ×29, first 2 shown]
	s_or_b64 exec, exec, s[20:21]
	; wave barrier
	s_waitcnt lgkmcnt(0)
	s_barrier
	ds_read_b32 v1, v8 offset:8
	s_waitcnt lgkmcnt(0)
	s_nop 0
	v_mov_b32_dpp v2, v1 row_shr:1 row_mask:0xf bank_mask:0xf
	v_cndmask_b32_e64 v2, v2, 0, s[8:9]
	v_add_u32_e32 v1, v2, v1
	s_nop 1
	v_mov_b32_dpp v2, v1 row_shr:2 row_mask:0xf bank_mask:0xf
	v_cndmask_b32_e64 v2, 0, v2, s[10:11]
	v_add_u32_e32 v1, v1, v2
	;; [unrolled: 4-line block ×4, first 2 shown]
	s_nop 1
	v_mov_b32_dpp v2, v1 row_bcast:15 row_mask:0xf bank_mask:0xf
	v_cndmask_b32_e64 v2, v2, 0, s[16:17]
	v_add_u32_e32 v1, v1, v2
	s_nop 1
	v_mov_b32_dpp v2, v1 row_bcast:31 row_mask:0xf bank_mask:0xf
	v_cndmask_b32_e64 v2, 0, v2, s[6:7]
	v_add_u32_e32 v1, v1, v2
	s_and_saveexec_b64 s[20:21], s[2:3]
; %bb.69:                               ;   in Loop: Header=BB14_4 Depth=2
	ds_write_b32 v9, v1
; %bb.70:                               ;   in Loop: Header=BB14_4 Depth=2
	s_or_b64 exec, exec, s[20:21]
	s_waitcnt lgkmcnt(0)
	s_barrier
	s_and_saveexec_b64 s[20:21], vcc
	s_cbranch_execz .LBB14_72
; %bb.71:                               ;   in Loop: Header=BB14_4 Depth=2
	ds_read_b32 v2, v8
	s_waitcnt lgkmcnt(0)
	s_nop 0
	v_mov_b32_dpp v136, v2 row_shr:1 row_mask:0xf bank_mask:0xf
	v_cndmask_b32_e64 v136, v136, 0, s[18:19]
	v_add_u32_e32 v2, v136, v2
	ds_write_b32 v8, v2
.LBB14_72:                              ;   in Loop: Header=BB14_4 Depth=2
	s_or_b64 exec, exec, s[20:21]
	v_mov_b32_e32 v2, 0
	s_waitcnt lgkmcnt(0)
	s_barrier
	s_and_saveexec_b64 s[20:21], s[0:1]
	s_cbranch_execz .LBB14_3
; %bb.73:                               ;   in Loop: Header=BB14_4 Depth=2
	ds_read_b32 v2, v11
	s_branch .LBB14_3
.LBB14_74:
	v_add_u32_e32 v0, v4, v135
	v_add_u32_e32 v1, v4, v132
	;; [unrolled: 1-line block ×8, first 2 shown]
	ds_read_b32 v0, v0 offset:8
	ds_read_b32 v1, v1 offset:8
	;; [unrolled: 1-line block ×8, first 2 shown]
	s_waitcnt lgkmcnt(7)
	v_add3_u32 v14, v134, v133, v0
	s_waitcnt lgkmcnt(6)
	v_add3_u32 v13, v131, v130, v1
	;; [unrolled: 2-line block ×5, first 2 shown]
	v_add_u32_e32 v0, v4, v110
	v_add_u32_e32 v1, v4, v107
	;; [unrolled: 1-line block ×5, first 2 shown]
	s_waitcnt lgkmcnt(2)
	v_add3_u32 v17, v119, v118, v15
	s_waitcnt lgkmcnt(0)
	v_add3_u32 v15, v113, v112, v19
	v_add_u32_e32 v19, v4, v95
	v_add_u32_e32 v20, v4, v92
	;; [unrolled: 1-line block ×3, first 2 shown]
	ds_read_b32 v0, v0 offset:8
	ds_read_b32 v1, v1 offset:8
	;; [unrolled: 1-line block ×8, first 2 shown]
	s_waitcnt lgkmcnt(7)
	v_add3_u32 v22, v111, v109, v0
	s_waitcnt lgkmcnt(6)
	v_add3_u32 v21, v108, v106, v1
	;; [unrolled: 2-line block ×7, first 2 shown]
	v_add_u32_e32 v0, v4, v86
	v_add_u32_e32 v1, v4, v83
	;; [unrolled: 1-line block ×8, first 2 shown]
	ds_read_b32 v0, v0 offset:8
	ds_read_b32 v1, v1 offset:8
	;; [unrolled: 1-line block ×8, first 2 shown]
	s_waitcnt lgkmcnt(7)
	v_add3_u32 v32, v87, v85, v0
	s_waitcnt lgkmcnt(6)
	v_add3_u32 v31, v84, v82, v1
	;; [unrolled: 2-line block ×6, first 2 shown]
	v_add_u32_e32 v0, v4, v62
	v_add_u32_e32 v1, v4, v59
	;; [unrolled: 1-line block ×8, first 2 shown]
	ds_read_b32 v0, v0 offset:8
	ds_read_b32 v1, v1 offset:8
	ds_read_b32 v2, v2 offset:8
	ds_read_b32 v5, v8 offset:8
	ds_read_b32 v8, v9 offset:8
	ds_read_b32 v27, v27 offset:8
	ds_read_b32 v10, v10 offset:8
	ds_read_b32 v4, v4 offset:8
	s_add_u32 s0, s26, s28
	s_waitcnt lgkmcnt(7)
	v_add3_u32 v40, v63, v61, v0
	s_waitcnt lgkmcnt(3)
	v_add3_u32 v9, v51, v49, v8
	s_waitcnt lgkmcnt(2)
	v_add3_u32 v8, v48, v46, v27
	s_waitcnt lgkmcnt(1)
	v_add3_u32 v7, v28, v7, v10
	s_waitcnt lgkmcnt(0)
	v_add_u32_e32 v6, v4, v6
	s_addc_u32 s1, s27, s29
	v_lshlrev_b32_e32 v0, 2, v3
	v_add3_u32 v16, v116, v115, v16
	v_add3_u32 v24, v93, v91, v24
	;; [unrolled: 1-line block ×7, first 2 shown]
	global_store_dwordx4 v0, v[6:9], s[0:1]
	global_store_dwordx4 v0, v[37:40], s[0:1] offset:16
	global_store_dwordx4 v0, v[33:36], s[0:1] offset:32
	;; [unrolled: 1-line block ×7, first 2 shown]
	s_endpgm
	.section	.rodata,"a",@progbits
	.p2align	6, 0x0
	.amdhsa_kernel _Z11rank_kernelIiLj4ELb0EL18RadixRankAlgorithm2ELj128ELj32ELj10EEvPKT_Pi
		.amdhsa_group_segment_fixed_size 520
		.amdhsa_private_segment_fixed_size 0
		.amdhsa_kernarg_size 272
		.amdhsa_user_sgpr_count 6
		.amdhsa_user_sgpr_private_segment_buffer 1
		.amdhsa_user_sgpr_dispatch_ptr 0
		.amdhsa_user_sgpr_queue_ptr 0
		.amdhsa_user_sgpr_kernarg_segment_ptr 1
		.amdhsa_user_sgpr_dispatch_id 0
		.amdhsa_user_sgpr_flat_scratch_init 0
		.amdhsa_user_sgpr_private_segment_size 0
		.amdhsa_uses_dynamic_stack 0
		.amdhsa_system_sgpr_private_segment_wavefront_offset 0
		.amdhsa_system_sgpr_workgroup_id_x 1
		.amdhsa_system_sgpr_workgroup_id_y 0
		.amdhsa_system_sgpr_workgroup_id_z 0
		.amdhsa_system_sgpr_workgroup_info 0
		.amdhsa_system_vgpr_workitem_id 2
		.amdhsa_next_free_vgpr 138
		.amdhsa_next_free_sgpr 32
		.amdhsa_reserve_vcc 1
		.amdhsa_reserve_flat_scratch 0
		.amdhsa_float_round_mode_32 0
		.amdhsa_float_round_mode_16_64 0
		.amdhsa_float_denorm_mode_32 3
		.amdhsa_float_denorm_mode_16_64 3
		.amdhsa_dx10_clamp 1
		.amdhsa_ieee_mode 1
		.amdhsa_fp16_overflow 0
		.amdhsa_exception_fp_ieee_invalid_op 0
		.amdhsa_exception_fp_denorm_src 0
		.amdhsa_exception_fp_ieee_div_zero 0
		.amdhsa_exception_fp_ieee_overflow 0
		.amdhsa_exception_fp_ieee_underflow 0
		.amdhsa_exception_fp_ieee_inexact 0
		.amdhsa_exception_int_div_zero 0
	.end_amdhsa_kernel
	.section	.text._Z11rank_kernelIiLj4ELb0EL18RadixRankAlgorithm2ELj128ELj32ELj10EEvPKT_Pi,"axG",@progbits,_Z11rank_kernelIiLj4ELb0EL18RadixRankAlgorithm2ELj128ELj32ELj10EEvPKT_Pi,comdat
.Lfunc_end14:
	.size	_Z11rank_kernelIiLj4ELb0EL18RadixRankAlgorithm2ELj128ELj32ELj10EEvPKT_Pi, .Lfunc_end14-_Z11rank_kernelIiLj4ELb0EL18RadixRankAlgorithm2ELj128ELj32ELj10EEvPKT_Pi
                                        ; -- End function
	.set _Z11rank_kernelIiLj4ELb0EL18RadixRankAlgorithm2ELj128ELj32ELj10EEvPKT_Pi.num_vgpr, 138
	.set _Z11rank_kernelIiLj4ELb0EL18RadixRankAlgorithm2ELj128ELj32ELj10EEvPKT_Pi.num_agpr, 0
	.set _Z11rank_kernelIiLj4ELb0EL18RadixRankAlgorithm2ELj128ELj32ELj10EEvPKT_Pi.numbered_sgpr, 32
	.set _Z11rank_kernelIiLj4ELb0EL18RadixRankAlgorithm2ELj128ELj32ELj10EEvPKT_Pi.num_named_barrier, 0
	.set _Z11rank_kernelIiLj4ELb0EL18RadixRankAlgorithm2ELj128ELj32ELj10EEvPKT_Pi.private_seg_size, 0
	.set _Z11rank_kernelIiLj4ELb0EL18RadixRankAlgorithm2ELj128ELj32ELj10EEvPKT_Pi.uses_vcc, 1
	.set _Z11rank_kernelIiLj4ELb0EL18RadixRankAlgorithm2ELj128ELj32ELj10EEvPKT_Pi.uses_flat_scratch, 0
	.set _Z11rank_kernelIiLj4ELb0EL18RadixRankAlgorithm2ELj128ELj32ELj10EEvPKT_Pi.has_dyn_sized_stack, 0
	.set _Z11rank_kernelIiLj4ELb0EL18RadixRankAlgorithm2ELj128ELj32ELj10EEvPKT_Pi.has_recursion, 0
	.set _Z11rank_kernelIiLj4ELb0EL18RadixRankAlgorithm2ELj128ELj32ELj10EEvPKT_Pi.has_indirect_call, 0
	.section	.AMDGPU.csdata,"",@progbits
; Kernel info:
; codeLenInByte = 10220
; TotalNumSgprs: 36
; NumVgprs: 138
; ScratchSize: 0
; MemoryBound: 0
; FloatMode: 240
; IeeeMode: 1
; LDSByteSize: 520 bytes/workgroup (compile time only)
; SGPRBlocks: 4
; VGPRBlocks: 34
; NumSGPRsForWavesPerEU: 36
; NumVGPRsForWavesPerEU: 138
; Occupancy: 1
; WaveLimiterHint : 0
; COMPUTE_PGM_RSRC2:SCRATCH_EN: 0
; COMPUTE_PGM_RSRC2:USER_SGPR: 6
; COMPUTE_PGM_RSRC2:TRAP_HANDLER: 0
; COMPUTE_PGM_RSRC2:TGID_X_EN: 1
; COMPUTE_PGM_RSRC2:TGID_Y_EN: 0
; COMPUTE_PGM_RSRC2:TGID_Z_EN: 0
; COMPUTE_PGM_RSRC2:TIDIG_COMP_CNT: 2
	.section	.text._Z11rank_kernelIiLj4ELb0EL18RadixRankAlgorithm0ELj256ELj1ELj10EEvPKT_Pi,"axG",@progbits,_Z11rank_kernelIiLj4ELb0EL18RadixRankAlgorithm0ELj256ELj1ELj10EEvPKT_Pi,comdat
	.protected	_Z11rank_kernelIiLj4ELb0EL18RadixRankAlgorithm0ELj256ELj1ELj10EEvPKT_Pi ; -- Begin function _Z11rank_kernelIiLj4ELb0EL18RadixRankAlgorithm0ELj256ELj1ELj10EEvPKT_Pi
	.globl	_Z11rank_kernelIiLj4ELb0EL18RadixRankAlgorithm0ELj256ELj1ELj10EEvPKT_Pi
	.p2align	8
	.type	_Z11rank_kernelIiLj4ELb0EL18RadixRankAlgorithm0ELj256ELj1ELj10EEvPKT_Pi,@function
_Z11rank_kernelIiLj4ELb0EL18RadixRankAlgorithm0ELj256ELj1ELj10EEvPKT_Pi: ; @_Z11rank_kernelIiLj4ELb0EL18RadixRankAlgorithm0ELj256ELj1ELj10EEvPKT_Pi
; %bb.0:
	s_load_dwordx4 s[24:27], s[4:5], 0x0
	s_lshl_b32 s30, s6, 8
	s_mov_b32 s31, 0
	s_lshl_b64 s[28:29], s[30:31], 2
	v_lshlrev_b32_e32 v1, 2, v0
	s_waitcnt lgkmcnt(0)
	s_add_u32 s0, s24, s28
	s_addc_u32 s1, s25, s29
	global_load_dword v7, v1, s[0:1]
	v_mbcnt_lo_u32_b32 v4, -1, 0
	v_mbcnt_hi_u32_b32 v6, -1, v4
	v_or_b32_e32 v5, 63, v0
	v_lshrrev_b32_e32 v8, 4, v0
	v_subrev_co_u32_e64 v11, s[6:7], 1, v6
	v_and_b32_e32 v12, 64, v6
	s_movk_i32 s22, 0x700
	v_and_b32_e32 v9, 15, v6
	v_and_b32_e32 v10, 16, v6
	v_cmp_eq_u32_e64 s[4:5], v0, v5
	v_and_b32_e32 v5, 12, v8
	v_and_b32_e32 v8, 3, v6
	v_cmp_lt_i32_e64 s[18:19], v11, v12
	v_cmp_lt_u32_e64 s[2:3], 31, v6
	v_cmp_eq_u32_e64 s[8:9], 0, v9
	v_cmp_lt_u32_e64 s[10:11], 1, v9
	v_cmp_lt_u32_e64 s[12:13], 3, v9
	;; [unrolled: 1-line block ×3, first 2 shown]
	v_cmp_eq_u32_e64 s[16:17], 0, v10
	v_cndmask_b32_e64 v6, v11, v6, s[18:19]
	v_cmp_eq_u32_e64 s[18:19], 0, v8
	v_cmp_lt_u32_e64 s[20:21], 1, v8
	v_lshlrev_b32_e32 v3, 5, v0
	v_mul_i32_i24_e32 v15, 0xffffffe4, v0
	v_mov_b32_e32 v2, 0
	s_movk_i32 s30, 0x6ff
	v_cmp_gt_u32_e32 vcc, 4, v0
	v_cmp_lt_u32_e64 s[0:1], 63, v0
	v_or_b32_e32 v4, 0xffffff00, v0
	v_lshlrev_b32_e32 v6, 2, v6
	v_add_u32_e32 v15, v3, v15
	s_waitcnt vmcnt(0)
	v_not_b32_e32 v8, v7
	v_lshlrev_b32_e32 v9, 28, v7
	v_lshlrev_b32_e32 v10, 8, v7
	;; [unrolled: 1-line block ×5, first 2 shown]
	v_and_or_b32 v14, v7, s22, v0
	v_lshlrev_b32_e32 v16, 16, v7
	v_lshrrev_b32_e32 v17, 4, v7
	v_lshlrev_b32_e32 v18, 12, v7
	v_lshrrev_b32_e32 v19, 8, v7
	v_lshrrev_b32_e32 v20, 12, v7
	;; [unrolled: 1-line block ×4, first 2 shown]
	v_and_or_b32 v22, v10, s22, v0
	v_and_or_b32 v23, v12, s22, v0
	v_alignbit_b32 v13, v14, v13, 31
	v_and_or_b32 v14, v17, s22, v0
	v_and_or_b32 v17, v19, s22, v0
	;; [unrolled: 1-line block ×5, first 2 shown]
	v_alignbit_b32 v9, v22, v9, 31
	v_alignbit_b32 v11, v23, v11, 31
	v_lshlrev_b32_e32 v7, 1, v13
	v_alignbit_b32 v13, v14, v16, 31
	v_alignbit_b32 v14, v17, v18, 31
	;; [unrolled: 1-line block ×5, first 2 shown]
	v_lshlrev_b32_e32 v8, 1, v9
	v_lshlrev_b32_e32 v9, 1, v11
	;; [unrolled: 1-line block ×7, first 2 shown]
	s_branch .LBB15_2
.LBB15_1:                               ;   in Loop: Header=BB15_2 Depth=1
	s_or_b64 exec, exec, s[22:23]
	s_waitcnt lgkmcnt(0)
	v_add_u32_e32 v17, v18, v17
	ds_bpermute_b32 v17, v6, v17
	ds_read_b32 v25, v2 offset:8204
	ds_read2_b64 v[19:22], v3 offset1:1
	ds_read_b64 v[23:24], v3 offset:16
	ds_read_b32 v26, v3 offset:24
	s_add_i32 s31, s31, 1
	s_cmp_eq_u32 s31, 10
	s_waitcnt lgkmcnt(4)
	v_cndmask_b32_e64 v17, v17, v18, s[6:7]
	s_waitcnt lgkmcnt(3)
	v_lshl_add_u32 v17, v25, 16, v17
	s_waitcnt lgkmcnt(2)
	v_add_u32_e32 v18, v17, v19
	v_add_u32_e32 v19, v20, v18
	;; [unrolled: 1-line block ×3, first 2 shown]
	ds_write2_b64 v3, v[17:18], v[19:20] offset1:1
	v_add_u32_e32 v17, v22, v20
	s_waitcnt lgkmcnt(2)
	v_add_u32_e32 v18, v23, v17
	v_add_u32_e32 v19, v24, v18
	s_waitcnt lgkmcnt(1)
	v_add_u32_e32 v20, v26, v19
	ds_write2_b64 v3, v[17:18], v[19:20] offset0:2 offset1:3
	s_waitcnt lgkmcnt(0)
	s_barrier
	s_cbranch_scc1 .LBB15_66
.LBB15_2:                               ; =>This Loop Header: Depth=1
                                        ;     Child Loop BB15_3 Depth 2
                                        ;     Child Loop BB15_11 Depth 2
	;; [unrolled: 1-line block ×8, first 2 shown]
	s_mov_b64 s[24:25], 0
	v_mov_b32_e32 v16, v4
	v_mov_b32_e32 v17, v1
.LBB15_3:                               ;   Parent Loop BB15_2 Depth=1
                                        ; =>  This Inner Loop Header: Depth=2
	v_add_u32_e32 v16, 0x100, v16
	v_cmp_lt_u32_e64 s[22:23], s30, v16
	ds_write_b32 v17, v2
	s_or_b64 s[24:25], s[22:23], s[24:25]
	v_add_u32_e32 v17, 0x400, v17
	s_andn2_b64 exec, exec, s[24:25]
	s_cbranch_execnz .LBB15_3
; %bb.4:                                ;   in Loop: Header=BB15_2 Depth=1
	s_or_b64 exec, exec, s[24:25]
	ds_read_u16 v16, v8
	s_waitcnt lgkmcnt(0)
	v_add_u16_e32 v16, 1, v16
	ds_write_b16 v8, v16
	s_waitcnt lgkmcnt(0)
	s_barrier
	ds_read2_b64 v[16:19], v3 offset1:1
	ds_read2_b64 v[20:23], v3 offset0:2 offset1:3
	s_waitcnt lgkmcnt(1)
	v_add_u32_e32 v16, v17, v16
	v_add3_u32 v16, v16, v18, v19
	s_waitcnt lgkmcnt(0)
	v_add3_u32 v16, v16, v20, v21
	v_add3_u32 v16, v16, v22, v23
	s_nop 1
	v_mov_b32_dpp v17, v16 row_shr:1 row_mask:0xf bank_mask:0xf
	v_cndmask_b32_e64 v17, v17, 0, s[8:9]
	v_add_u32_e32 v16, v17, v16
	s_nop 1
	v_mov_b32_dpp v17, v16 row_shr:2 row_mask:0xf bank_mask:0xf
	v_cndmask_b32_e64 v17, 0, v17, s[10:11]
	v_add_u32_e32 v16, v16, v17
	;; [unrolled: 4-line block ×4, first 2 shown]
	s_nop 1
	v_mov_b32_dpp v17, v16 row_bcast:15 row_mask:0xf bank_mask:0xf
	v_cndmask_b32_e64 v17, v17, 0, s[16:17]
	v_add_u32_e32 v16, v16, v17
	s_nop 1
	v_mov_b32_dpp v17, v16 row_bcast:31 row_mask:0xf bank_mask:0xf
	v_cndmask_b32_e64 v17, 0, v17, s[2:3]
	v_add_u32_e32 v16, v16, v17
	s_and_saveexec_b64 s[22:23], s[4:5]
; %bb.5:                                ;   in Loop: Header=BB15_2 Depth=1
	ds_write_b32 v5, v16 offset:8192
; %bb.6:                                ;   in Loop: Header=BB15_2 Depth=1
	s_or_b64 exec, exec, s[22:23]
	s_waitcnt lgkmcnt(0)
	s_barrier
	s_and_saveexec_b64 s[22:23], vcc
	s_cbranch_execz .LBB15_8
; %bb.7:                                ;   in Loop: Header=BB15_2 Depth=1
	ds_read_b32 v17, v15 offset:8192
	s_waitcnt lgkmcnt(0)
	s_nop 0
	v_mov_b32_dpp v18, v17 row_shr:1 row_mask:0xf bank_mask:0xf
	v_cndmask_b32_e64 v18, v18, 0, s[18:19]
	v_add_u32_e32 v17, v18, v17
	s_nop 1
	v_mov_b32_dpp v18, v17 row_shr:2 row_mask:0xf bank_mask:0xf
	v_cndmask_b32_e64 v18, 0, v18, s[20:21]
	v_add_u32_e32 v17, v17, v18
	ds_write_b32 v15, v17 offset:8192
.LBB15_8:                               ;   in Loop: Header=BB15_2 Depth=1
	s_or_b64 exec, exec, s[22:23]
	v_mov_b32_e32 v17, 0
	s_waitcnt lgkmcnt(0)
	s_barrier
	s_and_saveexec_b64 s[22:23], s[0:1]
; %bb.9:                                ;   in Loop: Header=BB15_2 Depth=1
	ds_read_b32 v17, v5 offset:8188
; %bb.10:                               ;   in Loop: Header=BB15_2 Depth=1
	s_or_b64 exec, exec, s[22:23]
	s_waitcnt lgkmcnt(0)
	v_add_u32_e32 v16, v17, v16
	ds_bpermute_b32 v16, v6, v16
	ds_read_b32 v24, v2 offset:8204
	ds_read2_b64 v[18:21], v3 offset1:1
	ds_read_b64 v[22:23], v3 offset:16
	ds_read_b32 v25, v3 offset:24
	s_mov_b64 s[24:25], 0
	s_waitcnt lgkmcnt(4)
	v_cndmask_b32_e64 v16, v16, v17, s[6:7]
	s_waitcnt lgkmcnt(3)
	v_lshl_add_u32 v16, v24, 16, v16
	s_waitcnt lgkmcnt(2)
	v_add_u32_e32 v17, v16, v18
	v_add_u32_e32 v18, v19, v17
	;; [unrolled: 1-line block ×3, first 2 shown]
	ds_write2_b64 v3, v[16:17], v[18:19] offset1:1
	v_add_u32_e32 v16, v21, v19
	s_waitcnt lgkmcnt(2)
	v_add_u32_e32 v17, v22, v16
	v_add_u32_e32 v18, v23, v17
	s_waitcnt lgkmcnt(1)
	v_add_u32_e32 v19, v25, v18
	ds_write2_b64 v3, v[16:17], v[18:19] offset0:2 offset1:3
	v_mov_b32_e32 v16, v1
	v_mov_b32_e32 v17, v4
	s_waitcnt lgkmcnt(0)
	s_barrier
.LBB15_11:                              ;   Parent Loop BB15_2 Depth=1
                                        ; =>  This Inner Loop Header: Depth=2
	v_add_u32_e32 v17, 0x100, v17
	v_cmp_lt_u32_e64 s[22:23], s30, v17
	ds_write_b32 v16, v2
	s_or_b64 s[24:25], s[22:23], s[24:25]
	v_add_u32_e32 v16, 0x400, v16
	s_andn2_b64 exec, exec, s[24:25]
	s_cbranch_execnz .LBB15_11
; %bb.12:                               ;   in Loop: Header=BB15_2 Depth=1
	s_or_b64 exec, exec, s[24:25]
	ds_read_u16 v16, v9
	s_waitcnt lgkmcnt(0)
	v_add_u16_e32 v16, 1, v16
	ds_write_b16 v9, v16
	s_waitcnt lgkmcnt(0)
	s_barrier
	ds_read2_b64 v[16:19], v3 offset1:1
	ds_read2_b64 v[20:23], v3 offset0:2 offset1:3
	s_waitcnt lgkmcnt(1)
	v_add_u32_e32 v16, v17, v16
	v_add3_u32 v16, v16, v18, v19
	s_waitcnt lgkmcnt(0)
	v_add3_u32 v16, v16, v20, v21
	v_add3_u32 v16, v16, v22, v23
	s_nop 1
	v_mov_b32_dpp v17, v16 row_shr:1 row_mask:0xf bank_mask:0xf
	v_cndmask_b32_e64 v17, v17, 0, s[8:9]
	v_add_u32_e32 v16, v17, v16
	s_nop 1
	v_mov_b32_dpp v17, v16 row_shr:2 row_mask:0xf bank_mask:0xf
	v_cndmask_b32_e64 v17, 0, v17, s[10:11]
	v_add_u32_e32 v16, v16, v17
	;; [unrolled: 4-line block ×4, first 2 shown]
	s_nop 1
	v_mov_b32_dpp v17, v16 row_bcast:15 row_mask:0xf bank_mask:0xf
	v_cndmask_b32_e64 v17, v17, 0, s[16:17]
	v_add_u32_e32 v16, v16, v17
	s_nop 1
	v_mov_b32_dpp v17, v16 row_bcast:31 row_mask:0xf bank_mask:0xf
	v_cndmask_b32_e64 v17, 0, v17, s[2:3]
	v_add_u32_e32 v16, v16, v17
	s_and_saveexec_b64 s[22:23], s[4:5]
; %bb.13:                               ;   in Loop: Header=BB15_2 Depth=1
	ds_write_b32 v5, v16 offset:8192
; %bb.14:                               ;   in Loop: Header=BB15_2 Depth=1
	s_or_b64 exec, exec, s[22:23]
	s_waitcnt lgkmcnt(0)
	s_barrier
	s_and_saveexec_b64 s[22:23], vcc
	s_cbranch_execz .LBB15_16
; %bb.15:                               ;   in Loop: Header=BB15_2 Depth=1
	ds_read_b32 v17, v15 offset:8192
	s_waitcnt lgkmcnt(0)
	s_nop 0
	v_mov_b32_dpp v18, v17 row_shr:1 row_mask:0xf bank_mask:0xf
	v_cndmask_b32_e64 v18, v18, 0, s[18:19]
	v_add_u32_e32 v17, v18, v17
	s_nop 1
	v_mov_b32_dpp v18, v17 row_shr:2 row_mask:0xf bank_mask:0xf
	v_cndmask_b32_e64 v18, 0, v18, s[20:21]
	v_add_u32_e32 v17, v17, v18
	ds_write_b32 v15, v17 offset:8192
.LBB15_16:                              ;   in Loop: Header=BB15_2 Depth=1
	s_or_b64 exec, exec, s[22:23]
	v_mov_b32_e32 v17, 0
	s_waitcnt lgkmcnt(0)
	s_barrier
	s_and_saveexec_b64 s[22:23], s[0:1]
; %bb.17:                               ;   in Loop: Header=BB15_2 Depth=1
	ds_read_b32 v17, v5 offset:8188
; %bb.18:                               ;   in Loop: Header=BB15_2 Depth=1
	s_or_b64 exec, exec, s[22:23]
	s_waitcnt lgkmcnt(0)
	v_add_u32_e32 v16, v17, v16
	ds_bpermute_b32 v16, v6, v16
	ds_read_b32 v24, v2 offset:8204
	ds_read2_b64 v[18:21], v3 offset1:1
	ds_read_b64 v[22:23], v3 offset:16
	ds_read_b32 v25, v3 offset:24
	s_mov_b64 s[24:25], 0
	s_waitcnt lgkmcnt(4)
	v_cndmask_b32_e64 v16, v16, v17, s[6:7]
	s_waitcnt lgkmcnt(3)
	v_lshl_add_u32 v16, v24, 16, v16
	s_waitcnt lgkmcnt(2)
	v_add_u32_e32 v17, v16, v18
	v_add_u32_e32 v18, v19, v17
	;; [unrolled: 1-line block ×3, first 2 shown]
	ds_write2_b64 v3, v[16:17], v[18:19] offset1:1
	v_add_u32_e32 v16, v21, v19
	s_waitcnt lgkmcnt(2)
	v_add_u32_e32 v17, v22, v16
	v_add_u32_e32 v18, v23, v17
	s_waitcnt lgkmcnt(1)
	v_add_u32_e32 v19, v25, v18
	ds_write2_b64 v3, v[16:17], v[18:19] offset0:2 offset1:3
	v_mov_b32_e32 v16, v1
	v_mov_b32_e32 v17, v4
	s_waitcnt lgkmcnt(0)
	s_barrier
.LBB15_19:                              ;   Parent Loop BB15_2 Depth=1
                                        ; =>  This Inner Loop Header: Depth=2
	v_add_u32_e32 v17, 0x100, v17
	v_cmp_lt_u32_e64 s[22:23], s30, v17
	ds_write_b32 v16, v2
	s_or_b64 s[24:25], s[22:23], s[24:25]
	v_add_u32_e32 v16, 0x400, v16
	s_andn2_b64 exec, exec, s[24:25]
	s_cbranch_execnz .LBB15_19
; %bb.20:                               ;   in Loop: Header=BB15_2 Depth=1
	s_or_b64 exec, exec, s[24:25]
	ds_read_u16 v16, v7
	s_waitcnt lgkmcnt(0)
	v_add_u16_e32 v16, 1, v16
	ds_write_b16 v7, v16
	s_waitcnt lgkmcnt(0)
	s_barrier
	ds_read2_b64 v[16:19], v3 offset1:1
	ds_read2_b64 v[20:23], v3 offset0:2 offset1:3
	s_waitcnt lgkmcnt(1)
	v_add_u32_e32 v16, v17, v16
	v_add3_u32 v16, v16, v18, v19
	s_waitcnt lgkmcnt(0)
	v_add3_u32 v16, v16, v20, v21
	v_add3_u32 v16, v16, v22, v23
	s_nop 1
	v_mov_b32_dpp v17, v16 row_shr:1 row_mask:0xf bank_mask:0xf
	v_cndmask_b32_e64 v17, v17, 0, s[8:9]
	v_add_u32_e32 v16, v17, v16
	s_nop 1
	v_mov_b32_dpp v17, v16 row_shr:2 row_mask:0xf bank_mask:0xf
	v_cndmask_b32_e64 v17, 0, v17, s[10:11]
	v_add_u32_e32 v16, v16, v17
	;; [unrolled: 4-line block ×4, first 2 shown]
	s_nop 1
	v_mov_b32_dpp v17, v16 row_bcast:15 row_mask:0xf bank_mask:0xf
	v_cndmask_b32_e64 v17, v17, 0, s[16:17]
	v_add_u32_e32 v16, v16, v17
	s_nop 1
	v_mov_b32_dpp v17, v16 row_bcast:31 row_mask:0xf bank_mask:0xf
	v_cndmask_b32_e64 v17, 0, v17, s[2:3]
	v_add_u32_e32 v16, v16, v17
	s_and_saveexec_b64 s[22:23], s[4:5]
; %bb.21:                               ;   in Loop: Header=BB15_2 Depth=1
	ds_write_b32 v5, v16 offset:8192
; %bb.22:                               ;   in Loop: Header=BB15_2 Depth=1
	s_or_b64 exec, exec, s[22:23]
	s_waitcnt lgkmcnt(0)
	s_barrier
	s_and_saveexec_b64 s[22:23], vcc
	s_cbranch_execz .LBB15_24
; %bb.23:                               ;   in Loop: Header=BB15_2 Depth=1
	ds_read_b32 v17, v15 offset:8192
	s_waitcnt lgkmcnt(0)
	s_nop 0
	v_mov_b32_dpp v18, v17 row_shr:1 row_mask:0xf bank_mask:0xf
	v_cndmask_b32_e64 v18, v18, 0, s[18:19]
	v_add_u32_e32 v17, v18, v17
	s_nop 1
	v_mov_b32_dpp v18, v17 row_shr:2 row_mask:0xf bank_mask:0xf
	v_cndmask_b32_e64 v18, 0, v18, s[20:21]
	v_add_u32_e32 v17, v17, v18
	ds_write_b32 v15, v17 offset:8192
.LBB15_24:                              ;   in Loop: Header=BB15_2 Depth=1
	s_or_b64 exec, exec, s[22:23]
	v_mov_b32_e32 v17, 0
	s_waitcnt lgkmcnt(0)
	s_barrier
	s_and_saveexec_b64 s[22:23], s[0:1]
; %bb.25:                               ;   in Loop: Header=BB15_2 Depth=1
	ds_read_b32 v17, v5 offset:8188
; %bb.26:                               ;   in Loop: Header=BB15_2 Depth=1
	s_or_b64 exec, exec, s[22:23]
	s_waitcnt lgkmcnt(0)
	v_add_u32_e32 v16, v17, v16
	ds_bpermute_b32 v16, v6, v16
	ds_read_b32 v24, v2 offset:8204
	ds_read2_b64 v[18:21], v3 offset1:1
	ds_read_b64 v[22:23], v3 offset:16
	ds_read_b32 v25, v3 offset:24
	s_mov_b64 s[24:25], 0
	s_waitcnt lgkmcnt(4)
	v_cndmask_b32_e64 v16, v16, v17, s[6:7]
	s_waitcnt lgkmcnt(3)
	v_lshl_add_u32 v16, v24, 16, v16
	s_waitcnt lgkmcnt(2)
	v_add_u32_e32 v17, v16, v18
	v_add_u32_e32 v18, v19, v17
	;; [unrolled: 1-line block ×3, first 2 shown]
	ds_write2_b64 v3, v[16:17], v[18:19] offset1:1
	v_add_u32_e32 v16, v21, v19
	s_waitcnt lgkmcnt(2)
	v_add_u32_e32 v17, v22, v16
	v_add_u32_e32 v18, v23, v17
	s_waitcnt lgkmcnt(1)
	v_add_u32_e32 v19, v25, v18
	ds_write2_b64 v3, v[16:17], v[18:19] offset0:2 offset1:3
	v_mov_b32_e32 v16, v1
	v_mov_b32_e32 v17, v4
	s_waitcnt lgkmcnt(0)
	s_barrier
.LBB15_27:                              ;   Parent Loop BB15_2 Depth=1
                                        ; =>  This Inner Loop Header: Depth=2
	v_add_u32_e32 v17, 0x100, v17
	v_cmp_lt_u32_e64 s[22:23], s30, v17
	ds_write_b32 v16, v2
	s_or_b64 s[24:25], s[22:23], s[24:25]
	v_add_u32_e32 v16, 0x400, v16
	s_andn2_b64 exec, exec, s[24:25]
	s_cbranch_execnz .LBB15_27
; %bb.28:                               ;   in Loop: Header=BB15_2 Depth=1
	s_or_b64 exec, exec, s[24:25]
	ds_read_u16 v16, v10
	s_waitcnt lgkmcnt(0)
	v_add_u16_e32 v16, 1, v16
	ds_write_b16 v10, v16
	s_waitcnt lgkmcnt(0)
	s_barrier
	ds_read2_b64 v[16:19], v3 offset1:1
	ds_read2_b64 v[20:23], v3 offset0:2 offset1:3
	s_waitcnt lgkmcnt(1)
	v_add_u32_e32 v16, v17, v16
	v_add3_u32 v16, v16, v18, v19
	s_waitcnt lgkmcnt(0)
	v_add3_u32 v16, v16, v20, v21
	v_add3_u32 v16, v16, v22, v23
	s_nop 1
	v_mov_b32_dpp v17, v16 row_shr:1 row_mask:0xf bank_mask:0xf
	v_cndmask_b32_e64 v17, v17, 0, s[8:9]
	v_add_u32_e32 v16, v17, v16
	s_nop 1
	v_mov_b32_dpp v17, v16 row_shr:2 row_mask:0xf bank_mask:0xf
	v_cndmask_b32_e64 v17, 0, v17, s[10:11]
	v_add_u32_e32 v16, v16, v17
	;; [unrolled: 4-line block ×4, first 2 shown]
	s_nop 1
	v_mov_b32_dpp v17, v16 row_bcast:15 row_mask:0xf bank_mask:0xf
	v_cndmask_b32_e64 v17, v17, 0, s[16:17]
	v_add_u32_e32 v16, v16, v17
	s_nop 1
	v_mov_b32_dpp v17, v16 row_bcast:31 row_mask:0xf bank_mask:0xf
	v_cndmask_b32_e64 v17, 0, v17, s[2:3]
	v_add_u32_e32 v16, v16, v17
	s_and_saveexec_b64 s[22:23], s[4:5]
; %bb.29:                               ;   in Loop: Header=BB15_2 Depth=1
	ds_write_b32 v5, v16 offset:8192
; %bb.30:                               ;   in Loop: Header=BB15_2 Depth=1
	s_or_b64 exec, exec, s[22:23]
	s_waitcnt lgkmcnt(0)
	s_barrier
	s_and_saveexec_b64 s[22:23], vcc
	s_cbranch_execz .LBB15_32
; %bb.31:                               ;   in Loop: Header=BB15_2 Depth=1
	ds_read_b32 v17, v15 offset:8192
	s_waitcnt lgkmcnt(0)
	s_nop 0
	v_mov_b32_dpp v18, v17 row_shr:1 row_mask:0xf bank_mask:0xf
	v_cndmask_b32_e64 v18, v18, 0, s[18:19]
	v_add_u32_e32 v17, v18, v17
	s_nop 1
	v_mov_b32_dpp v18, v17 row_shr:2 row_mask:0xf bank_mask:0xf
	v_cndmask_b32_e64 v18, 0, v18, s[20:21]
	v_add_u32_e32 v17, v17, v18
	ds_write_b32 v15, v17 offset:8192
.LBB15_32:                              ;   in Loop: Header=BB15_2 Depth=1
	s_or_b64 exec, exec, s[22:23]
	v_mov_b32_e32 v17, 0
	s_waitcnt lgkmcnt(0)
	s_barrier
	s_and_saveexec_b64 s[22:23], s[0:1]
; %bb.33:                               ;   in Loop: Header=BB15_2 Depth=1
	ds_read_b32 v17, v5 offset:8188
; %bb.34:                               ;   in Loop: Header=BB15_2 Depth=1
	s_or_b64 exec, exec, s[22:23]
	s_waitcnt lgkmcnt(0)
	v_add_u32_e32 v16, v17, v16
	ds_bpermute_b32 v16, v6, v16
	ds_read_b32 v24, v2 offset:8204
	ds_read2_b64 v[18:21], v3 offset1:1
	ds_read_b64 v[22:23], v3 offset:16
	ds_read_b32 v25, v3 offset:24
	s_mov_b64 s[24:25], 0
	s_waitcnt lgkmcnt(4)
	v_cndmask_b32_e64 v16, v16, v17, s[6:7]
	s_waitcnt lgkmcnt(3)
	v_lshl_add_u32 v16, v24, 16, v16
	s_waitcnt lgkmcnt(2)
	v_add_u32_e32 v17, v16, v18
	v_add_u32_e32 v18, v19, v17
	;; [unrolled: 1-line block ×3, first 2 shown]
	ds_write2_b64 v3, v[16:17], v[18:19] offset1:1
	v_add_u32_e32 v16, v21, v19
	s_waitcnt lgkmcnt(2)
	v_add_u32_e32 v17, v22, v16
	v_add_u32_e32 v18, v23, v17
	s_waitcnt lgkmcnt(1)
	v_add_u32_e32 v19, v25, v18
	ds_write2_b64 v3, v[16:17], v[18:19] offset0:2 offset1:3
	v_mov_b32_e32 v16, v1
	v_mov_b32_e32 v17, v4
	s_waitcnt lgkmcnt(0)
	s_barrier
.LBB15_35:                              ;   Parent Loop BB15_2 Depth=1
                                        ; =>  This Inner Loop Header: Depth=2
	v_add_u32_e32 v17, 0x100, v17
	v_cmp_lt_u32_e64 s[22:23], s30, v17
	ds_write_b32 v16, v2
	s_or_b64 s[24:25], s[22:23], s[24:25]
	v_add_u32_e32 v16, 0x400, v16
	s_andn2_b64 exec, exec, s[24:25]
	s_cbranch_execnz .LBB15_35
; %bb.36:                               ;   in Loop: Header=BB15_2 Depth=1
	s_or_b64 exec, exec, s[24:25]
	ds_read_u16 v16, v11
	s_waitcnt lgkmcnt(0)
	v_add_u16_e32 v16, 1, v16
	ds_write_b16 v11, v16
	s_waitcnt lgkmcnt(0)
	s_barrier
	ds_read2_b64 v[16:19], v3 offset1:1
	ds_read2_b64 v[20:23], v3 offset0:2 offset1:3
	s_waitcnt lgkmcnt(1)
	v_add_u32_e32 v16, v17, v16
	v_add3_u32 v16, v16, v18, v19
	s_waitcnt lgkmcnt(0)
	v_add3_u32 v16, v16, v20, v21
	v_add3_u32 v16, v16, v22, v23
	s_nop 1
	v_mov_b32_dpp v17, v16 row_shr:1 row_mask:0xf bank_mask:0xf
	v_cndmask_b32_e64 v17, v17, 0, s[8:9]
	v_add_u32_e32 v16, v17, v16
	s_nop 1
	v_mov_b32_dpp v17, v16 row_shr:2 row_mask:0xf bank_mask:0xf
	v_cndmask_b32_e64 v17, 0, v17, s[10:11]
	v_add_u32_e32 v16, v16, v17
	;; [unrolled: 4-line block ×4, first 2 shown]
	s_nop 1
	v_mov_b32_dpp v17, v16 row_bcast:15 row_mask:0xf bank_mask:0xf
	v_cndmask_b32_e64 v17, v17, 0, s[16:17]
	v_add_u32_e32 v16, v16, v17
	s_nop 1
	v_mov_b32_dpp v17, v16 row_bcast:31 row_mask:0xf bank_mask:0xf
	v_cndmask_b32_e64 v17, 0, v17, s[2:3]
	v_add_u32_e32 v16, v16, v17
	s_and_saveexec_b64 s[22:23], s[4:5]
; %bb.37:                               ;   in Loop: Header=BB15_2 Depth=1
	ds_write_b32 v5, v16 offset:8192
; %bb.38:                               ;   in Loop: Header=BB15_2 Depth=1
	s_or_b64 exec, exec, s[22:23]
	s_waitcnt lgkmcnt(0)
	s_barrier
	s_and_saveexec_b64 s[22:23], vcc
	s_cbranch_execz .LBB15_40
; %bb.39:                               ;   in Loop: Header=BB15_2 Depth=1
	ds_read_b32 v17, v15 offset:8192
	s_waitcnt lgkmcnt(0)
	s_nop 0
	v_mov_b32_dpp v18, v17 row_shr:1 row_mask:0xf bank_mask:0xf
	v_cndmask_b32_e64 v18, v18, 0, s[18:19]
	v_add_u32_e32 v17, v18, v17
	s_nop 1
	v_mov_b32_dpp v18, v17 row_shr:2 row_mask:0xf bank_mask:0xf
	v_cndmask_b32_e64 v18, 0, v18, s[20:21]
	v_add_u32_e32 v17, v17, v18
	ds_write_b32 v15, v17 offset:8192
.LBB15_40:                              ;   in Loop: Header=BB15_2 Depth=1
	s_or_b64 exec, exec, s[22:23]
	v_mov_b32_e32 v17, 0
	s_waitcnt lgkmcnt(0)
	s_barrier
	s_and_saveexec_b64 s[22:23], s[0:1]
; %bb.41:                               ;   in Loop: Header=BB15_2 Depth=1
	ds_read_b32 v17, v5 offset:8188
; %bb.42:                               ;   in Loop: Header=BB15_2 Depth=1
	s_or_b64 exec, exec, s[22:23]
	s_waitcnt lgkmcnt(0)
	v_add_u32_e32 v16, v17, v16
	ds_bpermute_b32 v16, v6, v16
	ds_read_b32 v24, v2 offset:8204
	ds_read2_b64 v[18:21], v3 offset1:1
	ds_read_b64 v[22:23], v3 offset:16
	ds_read_b32 v25, v3 offset:24
	s_mov_b64 s[24:25], 0
	s_waitcnt lgkmcnt(4)
	v_cndmask_b32_e64 v16, v16, v17, s[6:7]
	s_waitcnt lgkmcnt(3)
	v_lshl_add_u32 v16, v24, 16, v16
	s_waitcnt lgkmcnt(2)
	v_add_u32_e32 v17, v16, v18
	v_add_u32_e32 v18, v19, v17
	;; [unrolled: 1-line block ×3, first 2 shown]
	ds_write2_b64 v3, v[16:17], v[18:19] offset1:1
	v_add_u32_e32 v16, v21, v19
	s_waitcnt lgkmcnt(2)
	v_add_u32_e32 v17, v22, v16
	v_add_u32_e32 v18, v23, v17
	s_waitcnt lgkmcnt(1)
	v_add_u32_e32 v19, v25, v18
	ds_write2_b64 v3, v[16:17], v[18:19] offset0:2 offset1:3
	v_mov_b32_e32 v16, v1
	v_mov_b32_e32 v17, v4
	s_waitcnt lgkmcnt(0)
	s_barrier
.LBB15_43:                              ;   Parent Loop BB15_2 Depth=1
                                        ; =>  This Inner Loop Header: Depth=2
	v_add_u32_e32 v17, 0x100, v17
	v_cmp_lt_u32_e64 s[22:23], s30, v17
	ds_write_b32 v16, v2
	s_or_b64 s[24:25], s[22:23], s[24:25]
	v_add_u32_e32 v16, 0x400, v16
	s_andn2_b64 exec, exec, s[24:25]
	s_cbranch_execnz .LBB15_43
; %bb.44:                               ;   in Loop: Header=BB15_2 Depth=1
	s_or_b64 exec, exec, s[24:25]
	ds_read_u16 v16, v12
	s_waitcnt lgkmcnt(0)
	v_add_u16_e32 v16, 1, v16
	ds_write_b16 v12, v16
	s_waitcnt lgkmcnt(0)
	s_barrier
	ds_read2_b64 v[16:19], v3 offset1:1
	ds_read2_b64 v[20:23], v3 offset0:2 offset1:3
	s_waitcnt lgkmcnt(1)
	v_add_u32_e32 v16, v17, v16
	v_add3_u32 v16, v16, v18, v19
	s_waitcnt lgkmcnt(0)
	v_add3_u32 v16, v16, v20, v21
	v_add3_u32 v16, v16, v22, v23
	s_nop 1
	v_mov_b32_dpp v17, v16 row_shr:1 row_mask:0xf bank_mask:0xf
	v_cndmask_b32_e64 v17, v17, 0, s[8:9]
	v_add_u32_e32 v16, v17, v16
	s_nop 1
	v_mov_b32_dpp v17, v16 row_shr:2 row_mask:0xf bank_mask:0xf
	v_cndmask_b32_e64 v17, 0, v17, s[10:11]
	v_add_u32_e32 v16, v16, v17
	;; [unrolled: 4-line block ×4, first 2 shown]
	s_nop 1
	v_mov_b32_dpp v17, v16 row_bcast:15 row_mask:0xf bank_mask:0xf
	v_cndmask_b32_e64 v17, v17, 0, s[16:17]
	v_add_u32_e32 v16, v16, v17
	s_nop 1
	v_mov_b32_dpp v17, v16 row_bcast:31 row_mask:0xf bank_mask:0xf
	v_cndmask_b32_e64 v17, 0, v17, s[2:3]
	v_add_u32_e32 v16, v16, v17
	s_and_saveexec_b64 s[22:23], s[4:5]
; %bb.45:                               ;   in Loop: Header=BB15_2 Depth=1
	ds_write_b32 v5, v16 offset:8192
; %bb.46:                               ;   in Loop: Header=BB15_2 Depth=1
	s_or_b64 exec, exec, s[22:23]
	s_waitcnt lgkmcnt(0)
	s_barrier
	s_and_saveexec_b64 s[22:23], vcc
	s_cbranch_execz .LBB15_48
; %bb.47:                               ;   in Loop: Header=BB15_2 Depth=1
	ds_read_b32 v17, v15 offset:8192
	s_waitcnt lgkmcnt(0)
	s_nop 0
	v_mov_b32_dpp v18, v17 row_shr:1 row_mask:0xf bank_mask:0xf
	v_cndmask_b32_e64 v18, v18, 0, s[18:19]
	v_add_u32_e32 v17, v18, v17
	s_nop 1
	v_mov_b32_dpp v18, v17 row_shr:2 row_mask:0xf bank_mask:0xf
	v_cndmask_b32_e64 v18, 0, v18, s[20:21]
	v_add_u32_e32 v17, v17, v18
	ds_write_b32 v15, v17 offset:8192
.LBB15_48:                              ;   in Loop: Header=BB15_2 Depth=1
	s_or_b64 exec, exec, s[22:23]
	v_mov_b32_e32 v17, 0
	s_waitcnt lgkmcnt(0)
	s_barrier
	s_and_saveexec_b64 s[22:23], s[0:1]
; %bb.49:                               ;   in Loop: Header=BB15_2 Depth=1
	ds_read_b32 v17, v5 offset:8188
; %bb.50:                               ;   in Loop: Header=BB15_2 Depth=1
	s_or_b64 exec, exec, s[22:23]
	s_waitcnt lgkmcnt(0)
	v_add_u32_e32 v16, v17, v16
	ds_bpermute_b32 v16, v6, v16
	ds_read_b32 v24, v2 offset:8204
	ds_read2_b64 v[18:21], v3 offset1:1
	ds_read_b64 v[22:23], v3 offset:16
	ds_read_b32 v25, v3 offset:24
	s_mov_b64 s[24:25], 0
	s_waitcnt lgkmcnt(4)
	v_cndmask_b32_e64 v16, v16, v17, s[6:7]
	s_waitcnt lgkmcnt(3)
	v_lshl_add_u32 v16, v24, 16, v16
	s_waitcnt lgkmcnt(2)
	v_add_u32_e32 v17, v16, v18
	v_add_u32_e32 v18, v19, v17
	;; [unrolled: 1-line block ×3, first 2 shown]
	ds_write2_b64 v3, v[16:17], v[18:19] offset1:1
	v_add_u32_e32 v16, v21, v19
	s_waitcnt lgkmcnt(2)
	v_add_u32_e32 v17, v22, v16
	v_add_u32_e32 v18, v23, v17
	s_waitcnt lgkmcnt(1)
	v_add_u32_e32 v19, v25, v18
	ds_write2_b64 v3, v[16:17], v[18:19] offset0:2 offset1:3
	v_mov_b32_e32 v16, v1
	v_mov_b32_e32 v17, v4
	s_waitcnt lgkmcnt(0)
	s_barrier
.LBB15_51:                              ;   Parent Loop BB15_2 Depth=1
                                        ; =>  This Inner Loop Header: Depth=2
	v_add_u32_e32 v17, 0x100, v17
	v_cmp_lt_u32_e64 s[22:23], s30, v17
	ds_write_b32 v16, v2
	s_or_b64 s[24:25], s[22:23], s[24:25]
	v_add_u32_e32 v16, 0x400, v16
	s_andn2_b64 exec, exec, s[24:25]
	s_cbranch_execnz .LBB15_51
; %bb.52:                               ;   in Loop: Header=BB15_2 Depth=1
	s_or_b64 exec, exec, s[24:25]
	ds_read_u16 v16, v14
	s_waitcnt lgkmcnt(0)
	v_add_u16_e32 v16, 1, v16
	ds_write_b16 v14, v16
	s_waitcnt lgkmcnt(0)
	s_barrier
	ds_read2_b64 v[16:19], v3 offset1:1
	ds_read2_b64 v[20:23], v3 offset0:2 offset1:3
	s_waitcnt lgkmcnt(1)
	v_add_u32_e32 v16, v17, v16
	v_add3_u32 v16, v16, v18, v19
	s_waitcnt lgkmcnt(0)
	v_add3_u32 v16, v16, v20, v21
	v_add3_u32 v16, v16, v22, v23
	s_nop 1
	v_mov_b32_dpp v17, v16 row_shr:1 row_mask:0xf bank_mask:0xf
	v_cndmask_b32_e64 v17, v17, 0, s[8:9]
	v_add_u32_e32 v16, v17, v16
	s_nop 1
	v_mov_b32_dpp v17, v16 row_shr:2 row_mask:0xf bank_mask:0xf
	v_cndmask_b32_e64 v17, 0, v17, s[10:11]
	v_add_u32_e32 v16, v16, v17
	;; [unrolled: 4-line block ×4, first 2 shown]
	s_nop 1
	v_mov_b32_dpp v17, v16 row_bcast:15 row_mask:0xf bank_mask:0xf
	v_cndmask_b32_e64 v17, v17, 0, s[16:17]
	v_add_u32_e32 v16, v16, v17
	s_nop 1
	v_mov_b32_dpp v17, v16 row_bcast:31 row_mask:0xf bank_mask:0xf
	v_cndmask_b32_e64 v17, 0, v17, s[2:3]
	v_add_u32_e32 v16, v16, v17
	s_and_saveexec_b64 s[22:23], s[4:5]
; %bb.53:                               ;   in Loop: Header=BB15_2 Depth=1
	ds_write_b32 v5, v16 offset:8192
; %bb.54:                               ;   in Loop: Header=BB15_2 Depth=1
	s_or_b64 exec, exec, s[22:23]
	s_waitcnt lgkmcnt(0)
	s_barrier
	s_and_saveexec_b64 s[22:23], vcc
	s_cbranch_execz .LBB15_56
; %bb.55:                               ;   in Loop: Header=BB15_2 Depth=1
	ds_read_b32 v17, v15 offset:8192
	s_waitcnt lgkmcnt(0)
	s_nop 0
	v_mov_b32_dpp v18, v17 row_shr:1 row_mask:0xf bank_mask:0xf
	v_cndmask_b32_e64 v18, v18, 0, s[18:19]
	v_add_u32_e32 v17, v18, v17
	s_nop 1
	v_mov_b32_dpp v18, v17 row_shr:2 row_mask:0xf bank_mask:0xf
	v_cndmask_b32_e64 v18, 0, v18, s[20:21]
	v_add_u32_e32 v17, v17, v18
	ds_write_b32 v15, v17 offset:8192
.LBB15_56:                              ;   in Loop: Header=BB15_2 Depth=1
	s_or_b64 exec, exec, s[22:23]
	v_mov_b32_e32 v17, 0
	s_waitcnt lgkmcnt(0)
	s_barrier
	s_and_saveexec_b64 s[22:23], s[0:1]
; %bb.57:                               ;   in Loop: Header=BB15_2 Depth=1
	ds_read_b32 v17, v5 offset:8188
; %bb.58:                               ;   in Loop: Header=BB15_2 Depth=1
	s_or_b64 exec, exec, s[22:23]
	s_waitcnt lgkmcnt(0)
	v_add_u32_e32 v16, v17, v16
	ds_bpermute_b32 v16, v6, v16
	ds_read_b32 v24, v2 offset:8204
	ds_read2_b64 v[18:21], v3 offset1:1
	ds_read_b64 v[22:23], v3 offset:16
	ds_read_b32 v25, v3 offset:24
	s_mov_b64 s[24:25], 0
	s_waitcnt lgkmcnt(4)
	v_cndmask_b32_e64 v16, v16, v17, s[6:7]
	s_waitcnt lgkmcnt(3)
	v_lshl_add_u32 v16, v24, 16, v16
	s_waitcnt lgkmcnt(2)
	v_add_u32_e32 v17, v16, v18
	v_add_u32_e32 v18, v19, v17
	;; [unrolled: 1-line block ×3, first 2 shown]
	ds_write2_b64 v3, v[16:17], v[18:19] offset1:1
	v_add_u32_e32 v16, v21, v19
	s_waitcnt lgkmcnt(2)
	v_add_u32_e32 v17, v22, v16
	v_add_u32_e32 v18, v23, v17
	s_waitcnt lgkmcnt(1)
	v_add_u32_e32 v19, v25, v18
	ds_write2_b64 v3, v[16:17], v[18:19] offset0:2 offset1:3
	v_mov_b32_e32 v16, v1
	v_mov_b32_e32 v17, v4
	s_waitcnt lgkmcnt(0)
	s_barrier
.LBB15_59:                              ;   Parent Loop BB15_2 Depth=1
                                        ; =>  This Inner Loop Header: Depth=2
	v_add_u32_e32 v17, 0x100, v17
	v_cmp_lt_u32_e64 s[22:23], s30, v17
	ds_write_b32 v16, v2
	s_or_b64 s[24:25], s[22:23], s[24:25]
	v_add_u32_e32 v16, 0x400, v16
	s_andn2_b64 exec, exec, s[24:25]
	s_cbranch_execnz .LBB15_59
; %bb.60:                               ;   in Loop: Header=BB15_2 Depth=1
	s_or_b64 exec, exec, s[24:25]
	ds_read_u16 v16, v13
	s_waitcnt lgkmcnt(0)
	v_add_u16_e32 v17, 1, v16
	ds_write_b16 v13, v17
	s_waitcnt lgkmcnt(0)
	s_barrier
	ds_read2_b64 v[17:20], v3 offset1:1
	ds_read2_b64 v[21:24], v3 offset0:2 offset1:3
	s_waitcnt lgkmcnt(1)
	v_add_u32_e32 v17, v18, v17
	v_add3_u32 v17, v17, v19, v20
	s_waitcnt lgkmcnt(0)
	v_add3_u32 v17, v17, v21, v22
	v_add3_u32 v17, v17, v23, v24
	s_nop 1
	v_mov_b32_dpp v18, v17 row_shr:1 row_mask:0xf bank_mask:0xf
	v_cndmask_b32_e64 v18, v18, 0, s[8:9]
	v_add_u32_e32 v17, v18, v17
	s_nop 1
	v_mov_b32_dpp v18, v17 row_shr:2 row_mask:0xf bank_mask:0xf
	v_cndmask_b32_e64 v18, 0, v18, s[10:11]
	v_add_u32_e32 v17, v17, v18
	;; [unrolled: 4-line block ×4, first 2 shown]
	s_nop 1
	v_mov_b32_dpp v18, v17 row_bcast:15 row_mask:0xf bank_mask:0xf
	v_cndmask_b32_e64 v18, v18, 0, s[16:17]
	v_add_u32_e32 v17, v17, v18
	s_nop 1
	v_mov_b32_dpp v18, v17 row_bcast:31 row_mask:0xf bank_mask:0xf
	v_cndmask_b32_e64 v18, 0, v18, s[2:3]
	v_add_u32_e32 v17, v17, v18
	s_and_saveexec_b64 s[22:23], s[4:5]
; %bb.61:                               ;   in Loop: Header=BB15_2 Depth=1
	ds_write_b32 v5, v17 offset:8192
; %bb.62:                               ;   in Loop: Header=BB15_2 Depth=1
	s_or_b64 exec, exec, s[22:23]
	s_waitcnt lgkmcnt(0)
	s_barrier
	s_and_saveexec_b64 s[22:23], vcc
	s_cbranch_execz .LBB15_64
; %bb.63:                               ;   in Loop: Header=BB15_2 Depth=1
	ds_read_b32 v18, v15 offset:8192
	s_waitcnt lgkmcnt(0)
	s_nop 0
	v_mov_b32_dpp v19, v18 row_shr:1 row_mask:0xf bank_mask:0xf
	v_cndmask_b32_e64 v19, v19, 0, s[18:19]
	v_add_u32_e32 v18, v19, v18
	s_nop 1
	v_mov_b32_dpp v19, v18 row_shr:2 row_mask:0xf bank_mask:0xf
	v_cndmask_b32_e64 v19, 0, v19, s[20:21]
	v_add_u32_e32 v18, v18, v19
	ds_write_b32 v15, v18 offset:8192
.LBB15_64:                              ;   in Loop: Header=BB15_2 Depth=1
	s_or_b64 exec, exec, s[22:23]
	v_mov_b32_e32 v18, 0
	s_waitcnt lgkmcnt(0)
	s_barrier
	s_and_saveexec_b64 s[22:23], s[0:1]
	s_cbranch_execz .LBB15_1
; %bb.65:                               ;   in Loop: Header=BB15_2 Depth=1
	ds_read_b32 v18, v5 offset:8188
	s_branch .LBB15_1
.LBB15_66:
	ds_read_u16 v1, v13
	s_add_u32 s0, s26, s28
	s_addc_u32 s1, s27, s29
	v_lshlrev_b32_e32 v0, 2, v0
	s_waitcnt lgkmcnt(0)
	v_add_u32_sdwa v1, v1, v16 dst_sel:DWORD dst_unused:UNUSED_PAD src0_sel:DWORD src1_sel:WORD_0
	global_store_dword v0, v1, s[0:1]
	s_endpgm
	.section	.rodata,"a",@progbits
	.p2align	6, 0x0
	.amdhsa_kernel _Z11rank_kernelIiLj4ELb0EL18RadixRankAlgorithm0ELj256ELj1ELj10EEvPKT_Pi
		.amdhsa_group_segment_fixed_size 8208
		.amdhsa_private_segment_fixed_size 0
		.amdhsa_kernarg_size 16
		.amdhsa_user_sgpr_count 6
		.amdhsa_user_sgpr_private_segment_buffer 1
		.amdhsa_user_sgpr_dispatch_ptr 0
		.amdhsa_user_sgpr_queue_ptr 0
		.amdhsa_user_sgpr_kernarg_segment_ptr 1
		.amdhsa_user_sgpr_dispatch_id 0
		.amdhsa_user_sgpr_flat_scratch_init 0
		.amdhsa_user_sgpr_private_segment_size 0
		.amdhsa_uses_dynamic_stack 0
		.amdhsa_system_sgpr_private_segment_wavefront_offset 0
		.amdhsa_system_sgpr_workgroup_id_x 1
		.amdhsa_system_sgpr_workgroup_id_y 0
		.amdhsa_system_sgpr_workgroup_id_z 0
		.amdhsa_system_sgpr_workgroup_info 0
		.amdhsa_system_vgpr_workitem_id 0
		.amdhsa_next_free_vgpr 33
		.amdhsa_next_free_sgpr 77
		.amdhsa_reserve_vcc 1
		.amdhsa_reserve_flat_scratch 0
		.amdhsa_float_round_mode_32 0
		.amdhsa_float_round_mode_16_64 0
		.amdhsa_float_denorm_mode_32 3
		.amdhsa_float_denorm_mode_16_64 3
		.amdhsa_dx10_clamp 1
		.amdhsa_ieee_mode 1
		.amdhsa_fp16_overflow 0
		.amdhsa_exception_fp_ieee_invalid_op 0
		.amdhsa_exception_fp_denorm_src 0
		.amdhsa_exception_fp_ieee_div_zero 0
		.amdhsa_exception_fp_ieee_overflow 0
		.amdhsa_exception_fp_ieee_underflow 0
		.amdhsa_exception_fp_ieee_inexact 0
		.amdhsa_exception_int_div_zero 0
	.end_amdhsa_kernel
	.section	.text._Z11rank_kernelIiLj4ELb0EL18RadixRankAlgorithm0ELj256ELj1ELj10EEvPKT_Pi,"axG",@progbits,_Z11rank_kernelIiLj4ELb0EL18RadixRankAlgorithm0ELj256ELj1ELj10EEvPKT_Pi,comdat
.Lfunc_end15:
	.size	_Z11rank_kernelIiLj4ELb0EL18RadixRankAlgorithm0ELj256ELj1ELj10EEvPKT_Pi, .Lfunc_end15-_Z11rank_kernelIiLj4ELb0EL18RadixRankAlgorithm0ELj256ELj1ELj10EEvPKT_Pi
                                        ; -- End function
	.set _Z11rank_kernelIiLj4ELb0EL18RadixRankAlgorithm0ELj256ELj1ELj10EEvPKT_Pi.num_vgpr, 27
	.set _Z11rank_kernelIiLj4ELb0EL18RadixRankAlgorithm0ELj256ELj1ELj10EEvPKT_Pi.num_agpr, 0
	.set _Z11rank_kernelIiLj4ELb0EL18RadixRankAlgorithm0ELj256ELj1ELj10EEvPKT_Pi.numbered_sgpr, 32
	.set _Z11rank_kernelIiLj4ELb0EL18RadixRankAlgorithm0ELj256ELj1ELj10EEvPKT_Pi.num_named_barrier, 0
	.set _Z11rank_kernelIiLj4ELb0EL18RadixRankAlgorithm0ELj256ELj1ELj10EEvPKT_Pi.private_seg_size, 0
	.set _Z11rank_kernelIiLj4ELb0EL18RadixRankAlgorithm0ELj256ELj1ELj10EEvPKT_Pi.uses_vcc, 1
	.set _Z11rank_kernelIiLj4ELb0EL18RadixRankAlgorithm0ELj256ELj1ELj10EEvPKT_Pi.uses_flat_scratch, 0
	.set _Z11rank_kernelIiLj4ELb0EL18RadixRankAlgorithm0ELj256ELj1ELj10EEvPKT_Pi.has_dyn_sized_stack, 0
	.set _Z11rank_kernelIiLj4ELb0EL18RadixRankAlgorithm0ELj256ELj1ELj10EEvPKT_Pi.has_recursion, 0
	.set _Z11rank_kernelIiLj4ELb0EL18RadixRankAlgorithm0ELj256ELj1ELj10EEvPKT_Pi.has_indirect_call, 0
	.section	.AMDGPU.csdata,"",@progbits
; Kernel info:
; codeLenInByte = 4968
; TotalNumSgprs: 36
; NumVgprs: 27
; ScratchSize: 0
; MemoryBound: 0
; FloatMode: 240
; IeeeMode: 1
; LDSByteSize: 8208 bytes/workgroup (compile time only)
; SGPRBlocks: 10
; VGPRBlocks: 8
; NumSGPRsForWavesPerEU: 81
; NumVGPRsForWavesPerEU: 33
; Occupancy: 7
; WaveLimiterHint : 0
; COMPUTE_PGM_RSRC2:SCRATCH_EN: 0
; COMPUTE_PGM_RSRC2:USER_SGPR: 6
; COMPUTE_PGM_RSRC2:TRAP_HANDLER: 0
; COMPUTE_PGM_RSRC2:TGID_X_EN: 1
; COMPUTE_PGM_RSRC2:TGID_Y_EN: 0
; COMPUTE_PGM_RSRC2:TGID_Z_EN: 0
; COMPUTE_PGM_RSRC2:TIDIG_COMP_CNT: 0
	.section	.text._Z11rank_kernelIiLj4ELb0EL18RadixRankAlgorithm1ELj256ELj1ELj10EEvPKT_Pi,"axG",@progbits,_Z11rank_kernelIiLj4ELb0EL18RadixRankAlgorithm1ELj256ELj1ELj10EEvPKT_Pi,comdat
	.protected	_Z11rank_kernelIiLj4ELb0EL18RadixRankAlgorithm1ELj256ELj1ELj10EEvPKT_Pi ; -- Begin function _Z11rank_kernelIiLj4ELb0EL18RadixRankAlgorithm1ELj256ELj1ELj10EEvPKT_Pi
	.globl	_Z11rank_kernelIiLj4ELb0EL18RadixRankAlgorithm1ELj256ELj1ELj10EEvPKT_Pi
	.p2align	8
	.type	_Z11rank_kernelIiLj4ELb0EL18RadixRankAlgorithm1ELj256ELj1ELj10EEvPKT_Pi,@function
_Z11rank_kernelIiLj4ELb0EL18RadixRankAlgorithm1ELj256ELj1ELj10EEvPKT_Pi: ; @_Z11rank_kernelIiLj4ELb0EL18RadixRankAlgorithm1ELj256ELj1ELj10EEvPKT_Pi
; %bb.0:
	s_load_dwordx4 s[24:27], s[4:5], 0x0
	s_lshl_b32 s30, s6, 8
	s_mov_b32 s31, 0
	s_lshl_b64 s[28:29], s[30:31], 2
	v_lshlrev_b32_e32 v9, 2, v0
	s_waitcnt lgkmcnt(0)
	s_add_u32 s0, s24, s28
	s_addc_u32 s1, s25, s29
	global_load_dword v1, v9, s[0:1]
	v_mbcnt_lo_u32_b32 v2, -1, 0
	v_mbcnt_hi_u32_b32 v2, -1, v2
	v_or_b32_e32 v3, 63, v0
	v_cmp_eq_u32_e64 s[4:5], v0, v3
	v_subrev_co_u32_e64 v3, s[6:7], 1, v2
	v_and_b32_e32 v8, 64, v2
	v_lshrrev_b32_e32 v4, 4, v0
	v_cmp_lt_i32_e64 s[18:19], v3, v8
	s_movk_i32 s22, 0x700
	v_and_b32_e32 v6, 15, v2
	v_and_b32_e32 v7, 16, v2
	v_cmp_lt_u32_e64 s[2:3], 31, v2
	v_and_b32_e32 v13, 12, v4
	v_and_b32_e32 v4, 3, v2
	v_cndmask_b32_e64 v2, v3, v2, s[18:19]
	v_cmp_eq_u32_e64 s[8:9], 0, v6
	v_cmp_lt_u32_e64 s[10:11], 1, v6
	v_cmp_lt_u32_e64 s[12:13], 3, v6
	;; [unrolled: 1-line block ×3, first 2 shown]
	v_cmp_eq_u32_e64 s[16:17], 0, v7
	v_cmp_eq_u32_e64 s[18:19], 0, v4
	v_cmp_lt_u32_e64 s[20:21], 1, v4
	v_lshlrev_b32_e32 v14, 2, v2
	v_lshlrev_b32_e32 v11, 5, v0
	v_mul_i32_i24_e32 v5, 0xffffffe4, v0
	v_mov_b32_e32 v10, 0
	s_movk_i32 s30, 0x6ff
	v_cmp_gt_u32_e32 vcc, 4, v0
	v_cmp_lt_u32_e64 s[0:1], 63, v0
	v_or_b32_e32 v12, 0xffffff00, v0
	s_waitcnt vmcnt(0)
	v_not_b32_e32 v2, v1
	v_lshlrev_b32_e32 v3, 28, v1
	v_lshlrev_b32_e32 v4, 8, v1
	;; [unrolled: 1-line block ×5, first 2 shown]
	v_and_or_b32 v15, v1, s22, v0
	v_lshlrev_b32_e32 v16, 16, v1
	v_lshrrev_b32_e32 v17, 4, v1
	v_lshlrev_b32_e32 v18, 12, v1
	v_lshrrev_b32_e32 v19, 8, v1
	v_lshrrev_b32_e32 v20, 12, v1
	;; [unrolled: 1-line block ×4, first 2 shown]
	v_and_or_b32 v22, v4, s22, v0
	v_and_or_b32 v23, v7, s22, v0
	v_alignbit_b32 v8, v15, v8, 31
	v_and_or_b32 v17, v17, s22, v0
	v_and_or_b32 v19, v19, s22, v0
	;; [unrolled: 1-line block ×5, first 2 shown]
	v_alignbit_b32 v3, v22, v3, 31
	v_alignbit_b32 v6, v23, v6, 31
	v_lshlrev_b32_e32 v15, 1, v8
	v_alignbit_b32 v8, v17, v16, 31
	v_alignbit_b32 v19, v19, v18, 31
	;; [unrolled: 1-line block ×5, first 2 shown]
	v_lshlrev_b32_e32 v16, 1, v3
	v_lshlrev_b32_e32 v17, 1, v6
	v_lshlrev_b32_e32 v18, 1, v8
	v_lshlrev_b32_e32 v19, 1, v19
	v_lshlrev_b32_e32 v20, 1, v4
	v_lshlrev_b32_e32 v22, 1, v7
	v_lshlrev_b32_e32 v21, 1, v1
	v_add_u32_e32 v23, v11, v5
	s_branch .LBB16_2
.LBB16_1:                               ;   in Loop: Header=BB16_2 Depth=1
	s_or_b64 exec, exec, s[22:23]
	s_waitcnt lgkmcnt(0)
	v_add_u32_e32 v4, v25, v4
	ds_bpermute_b32 v4, v14, v4
	ds_read_b32 v26, v10 offset:8204
	s_add_i32 s31, s31, 1
	s_cmp_eq_u32 s31, 10
	s_waitcnt lgkmcnt(1)
	v_cndmask_b32_e64 v4, v4, v25, s[6:7]
	s_waitcnt lgkmcnt(0)
	v_lshl_add_u32 v4, v26, 16, v4
	v_add_u32_e32 v5, v4, v5
	v_add_u32_e32 v6, v5, v6
	;; [unrolled: 1-line block ×7, first 2 shown]
	ds_write2_b64 v11, v[4:5], v[6:7] offset1:1
	ds_write2_b64 v11, v[25:26], v[1:2] offset0:2 offset1:3
	s_waitcnt lgkmcnt(0)
	s_barrier
	s_cbranch_scc1 .LBB16_66
.LBB16_2:                               ; =>This Loop Header: Depth=1
                                        ;     Child Loop BB16_3 Depth 2
                                        ;     Child Loop BB16_11 Depth 2
                                        ;     Child Loop BB16_19 Depth 2
                                        ;     Child Loop BB16_27 Depth 2
                                        ;     Child Loop BB16_35 Depth 2
                                        ;     Child Loop BB16_43 Depth 2
                                        ;     Child Loop BB16_51 Depth 2
                                        ;     Child Loop BB16_59 Depth 2
	s_mov_b64 s[24:25], 0
	v_mov_b32_e32 v1, v12
	v_mov_b32_e32 v2, v9
.LBB16_3:                               ;   Parent Loop BB16_2 Depth=1
                                        ; =>  This Inner Loop Header: Depth=2
	v_add_u32_e32 v1, 0x100, v1
	v_cmp_lt_u32_e64 s[22:23], s30, v1
	ds_write_b32 v2, v10
	s_or_b64 s[24:25], s[22:23], s[24:25]
	v_add_u32_e32 v2, 0x400, v2
	s_andn2_b64 exec, exec, s[24:25]
	s_cbranch_execnz .LBB16_3
; %bb.4:                                ;   in Loop: Header=BB16_2 Depth=1
	s_or_b64 exec, exec, s[24:25]
	ds_read_u16 v1, v16
	s_waitcnt lgkmcnt(0)
	v_add_u16_e32 v1, 1, v1
	ds_write_b16 v16, v1
	s_waitcnt lgkmcnt(0)
	s_barrier
	ds_read2_b64 v[5:8], v11 offset1:1
	ds_read2_b64 v[1:4], v11 offset0:2 offset1:3
	s_waitcnt lgkmcnt(1)
	v_add_u32_e32 v24, v6, v5
	v_add3_u32 v24, v24, v7, v8
	s_waitcnt lgkmcnt(0)
	v_add3_u32 v24, v24, v1, v2
	v_add3_u32 v4, v24, v3, v4
	s_nop 1
	v_mov_b32_dpp v24, v4 row_shr:1 row_mask:0xf bank_mask:0xf
	v_cndmask_b32_e64 v24, v24, 0, s[8:9]
	v_add_u32_e32 v4, v24, v4
	s_nop 1
	v_mov_b32_dpp v24, v4 row_shr:2 row_mask:0xf bank_mask:0xf
	v_cndmask_b32_e64 v24, 0, v24, s[10:11]
	v_add_u32_e32 v4, v4, v24
	;; [unrolled: 4-line block ×4, first 2 shown]
	s_nop 1
	v_mov_b32_dpp v24, v4 row_bcast:15 row_mask:0xf bank_mask:0xf
	v_cndmask_b32_e64 v24, v24, 0, s[16:17]
	v_add_u32_e32 v4, v4, v24
	s_nop 1
	v_mov_b32_dpp v24, v4 row_bcast:31 row_mask:0xf bank_mask:0xf
	v_cndmask_b32_e64 v24, 0, v24, s[2:3]
	v_add_u32_e32 v4, v4, v24
	s_and_saveexec_b64 s[22:23], s[4:5]
; %bb.5:                                ;   in Loop: Header=BB16_2 Depth=1
	ds_write_b32 v13, v4 offset:8192
; %bb.6:                                ;   in Loop: Header=BB16_2 Depth=1
	s_or_b64 exec, exec, s[22:23]
	s_waitcnt lgkmcnt(0)
	s_barrier
	s_and_saveexec_b64 s[22:23], vcc
	s_cbranch_execz .LBB16_8
; %bb.7:                                ;   in Loop: Header=BB16_2 Depth=1
	ds_read_b32 v24, v23 offset:8192
	s_waitcnt lgkmcnt(0)
	s_nop 0
	v_mov_b32_dpp v25, v24 row_shr:1 row_mask:0xf bank_mask:0xf
	v_cndmask_b32_e64 v25, v25, 0, s[18:19]
	v_add_u32_e32 v24, v25, v24
	s_nop 1
	v_mov_b32_dpp v25, v24 row_shr:2 row_mask:0xf bank_mask:0xf
	v_cndmask_b32_e64 v25, 0, v25, s[20:21]
	v_add_u32_e32 v24, v24, v25
	ds_write_b32 v23, v24 offset:8192
.LBB16_8:                               ;   in Loop: Header=BB16_2 Depth=1
	s_or_b64 exec, exec, s[22:23]
	v_mov_b32_e32 v24, 0
	s_waitcnt lgkmcnt(0)
	s_barrier
	s_and_saveexec_b64 s[22:23], s[0:1]
; %bb.9:                                ;   in Loop: Header=BB16_2 Depth=1
	ds_read_b32 v24, v13 offset:8188
; %bb.10:                               ;   in Loop: Header=BB16_2 Depth=1
	s_or_b64 exec, exec, s[22:23]
	s_waitcnt lgkmcnt(0)
	v_add_u32_e32 v4, v24, v4
	ds_bpermute_b32 v4, v14, v4
	ds_read_b32 v25, v10 offset:8204
	s_mov_b64 s[24:25], 0
	s_waitcnt lgkmcnt(1)
	v_cndmask_b32_e64 v4, v4, v24, s[6:7]
	s_waitcnt lgkmcnt(0)
	v_lshl_add_u32 v4, v25, 16, v4
	v_add_u32_e32 v5, v4, v5
	v_add_u32_e32 v6, v5, v6
	;; [unrolled: 1-line block ×7, first 2 shown]
	ds_write2_b64 v11, v[24:25], v[1:2] offset0:2 offset1:3
	v_mov_b32_e32 v1, v9
	v_mov_b32_e32 v2, v12
	ds_write2_b64 v11, v[4:5], v[6:7] offset1:1
	s_waitcnt lgkmcnt(0)
	s_barrier
.LBB16_11:                              ;   Parent Loop BB16_2 Depth=1
                                        ; =>  This Inner Loop Header: Depth=2
	v_add_u32_e32 v2, 0x100, v2
	v_cmp_lt_u32_e64 s[22:23], s30, v2
	ds_write_b32 v1, v10
	s_or_b64 s[24:25], s[22:23], s[24:25]
	v_add_u32_e32 v1, 0x400, v1
	s_andn2_b64 exec, exec, s[24:25]
	s_cbranch_execnz .LBB16_11
; %bb.12:                               ;   in Loop: Header=BB16_2 Depth=1
	s_or_b64 exec, exec, s[24:25]
	ds_read_u16 v1, v17
	s_waitcnt lgkmcnt(0)
	v_add_u16_e32 v1, 1, v1
	ds_write_b16 v17, v1
	s_waitcnt lgkmcnt(0)
	s_barrier
	ds_read2_b64 v[5:8], v11 offset1:1
	ds_read2_b64 v[1:4], v11 offset0:2 offset1:3
	s_waitcnt lgkmcnt(1)
	v_add_u32_e32 v24, v6, v5
	v_add3_u32 v24, v24, v7, v8
	s_waitcnt lgkmcnt(0)
	v_add3_u32 v24, v24, v1, v2
	v_add3_u32 v4, v24, v3, v4
	s_nop 1
	v_mov_b32_dpp v24, v4 row_shr:1 row_mask:0xf bank_mask:0xf
	v_cndmask_b32_e64 v24, v24, 0, s[8:9]
	v_add_u32_e32 v4, v24, v4
	s_nop 1
	v_mov_b32_dpp v24, v4 row_shr:2 row_mask:0xf bank_mask:0xf
	v_cndmask_b32_e64 v24, 0, v24, s[10:11]
	v_add_u32_e32 v4, v4, v24
	;; [unrolled: 4-line block ×4, first 2 shown]
	s_nop 1
	v_mov_b32_dpp v24, v4 row_bcast:15 row_mask:0xf bank_mask:0xf
	v_cndmask_b32_e64 v24, v24, 0, s[16:17]
	v_add_u32_e32 v4, v4, v24
	s_nop 1
	v_mov_b32_dpp v24, v4 row_bcast:31 row_mask:0xf bank_mask:0xf
	v_cndmask_b32_e64 v24, 0, v24, s[2:3]
	v_add_u32_e32 v4, v4, v24
	s_and_saveexec_b64 s[22:23], s[4:5]
; %bb.13:                               ;   in Loop: Header=BB16_2 Depth=1
	ds_write_b32 v13, v4 offset:8192
; %bb.14:                               ;   in Loop: Header=BB16_2 Depth=1
	s_or_b64 exec, exec, s[22:23]
	s_waitcnt lgkmcnt(0)
	s_barrier
	s_and_saveexec_b64 s[22:23], vcc
	s_cbranch_execz .LBB16_16
; %bb.15:                               ;   in Loop: Header=BB16_2 Depth=1
	ds_read_b32 v24, v23 offset:8192
	s_waitcnt lgkmcnt(0)
	s_nop 0
	v_mov_b32_dpp v25, v24 row_shr:1 row_mask:0xf bank_mask:0xf
	v_cndmask_b32_e64 v25, v25, 0, s[18:19]
	v_add_u32_e32 v24, v25, v24
	s_nop 1
	v_mov_b32_dpp v25, v24 row_shr:2 row_mask:0xf bank_mask:0xf
	v_cndmask_b32_e64 v25, 0, v25, s[20:21]
	v_add_u32_e32 v24, v24, v25
	ds_write_b32 v23, v24 offset:8192
.LBB16_16:                              ;   in Loop: Header=BB16_2 Depth=1
	s_or_b64 exec, exec, s[22:23]
	v_mov_b32_e32 v24, 0
	s_waitcnt lgkmcnt(0)
	s_barrier
	s_and_saveexec_b64 s[22:23], s[0:1]
; %bb.17:                               ;   in Loop: Header=BB16_2 Depth=1
	ds_read_b32 v24, v13 offset:8188
; %bb.18:                               ;   in Loop: Header=BB16_2 Depth=1
	s_or_b64 exec, exec, s[22:23]
	s_waitcnt lgkmcnt(0)
	v_add_u32_e32 v4, v24, v4
	ds_bpermute_b32 v4, v14, v4
	ds_read_b32 v25, v10 offset:8204
	s_mov_b64 s[24:25], 0
	s_waitcnt lgkmcnt(1)
	v_cndmask_b32_e64 v4, v4, v24, s[6:7]
	s_waitcnt lgkmcnt(0)
	v_lshl_add_u32 v4, v25, 16, v4
	v_add_u32_e32 v5, v4, v5
	v_add_u32_e32 v6, v5, v6
	;; [unrolled: 1-line block ×7, first 2 shown]
	ds_write2_b64 v11, v[24:25], v[1:2] offset0:2 offset1:3
	v_mov_b32_e32 v1, v9
	v_mov_b32_e32 v2, v12
	ds_write2_b64 v11, v[4:5], v[6:7] offset1:1
	s_waitcnt lgkmcnt(0)
	s_barrier
.LBB16_19:                              ;   Parent Loop BB16_2 Depth=1
                                        ; =>  This Inner Loop Header: Depth=2
	v_add_u32_e32 v2, 0x100, v2
	v_cmp_lt_u32_e64 s[22:23], s30, v2
	ds_write_b32 v1, v10
	s_or_b64 s[24:25], s[22:23], s[24:25]
	v_add_u32_e32 v1, 0x400, v1
	s_andn2_b64 exec, exec, s[24:25]
	s_cbranch_execnz .LBB16_19
; %bb.20:                               ;   in Loop: Header=BB16_2 Depth=1
	s_or_b64 exec, exec, s[24:25]
	ds_read_u16 v1, v15
	s_waitcnt lgkmcnt(0)
	v_add_u16_e32 v1, 1, v1
	ds_write_b16 v15, v1
	s_waitcnt lgkmcnt(0)
	s_barrier
	ds_read2_b64 v[5:8], v11 offset1:1
	ds_read2_b64 v[1:4], v11 offset0:2 offset1:3
	s_waitcnt lgkmcnt(1)
	v_add_u32_e32 v24, v6, v5
	v_add3_u32 v24, v24, v7, v8
	s_waitcnt lgkmcnt(0)
	v_add3_u32 v24, v24, v1, v2
	v_add3_u32 v4, v24, v3, v4
	s_nop 1
	v_mov_b32_dpp v24, v4 row_shr:1 row_mask:0xf bank_mask:0xf
	v_cndmask_b32_e64 v24, v24, 0, s[8:9]
	v_add_u32_e32 v4, v24, v4
	s_nop 1
	v_mov_b32_dpp v24, v4 row_shr:2 row_mask:0xf bank_mask:0xf
	v_cndmask_b32_e64 v24, 0, v24, s[10:11]
	v_add_u32_e32 v4, v4, v24
	;; [unrolled: 4-line block ×4, first 2 shown]
	s_nop 1
	v_mov_b32_dpp v24, v4 row_bcast:15 row_mask:0xf bank_mask:0xf
	v_cndmask_b32_e64 v24, v24, 0, s[16:17]
	v_add_u32_e32 v4, v4, v24
	s_nop 1
	v_mov_b32_dpp v24, v4 row_bcast:31 row_mask:0xf bank_mask:0xf
	v_cndmask_b32_e64 v24, 0, v24, s[2:3]
	v_add_u32_e32 v4, v4, v24
	s_and_saveexec_b64 s[22:23], s[4:5]
; %bb.21:                               ;   in Loop: Header=BB16_2 Depth=1
	ds_write_b32 v13, v4 offset:8192
; %bb.22:                               ;   in Loop: Header=BB16_2 Depth=1
	s_or_b64 exec, exec, s[22:23]
	s_waitcnt lgkmcnt(0)
	s_barrier
	s_and_saveexec_b64 s[22:23], vcc
	s_cbranch_execz .LBB16_24
; %bb.23:                               ;   in Loop: Header=BB16_2 Depth=1
	ds_read_b32 v24, v23 offset:8192
	s_waitcnt lgkmcnt(0)
	s_nop 0
	v_mov_b32_dpp v25, v24 row_shr:1 row_mask:0xf bank_mask:0xf
	v_cndmask_b32_e64 v25, v25, 0, s[18:19]
	v_add_u32_e32 v24, v25, v24
	s_nop 1
	v_mov_b32_dpp v25, v24 row_shr:2 row_mask:0xf bank_mask:0xf
	v_cndmask_b32_e64 v25, 0, v25, s[20:21]
	v_add_u32_e32 v24, v24, v25
	ds_write_b32 v23, v24 offset:8192
.LBB16_24:                              ;   in Loop: Header=BB16_2 Depth=1
	s_or_b64 exec, exec, s[22:23]
	v_mov_b32_e32 v24, 0
	s_waitcnt lgkmcnt(0)
	s_barrier
	s_and_saveexec_b64 s[22:23], s[0:1]
; %bb.25:                               ;   in Loop: Header=BB16_2 Depth=1
	ds_read_b32 v24, v13 offset:8188
; %bb.26:                               ;   in Loop: Header=BB16_2 Depth=1
	s_or_b64 exec, exec, s[22:23]
	s_waitcnt lgkmcnt(0)
	v_add_u32_e32 v4, v24, v4
	ds_bpermute_b32 v4, v14, v4
	ds_read_b32 v25, v10 offset:8204
	s_mov_b64 s[24:25], 0
	s_waitcnt lgkmcnt(1)
	v_cndmask_b32_e64 v4, v4, v24, s[6:7]
	s_waitcnt lgkmcnt(0)
	v_lshl_add_u32 v4, v25, 16, v4
	v_add_u32_e32 v5, v4, v5
	v_add_u32_e32 v6, v5, v6
	;; [unrolled: 1-line block ×7, first 2 shown]
	ds_write2_b64 v11, v[24:25], v[1:2] offset0:2 offset1:3
	v_mov_b32_e32 v1, v9
	v_mov_b32_e32 v2, v12
	ds_write2_b64 v11, v[4:5], v[6:7] offset1:1
	s_waitcnt lgkmcnt(0)
	s_barrier
.LBB16_27:                              ;   Parent Loop BB16_2 Depth=1
                                        ; =>  This Inner Loop Header: Depth=2
	v_add_u32_e32 v2, 0x100, v2
	v_cmp_lt_u32_e64 s[22:23], s30, v2
	ds_write_b32 v1, v10
	s_or_b64 s[24:25], s[22:23], s[24:25]
	v_add_u32_e32 v1, 0x400, v1
	s_andn2_b64 exec, exec, s[24:25]
	s_cbranch_execnz .LBB16_27
; %bb.28:                               ;   in Loop: Header=BB16_2 Depth=1
	s_or_b64 exec, exec, s[24:25]
	ds_read_u16 v1, v18
	s_waitcnt lgkmcnt(0)
	v_add_u16_e32 v1, 1, v1
	ds_write_b16 v18, v1
	s_waitcnt lgkmcnt(0)
	s_barrier
	ds_read2_b64 v[5:8], v11 offset1:1
	ds_read2_b64 v[1:4], v11 offset0:2 offset1:3
	s_waitcnt lgkmcnt(1)
	v_add_u32_e32 v24, v6, v5
	v_add3_u32 v24, v24, v7, v8
	s_waitcnt lgkmcnt(0)
	v_add3_u32 v24, v24, v1, v2
	v_add3_u32 v4, v24, v3, v4
	s_nop 1
	v_mov_b32_dpp v24, v4 row_shr:1 row_mask:0xf bank_mask:0xf
	v_cndmask_b32_e64 v24, v24, 0, s[8:9]
	v_add_u32_e32 v4, v24, v4
	s_nop 1
	v_mov_b32_dpp v24, v4 row_shr:2 row_mask:0xf bank_mask:0xf
	v_cndmask_b32_e64 v24, 0, v24, s[10:11]
	v_add_u32_e32 v4, v4, v24
	;; [unrolled: 4-line block ×4, first 2 shown]
	s_nop 1
	v_mov_b32_dpp v24, v4 row_bcast:15 row_mask:0xf bank_mask:0xf
	v_cndmask_b32_e64 v24, v24, 0, s[16:17]
	v_add_u32_e32 v4, v4, v24
	s_nop 1
	v_mov_b32_dpp v24, v4 row_bcast:31 row_mask:0xf bank_mask:0xf
	v_cndmask_b32_e64 v24, 0, v24, s[2:3]
	v_add_u32_e32 v4, v4, v24
	s_and_saveexec_b64 s[22:23], s[4:5]
; %bb.29:                               ;   in Loop: Header=BB16_2 Depth=1
	ds_write_b32 v13, v4 offset:8192
; %bb.30:                               ;   in Loop: Header=BB16_2 Depth=1
	s_or_b64 exec, exec, s[22:23]
	s_waitcnt lgkmcnt(0)
	s_barrier
	s_and_saveexec_b64 s[22:23], vcc
	s_cbranch_execz .LBB16_32
; %bb.31:                               ;   in Loop: Header=BB16_2 Depth=1
	ds_read_b32 v24, v23 offset:8192
	s_waitcnt lgkmcnt(0)
	s_nop 0
	v_mov_b32_dpp v25, v24 row_shr:1 row_mask:0xf bank_mask:0xf
	v_cndmask_b32_e64 v25, v25, 0, s[18:19]
	v_add_u32_e32 v24, v25, v24
	s_nop 1
	v_mov_b32_dpp v25, v24 row_shr:2 row_mask:0xf bank_mask:0xf
	v_cndmask_b32_e64 v25, 0, v25, s[20:21]
	v_add_u32_e32 v24, v24, v25
	ds_write_b32 v23, v24 offset:8192
.LBB16_32:                              ;   in Loop: Header=BB16_2 Depth=1
	s_or_b64 exec, exec, s[22:23]
	v_mov_b32_e32 v24, 0
	s_waitcnt lgkmcnt(0)
	s_barrier
	s_and_saveexec_b64 s[22:23], s[0:1]
; %bb.33:                               ;   in Loop: Header=BB16_2 Depth=1
	ds_read_b32 v24, v13 offset:8188
; %bb.34:                               ;   in Loop: Header=BB16_2 Depth=1
	s_or_b64 exec, exec, s[22:23]
	s_waitcnt lgkmcnt(0)
	v_add_u32_e32 v4, v24, v4
	ds_bpermute_b32 v4, v14, v4
	ds_read_b32 v25, v10 offset:8204
	s_mov_b64 s[24:25], 0
	s_waitcnt lgkmcnt(1)
	v_cndmask_b32_e64 v4, v4, v24, s[6:7]
	s_waitcnt lgkmcnt(0)
	v_lshl_add_u32 v4, v25, 16, v4
	v_add_u32_e32 v5, v4, v5
	v_add_u32_e32 v6, v5, v6
	;; [unrolled: 1-line block ×7, first 2 shown]
	ds_write2_b64 v11, v[24:25], v[1:2] offset0:2 offset1:3
	v_mov_b32_e32 v1, v9
	v_mov_b32_e32 v2, v12
	ds_write2_b64 v11, v[4:5], v[6:7] offset1:1
	s_waitcnt lgkmcnt(0)
	s_barrier
.LBB16_35:                              ;   Parent Loop BB16_2 Depth=1
                                        ; =>  This Inner Loop Header: Depth=2
	v_add_u32_e32 v2, 0x100, v2
	v_cmp_lt_u32_e64 s[22:23], s30, v2
	ds_write_b32 v1, v10
	s_or_b64 s[24:25], s[22:23], s[24:25]
	v_add_u32_e32 v1, 0x400, v1
	s_andn2_b64 exec, exec, s[24:25]
	s_cbranch_execnz .LBB16_35
; %bb.36:                               ;   in Loop: Header=BB16_2 Depth=1
	s_or_b64 exec, exec, s[24:25]
	ds_read_u16 v1, v19
	s_waitcnt lgkmcnt(0)
	v_add_u16_e32 v1, 1, v1
	ds_write_b16 v19, v1
	s_waitcnt lgkmcnt(0)
	s_barrier
	ds_read2_b64 v[5:8], v11 offset1:1
	ds_read2_b64 v[1:4], v11 offset0:2 offset1:3
	s_waitcnt lgkmcnt(1)
	v_add_u32_e32 v24, v6, v5
	v_add3_u32 v24, v24, v7, v8
	s_waitcnt lgkmcnt(0)
	v_add3_u32 v24, v24, v1, v2
	v_add3_u32 v4, v24, v3, v4
	s_nop 1
	v_mov_b32_dpp v24, v4 row_shr:1 row_mask:0xf bank_mask:0xf
	v_cndmask_b32_e64 v24, v24, 0, s[8:9]
	v_add_u32_e32 v4, v24, v4
	s_nop 1
	v_mov_b32_dpp v24, v4 row_shr:2 row_mask:0xf bank_mask:0xf
	v_cndmask_b32_e64 v24, 0, v24, s[10:11]
	v_add_u32_e32 v4, v4, v24
	;; [unrolled: 4-line block ×4, first 2 shown]
	s_nop 1
	v_mov_b32_dpp v24, v4 row_bcast:15 row_mask:0xf bank_mask:0xf
	v_cndmask_b32_e64 v24, v24, 0, s[16:17]
	v_add_u32_e32 v4, v4, v24
	s_nop 1
	v_mov_b32_dpp v24, v4 row_bcast:31 row_mask:0xf bank_mask:0xf
	v_cndmask_b32_e64 v24, 0, v24, s[2:3]
	v_add_u32_e32 v4, v4, v24
	s_and_saveexec_b64 s[22:23], s[4:5]
; %bb.37:                               ;   in Loop: Header=BB16_2 Depth=1
	ds_write_b32 v13, v4 offset:8192
; %bb.38:                               ;   in Loop: Header=BB16_2 Depth=1
	s_or_b64 exec, exec, s[22:23]
	s_waitcnt lgkmcnt(0)
	s_barrier
	s_and_saveexec_b64 s[22:23], vcc
	s_cbranch_execz .LBB16_40
; %bb.39:                               ;   in Loop: Header=BB16_2 Depth=1
	ds_read_b32 v24, v23 offset:8192
	s_waitcnt lgkmcnt(0)
	s_nop 0
	v_mov_b32_dpp v25, v24 row_shr:1 row_mask:0xf bank_mask:0xf
	v_cndmask_b32_e64 v25, v25, 0, s[18:19]
	v_add_u32_e32 v24, v25, v24
	s_nop 1
	v_mov_b32_dpp v25, v24 row_shr:2 row_mask:0xf bank_mask:0xf
	v_cndmask_b32_e64 v25, 0, v25, s[20:21]
	v_add_u32_e32 v24, v24, v25
	ds_write_b32 v23, v24 offset:8192
.LBB16_40:                              ;   in Loop: Header=BB16_2 Depth=1
	s_or_b64 exec, exec, s[22:23]
	v_mov_b32_e32 v24, 0
	s_waitcnt lgkmcnt(0)
	s_barrier
	s_and_saveexec_b64 s[22:23], s[0:1]
; %bb.41:                               ;   in Loop: Header=BB16_2 Depth=1
	ds_read_b32 v24, v13 offset:8188
; %bb.42:                               ;   in Loop: Header=BB16_2 Depth=1
	s_or_b64 exec, exec, s[22:23]
	s_waitcnt lgkmcnt(0)
	v_add_u32_e32 v4, v24, v4
	ds_bpermute_b32 v4, v14, v4
	ds_read_b32 v25, v10 offset:8204
	s_mov_b64 s[24:25], 0
	s_waitcnt lgkmcnt(1)
	v_cndmask_b32_e64 v4, v4, v24, s[6:7]
	s_waitcnt lgkmcnt(0)
	v_lshl_add_u32 v4, v25, 16, v4
	v_add_u32_e32 v5, v4, v5
	v_add_u32_e32 v6, v5, v6
	;; [unrolled: 1-line block ×7, first 2 shown]
	ds_write2_b64 v11, v[24:25], v[1:2] offset0:2 offset1:3
	v_mov_b32_e32 v1, v9
	v_mov_b32_e32 v2, v12
	ds_write2_b64 v11, v[4:5], v[6:7] offset1:1
	s_waitcnt lgkmcnt(0)
	s_barrier
.LBB16_43:                              ;   Parent Loop BB16_2 Depth=1
                                        ; =>  This Inner Loop Header: Depth=2
	v_add_u32_e32 v2, 0x100, v2
	v_cmp_lt_u32_e64 s[22:23], s30, v2
	ds_write_b32 v1, v10
	s_or_b64 s[24:25], s[22:23], s[24:25]
	v_add_u32_e32 v1, 0x400, v1
	s_andn2_b64 exec, exec, s[24:25]
	s_cbranch_execnz .LBB16_43
; %bb.44:                               ;   in Loop: Header=BB16_2 Depth=1
	s_or_b64 exec, exec, s[24:25]
	ds_read_u16 v1, v20
	s_waitcnt lgkmcnt(0)
	v_add_u16_e32 v1, 1, v1
	ds_write_b16 v20, v1
	s_waitcnt lgkmcnt(0)
	s_barrier
	ds_read2_b64 v[5:8], v11 offset1:1
	ds_read2_b64 v[1:4], v11 offset0:2 offset1:3
	s_waitcnt lgkmcnt(1)
	v_add_u32_e32 v24, v6, v5
	v_add3_u32 v24, v24, v7, v8
	s_waitcnt lgkmcnt(0)
	v_add3_u32 v24, v24, v1, v2
	v_add3_u32 v4, v24, v3, v4
	s_nop 1
	v_mov_b32_dpp v24, v4 row_shr:1 row_mask:0xf bank_mask:0xf
	v_cndmask_b32_e64 v24, v24, 0, s[8:9]
	v_add_u32_e32 v4, v24, v4
	s_nop 1
	v_mov_b32_dpp v24, v4 row_shr:2 row_mask:0xf bank_mask:0xf
	v_cndmask_b32_e64 v24, 0, v24, s[10:11]
	v_add_u32_e32 v4, v4, v24
	s_nop 1
	v_mov_b32_dpp v24, v4 row_shr:4 row_mask:0xf bank_mask:0xf
	v_cndmask_b32_e64 v24, 0, v24, s[12:13]
	v_add_u32_e32 v4, v4, v24
	s_nop 1
	v_mov_b32_dpp v24, v4 row_shr:8 row_mask:0xf bank_mask:0xf
	v_cndmask_b32_e64 v24, 0, v24, s[14:15]
	v_add_u32_e32 v4, v4, v24
	s_nop 1
	v_mov_b32_dpp v24, v4 row_bcast:15 row_mask:0xf bank_mask:0xf
	v_cndmask_b32_e64 v24, v24, 0, s[16:17]
	v_add_u32_e32 v4, v4, v24
	s_nop 1
	v_mov_b32_dpp v24, v4 row_bcast:31 row_mask:0xf bank_mask:0xf
	v_cndmask_b32_e64 v24, 0, v24, s[2:3]
	v_add_u32_e32 v4, v4, v24
	s_and_saveexec_b64 s[22:23], s[4:5]
; %bb.45:                               ;   in Loop: Header=BB16_2 Depth=1
	ds_write_b32 v13, v4 offset:8192
; %bb.46:                               ;   in Loop: Header=BB16_2 Depth=1
	s_or_b64 exec, exec, s[22:23]
	s_waitcnt lgkmcnt(0)
	s_barrier
	s_and_saveexec_b64 s[22:23], vcc
	s_cbranch_execz .LBB16_48
; %bb.47:                               ;   in Loop: Header=BB16_2 Depth=1
	ds_read_b32 v24, v23 offset:8192
	s_waitcnt lgkmcnt(0)
	s_nop 0
	v_mov_b32_dpp v25, v24 row_shr:1 row_mask:0xf bank_mask:0xf
	v_cndmask_b32_e64 v25, v25, 0, s[18:19]
	v_add_u32_e32 v24, v25, v24
	s_nop 1
	v_mov_b32_dpp v25, v24 row_shr:2 row_mask:0xf bank_mask:0xf
	v_cndmask_b32_e64 v25, 0, v25, s[20:21]
	v_add_u32_e32 v24, v24, v25
	ds_write_b32 v23, v24 offset:8192
.LBB16_48:                              ;   in Loop: Header=BB16_2 Depth=1
	s_or_b64 exec, exec, s[22:23]
	v_mov_b32_e32 v24, 0
	s_waitcnt lgkmcnt(0)
	s_barrier
	s_and_saveexec_b64 s[22:23], s[0:1]
; %bb.49:                               ;   in Loop: Header=BB16_2 Depth=1
	ds_read_b32 v24, v13 offset:8188
; %bb.50:                               ;   in Loop: Header=BB16_2 Depth=1
	s_or_b64 exec, exec, s[22:23]
	s_waitcnt lgkmcnt(0)
	v_add_u32_e32 v4, v24, v4
	ds_bpermute_b32 v4, v14, v4
	ds_read_b32 v25, v10 offset:8204
	s_mov_b64 s[24:25], 0
	s_waitcnt lgkmcnt(1)
	v_cndmask_b32_e64 v4, v4, v24, s[6:7]
	s_waitcnt lgkmcnt(0)
	v_lshl_add_u32 v4, v25, 16, v4
	v_add_u32_e32 v5, v4, v5
	v_add_u32_e32 v6, v5, v6
	;; [unrolled: 1-line block ×7, first 2 shown]
	ds_write2_b64 v11, v[24:25], v[1:2] offset0:2 offset1:3
	v_mov_b32_e32 v1, v9
	v_mov_b32_e32 v2, v12
	ds_write2_b64 v11, v[4:5], v[6:7] offset1:1
	s_waitcnt lgkmcnt(0)
	s_barrier
.LBB16_51:                              ;   Parent Loop BB16_2 Depth=1
                                        ; =>  This Inner Loop Header: Depth=2
	v_add_u32_e32 v2, 0x100, v2
	v_cmp_lt_u32_e64 s[22:23], s30, v2
	ds_write_b32 v1, v10
	s_or_b64 s[24:25], s[22:23], s[24:25]
	v_add_u32_e32 v1, 0x400, v1
	s_andn2_b64 exec, exec, s[24:25]
	s_cbranch_execnz .LBB16_51
; %bb.52:                               ;   in Loop: Header=BB16_2 Depth=1
	s_or_b64 exec, exec, s[24:25]
	ds_read_u16 v1, v22
	s_waitcnt lgkmcnt(0)
	v_add_u16_e32 v1, 1, v1
	ds_write_b16 v22, v1
	s_waitcnt lgkmcnt(0)
	s_barrier
	ds_read2_b64 v[5:8], v11 offset1:1
	ds_read2_b64 v[1:4], v11 offset0:2 offset1:3
	s_waitcnt lgkmcnt(1)
	v_add_u32_e32 v24, v6, v5
	v_add3_u32 v24, v24, v7, v8
	s_waitcnt lgkmcnt(0)
	v_add3_u32 v24, v24, v1, v2
	v_add3_u32 v4, v24, v3, v4
	s_nop 1
	v_mov_b32_dpp v24, v4 row_shr:1 row_mask:0xf bank_mask:0xf
	v_cndmask_b32_e64 v24, v24, 0, s[8:9]
	v_add_u32_e32 v4, v24, v4
	s_nop 1
	v_mov_b32_dpp v24, v4 row_shr:2 row_mask:0xf bank_mask:0xf
	v_cndmask_b32_e64 v24, 0, v24, s[10:11]
	v_add_u32_e32 v4, v4, v24
	;; [unrolled: 4-line block ×4, first 2 shown]
	s_nop 1
	v_mov_b32_dpp v24, v4 row_bcast:15 row_mask:0xf bank_mask:0xf
	v_cndmask_b32_e64 v24, v24, 0, s[16:17]
	v_add_u32_e32 v4, v4, v24
	s_nop 1
	v_mov_b32_dpp v24, v4 row_bcast:31 row_mask:0xf bank_mask:0xf
	v_cndmask_b32_e64 v24, 0, v24, s[2:3]
	v_add_u32_e32 v4, v4, v24
	s_and_saveexec_b64 s[22:23], s[4:5]
; %bb.53:                               ;   in Loop: Header=BB16_2 Depth=1
	ds_write_b32 v13, v4 offset:8192
; %bb.54:                               ;   in Loop: Header=BB16_2 Depth=1
	s_or_b64 exec, exec, s[22:23]
	s_waitcnt lgkmcnt(0)
	s_barrier
	s_and_saveexec_b64 s[22:23], vcc
	s_cbranch_execz .LBB16_56
; %bb.55:                               ;   in Loop: Header=BB16_2 Depth=1
	ds_read_b32 v24, v23 offset:8192
	s_waitcnt lgkmcnt(0)
	s_nop 0
	v_mov_b32_dpp v25, v24 row_shr:1 row_mask:0xf bank_mask:0xf
	v_cndmask_b32_e64 v25, v25, 0, s[18:19]
	v_add_u32_e32 v24, v25, v24
	s_nop 1
	v_mov_b32_dpp v25, v24 row_shr:2 row_mask:0xf bank_mask:0xf
	v_cndmask_b32_e64 v25, 0, v25, s[20:21]
	v_add_u32_e32 v24, v24, v25
	ds_write_b32 v23, v24 offset:8192
.LBB16_56:                              ;   in Loop: Header=BB16_2 Depth=1
	s_or_b64 exec, exec, s[22:23]
	v_mov_b32_e32 v24, 0
	s_waitcnt lgkmcnt(0)
	s_barrier
	s_and_saveexec_b64 s[22:23], s[0:1]
; %bb.57:                               ;   in Loop: Header=BB16_2 Depth=1
	ds_read_b32 v24, v13 offset:8188
; %bb.58:                               ;   in Loop: Header=BB16_2 Depth=1
	s_or_b64 exec, exec, s[22:23]
	s_waitcnt lgkmcnt(0)
	v_add_u32_e32 v4, v24, v4
	ds_bpermute_b32 v4, v14, v4
	ds_read_b32 v25, v10 offset:8204
	s_mov_b64 s[24:25], 0
	s_waitcnt lgkmcnt(1)
	v_cndmask_b32_e64 v4, v4, v24, s[6:7]
	s_waitcnt lgkmcnt(0)
	v_lshl_add_u32 v4, v25, 16, v4
	v_add_u32_e32 v5, v4, v5
	v_add_u32_e32 v6, v5, v6
	;; [unrolled: 1-line block ×7, first 2 shown]
	ds_write2_b64 v11, v[24:25], v[1:2] offset0:2 offset1:3
	v_mov_b32_e32 v1, v9
	v_mov_b32_e32 v2, v12
	ds_write2_b64 v11, v[4:5], v[6:7] offset1:1
	s_waitcnt lgkmcnt(0)
	s_barrier
.LBB16_59:                              ;   Parent Loop BB16_2 Depth=1
                                        ; =>  This Inner Loop Header: Depth=2
	v_add_u32_e32 v2, 0x100, v2
	v_cmp_lt_u32_e64 s[22:23], s30, v2
	ds_write_b32 v1, v10
	s_or_b64 s[24:25], s[22:23], s[24:25]
	v_add_u32_e32 v1, 0x400, v1
	s_andn2_b64 exec, exec, s[24:25]
	s_cbranch_execnz .LBB16_59
; %bb.60:                               ;   in Loop: Header=BB16_2 Depth=1
	s_or_b64 exec, exec, s[24:25]
	ds_read_u16 v24, v21
	s_waitcnt lgkmcnt(0)
	v_add_u16_e32 v1, 1, v24
	ds_write_b16 v21, v1
	s_waitcnt lgkmcnt(0)
	s_barrier
	ds_read2_b64 v[5:8], v11 offset1:1
	ds_read2_b64 v[1:4], v11 offset0:2 offset1:3
	s_waitcnt lgkmcnt(1)
	v_add_u32_e32 v25, v6, v5
	v_add3_u32 v25, v25, v7, v8
	s_waitcnt lgkmcnt(0)
	v_add3_u32 v25, v25, v1, v2
	v_add3_u32 v4, v25, v3, v4
	s_nop 1
	v_mov_b32_dpp v25, v4 row_shr:1 row_mask:0xf bank_mask:0xf
	v_cndmask_b32_e64 v25, v25, 0, s[8:9]
	v_add_u32_e32 v4, v25, v4
	s_nop 1
	v_mov_b32_dpp v25, v4 row_shr:2 row_mask:0xf bank_mask:0xf
	v_cndmask_b32_e64 v25, 0, v25, s[10:11]
	v_add_u32_e32 v4, v4, v25
	;; [unrolled: 4-line block ×4, first 2 shown]
	s_nop 1
	v_mov_b32_dpp v25, v4 row_bcast:15 row_mask:0xf bank_mask:0xf
	v_cndmask_b32_e64 v25, v25, 0, s[16:17]
	v_add_u32_e32 v4, v4, v25
	s_nop 1
	v_mov_b32_dpp v25, v4 row_bcast:31 row_mask:0xf bank_mask:0xf
	v_cndmask_b32_e64 v25, 0, v25, s[2:3]
	v_add_u32_e32 v4, v4, v25
	s_and_saveexec_b64 s[22:23], s[4:5]
; %bb.61:                               ;   in Loop: Header=BB16_2 Depth=1
	ds_write_b32 v13, v4 offset:8192
; %bb.62:                               ;   in Loop: Header=BB16_2 Depth=1
	s_or_b64 exec, exec, s[22:23]
	s_waitcnt lgkmcnt(0)
	s_barrier
	s_and_saveexec_b64 s[22:23], vcc
	s_cbranch_execz .LBB16_64
; %bb.63:                               ;   in Loop: Header=BB16_2 Depth=1
	ds_read_b32 v25, v23 offset:8192
	s_waitcnt lgkmcnt(0)
	s_nop 0
	v_mov_b32_dpp v26, v25 row_shr:1 row_mask:0xf bank_mask:0xf
	v_cndmask_b32_e64 v26, v26, 0, s[18:19]
	v_add_u32_e32 v25, v26, v25
	s_nop 1
	v_mov_b32_dpp v26, v25 row_shr:2 row_mask:0xf bank_mask:0xf
	v_cndmask_b32_e64 v26, 0, v26, s[20:21]
	v_add_u32_e32 v25, v25, v26
	ds_write_b32 v23, v25 offset:8192
.LBB16_64:                              ;   in Loop: Header=BB16_2 Depth=1
	s_or_b64 exec, exec, s[22:23]
	v_mov_b32_e32 v25, 0
	s_waitcnt lgkmcnt(0)
	s_barrier
	s_and_saveexec_b64 s[22:23], s[0:1]
	s_cbranch_execz .LBB16_1
; %bb.65:                               ;   in Loop: Header=BB16_2 Depth=1
	ds_read_b32 v25, v13 offset:8188
	s_branch .LBB16_1
.LBB16_66:
	ds_read_u16 v1, v21
	s_add_u32 s0, s26, s28
	s_addc_u32 s1, s27, s29
	v_lshlrev_b32_e32 v0, 2, v0
	s_waitcnt lgkmcnt(0)
	v_add_u32_sdwa v1, v1, v24 dst_sel:DWORD dst_unused:UNUSED_PAD src0_sel:DWORD src1_sel:WORD_0
	global_store_dword v0, v1, s[0:1]
	s_endpgm
	.section	.rodata,"a",@progbits
	.p2align	6, 0x0
	.amdhsa_kernel _Z11rank_kernelIiLj4ELb0EL18RadixRankAlgorithm1ELj256ELj1ELj10EEvPKT_Pi
		.amdhsa_group_segment_fixed_size 8208
		.amdhsa_private_segment_fixed_size 0
		.amdhsa_kernarg_size 16
		.amdhsa_user_sgpr_count 6
		.amdhsa_user_sgpr_private_segment_buffer 1
		.amdhsa_user_sgpr_dispatch_ptr 0
		.amdhsa_user_sgpr_queue_ptr 0
		.amdhsa_user_sgpr_kernarg_segment_ptr 1
		.amdhsa_user_sgpr_dispatch_id 0
		.amdhsa_user_sgpr_flat_scratch_init 0
		.amdhsa_user_sgpr_private_segment_size 0
		.amdhsa_uses_dynamic_stack 0
		.amdhsa_system_sgpr_private_segment_wavefront_offset 0
		.amdhsa_system_sgpr_workgroup_id_x 1
		.amdhsa_system_sgpr_workgroup_id_y 0
		.amdhsa_system_sgpr_workgroup_id_z 0
		.amdhsa_system_sgpr_workgroup_info 0
		.amdhsa_system_vgpr_workitem_id 0
		.amdhsa_next_free_vgpr 33
		.amdhsa_next_free_sgpr 77
		.amdhsa_reserve_vcc 1
		.amdhsa_reserve_flat_scratch 0
		.amdhsa_float_round_mode_32 0
		.amdhsa_float_round_mode_16_64 0
		.amdhsa_float_denorm_mode_32 3
		.amdhsa_float_denorm_mode_16_64 3
		.amdhsa_dx10_clamp 1
		.amdhsa_ieee_mode 1
		.amdhsa_fp16_overflow 0
		.amdhsa_exception_fp_ieee_invalid_op 0
		.amdhsa_exception_fp_denorm_src 0
		.amdhsa_exception_fp_ieee_div_zero 0
		.amdhsa_exception_fp_ieee_overflow 0
		.amdhsa_exception_fp_ieee_underflow 0
		.amdhsa_exception_fp_ieee_inexact 0
		.amdhsa_exception_int_div_zero 0
	.end_amdhsa_kernel
	.section	.text._Z11rank_kernelIiLj4ELb0EL18RadixRankAlgorithm1ELj256ELj1ELj10EEvPKT_Pi,"axG",@progbits,_Z11rank_kernelIiLj4ELb0EL18RadixRankAlgorithm1ELj256ELj1ELj10EEvPKT_Pi,comdat
.Lfunc_end16:
	.size	_Z11rank_kernelIiLj4ELb0EL18RadixRankAlgorithm1ELj256ELj1ELj10EEvPKT_Pi, .Lfunc_end16-_Z11rank_kernelIiLj4ELb0EL18RadixRankAlgorithm1ELj256ELj1ELj10EEvPKT_Pi
                                        ; -- End function
	.set _Z11rank_kernelIiLj4ELb0EL18RadixRankAlgorithm1ELj256ELj1ELj10EEvPKT_Pi.num_vgpr, 27
	.set _Z11rank_kernelIiLj4ELb0EL18RadixRankAlgorithm1ELj256ELj1ELj10EEvPKT_Pi.num_agpr, 0
	.set _Z11rank_kernelIiLj4ELb0EL18RadixRankAlgorithm1ELj256ELj1ELj10EEvPKT_Pi.numbered_sgpr, 32
	.set _Z11rank_kernelIiLj4ELb0EL18RadixRankAlgorithm1ELj256ELj1ELj10EEvPKT_Pi.num_named_barrier, 0
	.set _Z11rank_kernelIiLj4ELb0EL18RadixRankAlgorithm1ELj256ELj1ELj10EEvPKT_Pi.private_seg_size, 0
	.set _Z11rank_kernelIiLj4ELb0EL18RadixRankAlgorithm1ELj256ELj1ELj10EEvPKT_Pi.uses_vcc, 1
	.set _Z11rank_kernelIiLj4ELb0EL18RadixRankAlgorithm1ELj256ELj1ELj10EEvPKT_Pi.uses_flat_scratch, 0
	.set _Z11rank_kernelIiLj4ELb0EL18RadixRankAlgorithm1ELj256ELj1ELj10EEvPKT_Pi.has_dyn_sized_stack, 0
	.set _Z11rank_kernelIiLj4ELb0EL18RadixRankAlgorithm1ELj256ELj1ELj10EEvPKT_Pi.has_recursion, 0
	.set _Z11rank_kernelIiLj4ELb0EL18RadixRankAlgorithm1ELj256ELj1ELj10EEvPKT_Pi.has_indirect_call, 0
	.section	.AMDGPU.csdata,"",@progbits
; Kernel info:
; codeLenInByte = 4680
; TotalNumSgprs: 36
; NumVgprs: 27
; ScratchSize: 0
; MemoryBound: 0
; FloatMode: 240
; IeeeMode: 1
; LDSByteSize: 8208 bytes/workgroup (compile time only)
; SGPRBlocks: 10
; VGPRBlocks: 8
; NumSGPRsForWavesPerEU: 81
; NumVGPRsForWavesPerEU: 33
; Occupancy: 7
; WaveLimiterHint : 0
; COMPUTE_PGM_RSRC2:SCRATCH_EN: 0
; COMPUTE_PGM_RSRC2:USER_SGPR: 6
; COMPUTE_PGM_RSRC2:TRAP_HANDLER: 0
; COMPUTE_PGM_RSRC2:TGID_X_EN: 1
; COMPUTE_PGM_RSRC2:TGID_Y_EN: 0
; COMPUTE_PGM_RSRC2:TGID_Z_EN: 0
; COMPUTE_PGM_RSRC2:TIDIG_COMP_CNT: 0
	.section	.text._Z11rank_kernelIiLj4ELb0EL18RadixRankAlgorithm2ELj256ELj1ELj10EEvPKT_Pi,"axG",@progbits,_Z11rank_kernelIiLj4ELb0EL18RadixRankAlgorithm2ELj256ELj1ELj10EEvPKT_Pi,comdat
	.protected	_Z11rank_kernelIiLj4ELb0EL18RadixRankAlgorithm2ELj256ELj1ELj10EEvPKT_Pi ; -- Begin function _Z11rank_kernelIiLj4ELb0EL18RadixRankAlgorithm2ELj256ELj1ELj10EEvPKT_Pi
	.globl	_Z11rank_kernelIiLj4ELb0EL18RadixRankAlgorithm2ELj256ELj1ELj10EEvPKT_Pi
	.p2align	8
	.type	_Z11rank_kernelIiLj4ELb0EL18RadixRankAlgorithm2ELj256ELj1ELj10EEvPKT_Pi,@function
_Z11rank_kernelIiLj4ELb0EL18RadixRankAlgorithm2ELj256ELj1ELj10EEvPKT_Pi: ; @_Z11rank_kernelIiLj4ELb0EL18RadixRankAlgorithm2ELj256ELj1ELj10EEvPKT_Pi
; %bb.0:
	s_load_dwordx4 s[24:27], s[4:5], 0x0
	s_load_dword s20, s[4:5], 0x1c
	s_lshl_b32 s30, s6, 8
	s_mov_b32 s31, 0
	s_lshl_b64 s[28:29], s[30:31], 2
	s_waitcnt lgkmcnt(0)
	s_add_u32 s0, s24, s28
	s_addc_u32 s1, s25, s29
	v_lshlrev_b32_e32 v5, 2, v0
	global_load_dword v4, v5, s[0:1]
	s_lshr_b32 s21, s20, 16
	s_and_b32 s20, s20, 0xffff
	v_mad_u32_u24 v1, v2, s21, v1
	v_mbcnt_lo_u32_b32 v6, -1, 0
	v_mad_u64_u32 v[1:2], s[20:21], v1, s20, v[0:1]
	v_mbcnt_hi_u32_b32 v7, -1, v6
	v_subrev_co_u32_e64 v11, s[6:7], 1, v7
	v_and_b32_e32 v12, 64, v7
	v_or_b32_e32 v6, 63, v0
	v_lshrrev_b32_e32 v8, 4, v0
	v_and_b32_e32 v9, 15, v7
	v_cmp_lt_i32_e64 s[18:19], v11, v12
	v_and_b32_e32 v10, 16, v7
	v_cmp_eq_u32_e64 s[4:5], v0, v6
	v_and_b32_e32 v6, 12, v8
	v_and_b32_e32 v8, 3, v7
	v_cmp_eq_u32_e64 s[8:9], 0, v9
	v_cmp_lt_u32_e64 s[10:11], 1, v9
	v_cmp_lt_u32_e64 s[12:13], 3, v9
	;; [unrolled: 1-line block ×3, first 2 shown]
	v_cndmask_b32_e64 v9, v11, v7, s[18:19]
	v_lshrrev_b32_e32 v1, 4, v1
	v_mov_b32_e32 v3, 0
	v_cmp_gt_u32_e32 vcc, 4, v0
	v_cmp_lt_u32_e64 s[0:1], 63, v0
	v_cmp_lt_u32_e64 s[2:3], 31, v7
	v_cmp_eq_u32_e64 s[16:17], 0, v10
	v_cmp_eq_u32_e64 s[18:19], 0, v8
	v_cmp_lt_u32_e64 s[20:21], 1, v8
	v_add_u32_e32 v7, -4, v6
	v_lshlrev_b32_e32 v8, 2, v9
	v_and_b32_e32 v9, 0xffffffc, v1
	s_waitcnt vmcnt(0)
	v_xor_b32_e32 v10, 0x80000000, v4
	s_branch .LBB17_2
.LBB17_1:                               ;   in Loop: Header=BB17_2 Depth=1
	s_add_i32 s31, s31, 1
	s_cmp_eq_u32 s31, 10
	s_cbranch_scc1 .LBB17_12
.LBB17_2:                               ; =>This Loop Header: Depth=1
                                        ;     Child Loop BB17_4 Depth 2
	s_mov_b32 s30, -4
	s_mov_b32 s33, 28
	s_branch .LBB17_4
.LBB17_3:                               ;   in Loop: Header=BB17_4 Depth=2
	s_or_b64 exec, exec, s[22:23]
	s_waitcnt lgkmcnt(0)
	v_add_u32_e32 v1, v2, v1
	ds_bpermute_b32 v1, v8, v1
	s_add_i32 s33, s33, -4
	s_add_i32 s30, s30, 4
	s_cmp_lt_u32 s30, 28
	s_waitcnt lgkmcnt(0)
	v_cndmask_b32_e64 v1, v1, v2, s[6:7]
	ds_write_b32 v5, v1 offset:16
	s_waitcnt lgkmcnt(0)
	s_barrier
	s_cbranch_scc0 .LBB17_1
.LBB17_4:                               ;   Parent Loop BB17_2 Depth=1
                                        ; =>  This Inner Loop Header: Depth=2
	v_lshlrev_b32_e32 v1, s33, v10
	v_lshrrev_b32_e32 v1, 28, v1
	v_and_b32_e32 v2, 1, v1
	v_add_co_u32_e64 v4, s[22:23], -1, v2
	v_addc_co_u32_e64 v12, s[22:23], 0, -1, s[22:23]
	v_cmp_ne_u32_e64 s[22:23], 0, v2
	v_xor_b32_e32 v4, s22, v4
	v_xor_b32_e32 v2, s23, v12
	v_and_b32_e32 v12, exec_lo, v4
	v_lshlrev_b32_e32 v4, 30, v1
	v_cmp_gt_i64_e64 s[22:23], 0, v[3:4]
	v_not_b32_e32 v4, v4
	v_ashrrev_i32_e32 v4, 31, v4
	v_xor_b32_e32 v13, s23, v4
	v_xor_b32_e32 v4, s22, v4
	v_and_b32_e32 v12, v12, v4
	v_lshlrev_b32_e32 v4, 29, v1
	v_cmp_gt_i64_e64 s[22:23], 0, v[3:4]
	v_not_b32_e32 v4, v4
	v_and_b32_e32 v2, exec_hi, v2
	v_ashrrev_i32_e32 v4, 31, v4
	v_and_b32_e32 v2, v2, v13
	v_xor_b32_e32 v13, s23, v4
	v_xor_b32_e32 v4, s22, v4
	v_and_b32_e32 v12, v12, v4
	v_lshlrev_b32_e32 v4, 28, v1
	v_mul_u32_u24_e32 v11, 20, v1
	v_cmp_gt_i64_e64 s[22:23], 0, v[3:4]
	v_not_b32_e32 v1, v4
	v_ashrrev_i32_e32 v1, 31, v1
	v_xor_b32_e32 v4, s23, v1
	v_xor_b32_e32 v1, s22, v1
	v_and_b32_e32 v2, v2, v13
	v_and_b32_e32 v1, v12, v1
	;; [unrolled: 1-line block ×3, first 2 shown]
	v_mbcnt_lo_u32_b32 v4, v1, 0
	v_mbcnt_hi_u32_b32 v4, v2, v4
	v_cmp_ne_u64_e64 s[22:23], 0, v[1:2]
	v_cmp_eq_u32_e64 s[24:25], 0, v4
	s_and_b64 s[24:25], s[22:23], s[24:25]
	ds_write_b32 v5, v3 offset:16
	s_waitcnt lgkmcnt(0)
	s_barrier
	; wave barrier
	s_and_saveexec_b64 s[22:23], s[24:25]
; %bb.5:                                ;   in Loop: Header=BB17_4 Depth=2
	v_bcnt_u32_b32 v1, v1, 0
	v_bcnt_u32_b32 v1, v2, v1
	v_add_u32_e32 v2, v9, v11
	ds_write_b32 v2, v1 offset:16
; %bb.6:                                ;   in Loop: Header=BB17_4 Depth=2
	s_or_b64 exec, exec, s[22:23]
	; wave barrier
	s_waitcnt lgkmcnt(0)
	s_barrier
	ds_read_b32 v1, v5 offset:16
	s_waitcnt lgkmcnt(0)
	s_nop 0
	v_mov_b32_dpp v2, v1 row_shr:1 row_mask:0xf bank_mask:0xf
	v_cndmask_b32_e64 v2, v2, 0, s[8:9]
	v_add_u32_e32 v1, v2, v1
	s_nop 1
	v_mov_b32_dpp v2, v1 row_shr:2 row_mask:0xf bank_mask:0xf
	v_cndmask_b32_e64 v2, 0, v2, s[10:11]
	v_add_u32_e32 v1, v1, v2
	;; [unrolled: 4-line block ×4, first 2 shown]
	s_nop 1
	v_mov_b32_dpp v2, v1 row_bcast:15 row_mask:0xf bank_mask:0xf
	v_cndmask_b32_e64 v2, v2, 0, s[16:17]
	v_add_u32_e32 v1, v1, v2
	s_nop 1
	v_mov_b32_dpp v2, v1 row_bcast:31 row_mask:0xf bank_mask:0xf
	v_cndmask_b32_e64 v2, 0, v2, s[2:3]
	v_add_u32_e32 v1, v1, v2
	s_and_saveexec_b64 s[22:23], s[4:5]
; %bb.7:                                ;   in Loop: Header=BB17_4 Depth=2
	ds_write_b32 v6, v1
; %bb.8:                                ;   in Loop: Header=BB17_4 Depth=2
	s_or_b64 exec, exec, s[22:23]
	s_waitcnt lgkmcnt(0)
	s_barrier
	s_and_saveexec_b64 s[22:23], vcc
	s_cbranch_execz .LBB17_10
; %bb.9:                                ;   in Loop: Header=BB17_4 Depth=2
	ds_read_b32 v2, v5
	s_waitcnt lgkmcnt(0)
	s_nop 0
	v_mov_b32_dpp v12, v2 row_shr:1 row_mask:0xf bank_mask:0xf
	v_cndmask_b32_e64 v12, v12, 0, s[18:19]
	v_add_u32_e32 v2, v12, v2
	s_nop 1
	v_mov_b32_dpp v12, v2 row_shr:2 row_mask:0xf bank_mask:0xf
	v_cndmask_b32_e64 v12, 0, v12, s[20:21]
	v_add_u32_e32 v2, v2, v12
	ds_write_b32 v5, v2
.LBB17_10:                              ;   in Loop: Header=BB17_4 Depth=2
	s_or_b64 exec, exec, s[22:23]
	v_mov_b32_e32 v2, 0
	s_waitcnt lgkmcnt(0)
	s_barrier
	s_and_saveexec_b64 s[22:23], s[0:1]
	s_cbranch_execz .LBB17_3
; %bb.11:                               ;   in Loop: Header=BB17_4 Depth=2
	ds_read_b32 v2, v7
	s_branch .LBB17_3
.LBB17_12:
	v_add_u32_e32 v1, v9, v11
	ds_read_b32 v1, v1 offset:16
	s_add_u32 s0, s26, s28
	s_addc_u32 s1, s27, s29
	v_lshlrev_b32_e32 v0, 2, v0
	s_waitcnt lgkmcnt(0)
	v_add_u32_e32 v1, v1, v4
	global_store_dword v0, v1, s[0:1]
	s_endpgm
	.section	.rodata,"a",@progbits
	.p2align	6, 0x0
	.amdhsa_kernel _Z11rank_kernelIiLj4ELb0EL18RadixRankAlgorithm2ELj256ELj1ELj10EEvPKT_Pi
		.amdhsa_group_segment_fixed_size 1040
		.amdhsa_private_segment_fixed_size 0
		.amdhsa_kernarg_size 272
		.amdhsa_user_sgpr_count 6
		.amdhsa_user_sgpr_private_segment_buffer 1
		.amdhsa_user_sgpr_dispatch_ptr 0
		.amdhsa_user_sgpr_queue_ptr 0
		.amdhsa_user_sgpr_kernarg_segment_ptr 1
		.amdhsa_user_sgpr_dispatch_id 0
		.amdhsa_user_sgpr_flat_scratch_init 0
		.amdhsa_user_sgpr_private_segment_size 0
		.amdhsa_uses_dynamic_stack 0
		.amdhsa_system_sgpr_private_segment_wavefront_offset 0
		.amdhsa_system_sgpr_workgroup_id_x 1
		.amdhsa_system_sgpr_workgroup_id_y 0
		.amdhsa_system_sgpr_workgroup_id_z 0
		.amdhsa_system_sgpr_workgroup_info 0
		.amdhsa_system_vgpr_workitem_id 2
		.amdhsa_next_free_vgpr 14
		.amdhsa_next_free_sgpr 34
		.amdhsa_reserve_vcc 1
		.amdhsa_reserve_flat_scratch 0
		.amdhsa_float_round_mode_32 0
		.amdhsa_float_round_mode_16_64 0
		.amdhsa_float_denorm_mode_32 3
		.amdhsa_float_denorm_mode_16_64 3
		.amdhsa_dx10_clamp 1
		.amdhsa_ieee_mode 1
		.amdhsa_fp16_overflow 0
		.amdhsa_exception_fp_ieee_invalid_op 0
		.amdhsa_exception_fp_denorm_src 0
		.amdhsa_exception_fp_ieee_div_zero 0
		.amdhsa_exception_fp_ieee_overflow 0
		.amdhsa_exception_fp_ieee_underflow 0
		.amdhsa_exception_fp_ieee_inexact 0
		.amdhsa_exception_int_div_zero 0
	.end_amdhsa_kernel
	.section	.text._Z11rank_kernelIiLj4ELb0EL18RadixRankAlgorithm2ELj256ELj1ELj10EEvPKT_Pi,"axG",@progbits,_Z11rank_kernelIiLj4ELb0EL18RadixRankAlgorithm2ELj256ELj1ELj10EEvPKT_Pi,comdat
.Lfunc_end17:
	.size	_Z11rank_kernelIiLj4ELb0EL18RadixRankAlgorithm2ELj256ELj1ELj10EEvPKT_Pi, .Lfunc_end17-_Z11rank_kernelIiLj4ELb0EL18RadixRankAlgorithm2ELj256ELj1ELj10EEvPKT_Pi
                                        ; -- End function
	.set _Z11rank_kernelIiLj4ELb0EL18RadixRankAlgorithm2ELj256ELj1ELj10EEvPKT_Pi.num_vgpr, 14
	.set _Z11rank_kernelIiLj4ELb0EL18RadixRankAlgorithm2ELj256ELj1ELj10EEvPKT_Pi.num_agpr, 0
	.set _Z11rank_kernelIiLj4ELb0EL18RadixRankAlgorithm2ELj256ELj1ELj10EEvPKT_Pi.numbered_sgpr, 34
	.set _Z11rank_kernelIiLj4ELb0EL18RadixRankAlgorithm2ELj256ELj1ELj10EEvPKT_Pi.num_named_barrier, 0
	.set _Z11rank_kernelIiLj4ELb0EL18RadixRankAlgorithm2ELj256ELj1ELj10EEvPKT_Pi.private_seg_size, 0
	.set _Z11rank_kernelIiLj4ELb0EL18RadixRankAlgorithm2ELj256ELj1ELj10EEvPKT_Pi.uses_vcc, 1
	.set _Z11rank_kernelIiLj4ELb0EL18RadixRankAlgorithm2ELj256ELj1ELj10EEvPKT_Pi.uses_flat_scratch, 0
	.set _Z11rank_kernelIiLj4ELb0EL18RadixRankAlgorithm2ELj256ELj1ELj10EEvPKT_Pi.has_dyn_sized_stack, 0
	.set _Z11rank_kernelIiLj4ELb0EL18RadixRankAlgorithm2ELj256ELj1ELj10EEvPKT_Pi.has_recursion, 0
	.set _Z11rank_kernelIiLj4ELb0EL18RadixRankAlgorithm2ELj256ELj1ELj10EEvPKT_Pi.has_indirect_call, 0
	.section	.AMDGPU.csdata,"",@progbits
; Kernel info:
; codeLenInByte = 956
; TotalNumSgprs: 38
; NumVgprs: 14
; ScratchSize: 0
; MemoryBound: 0
; FloatMode: 240
; IeeeMode: 1
; LDSByteSize: 1040 bytes/workgroup (compile time only)
; SGPRBlocks: 4
; VGPRBlocks: 3
; NumSGPRsForWavesPerEU: 38
; NumVGPRsForWavesPerEU: 14
; Occupancy: 10
; WaveLimiterHint : 0
; COMPUTE_PGM_RSRC2:SCRATCH_EN: 0
; COMPUTE_PGM_RSRC2:USER_SGPR: 6
; COMPUTE_PGM_RSRC2:TRAP_HANDLER: 0
; COMPUTE_PGM_RSRC2:TGID_X_EN: 1
; COMPUTE_PGM_RSRC2:TGID_Y_EN: 0
; COMPUTE_PGM_RSRC2:TGID_Z_EN: 0
; COMPUTE_PGM_RSRC2:TIDIG_COMP_CNT: 2
	.section	.text._Z11rank_kernelIiLj4ELb0EL18RadixRankAlgorithm0ELj256ELj4ELj10EEvPKT_Pi,"axG",@progbits,_Z11rank_kernelIiLj4ELb0EL18RadixRankAlgorithm0ELj256ELj4ELj10EEvPKT_Pi,comdat
	.protected	_Z11rank_kernelIiLj4ELb0EL18RadixRankAlgorithm0ELj256ELj4ELj10EEvPKT_Pi ; -- Begin function _Z11rank_kernelIiLj4ELb0EL18RadixRankAlgorithm0ELj256ELj4ELj10EEvPKT_Pi
	.globl	_Z11rank_kernelIiLj4ELb0EL18RadixRankAlgorithm0ELj256ELj4ELj10EEvPKT_Pi
	.p2align	8
	.type	_Z11rank_kernelIiLj4ELb0EL18RadixRankAlgorithm0ELj256ELj4ELj10EEvPKT_Pi,@function
_Z11rank_kernelIiLj4ELb0EL18RadixRankAlgorithm0ELj256ELj4ELj10EEvPKT_Pi: ; @_Z11rank_kernelIiLj4ELb0EL18RadixRankAlgorithm0ELj256ELj4ELj10EEvPKT_Pi
; %bb.0:
	s_load_dwordx4 s[24:27], s[4:5], 0x0
	s_lshl_b32 s30, s6, 10
	s_mov_b32 s31, 0
	s_lshl_b64 s[28:29], s[30:31], 2
	v_lshlrev_b32_e32 v1, 4, v0
	s_waitcnt lgkmcnt(0)
	s_add_u32 s0, s24, s28
	s_addc_u32 s1, s25, s29
	global_load_dwordx4 v[7:10], v1, s[0:1]
	v_mbcnt_lo_u32_b32 v4, -1, 0
	v_mbcnt_hi_u32_b32 v6, -1, v4
	v_subrev_co_u32_e64 v15, s[6:7], 1, v6
	v_and_b32_e32 v16, 64, v6
	v_or_b32_e32 v5, 63, v0
	v_lshrrev_b32_e32 v11, 4, v0
	v_cmp_lt_i32_e64 s[18:19], v15, v16
	v_lshlrev_b32_e32 v3, 5, v0
	v_mul_i32_i24_e32 v12, 0xffffffe4, v0
	v_and_b32_e32 v13, 15, v6
	v_and_b32_e32 v14, 16, v6
	v_cmp_lt_u32_e64 s[2:3], 31, v6
	v_cmp_eq_u32_e64 s[4:5], v0, v5
	v_and_b32_e32 v5, 12, v11
	v_and_b32_e32 v11, 3, v6
	v_cndmask_b32_e64 v6, v15, v6, s[18:19]
	v_mov_b32_e32 v1, 0
	s_movk_i32 s30, 0x6ff
	s_movk_i32 s33, 0x700
	v_lshlrev_b32_e32 v2, 2, v0
	v_cmp_gt_u32_e32 vcc, 4, v0
	v_cmp_lt_u32_e64 s[0:1], 63, v0
	v_or_b32_e32 v4, 0xffffff00, v0
	v_cmp_eq_u32_e64 s[8:9], 0, v13
	v_cmp_lt_u32_e64 s[10:11], 1, v13
	v_cmp_lt_u32_e64 s[12:13], 3, v13
	;; [unrolled: 1-line block ×3, first 2 shown]
	v_cmp_eq_u32_e64 s[16:17], 0, v14
	v_cmp_eq_u32_e64 s[18:19], 0, v11
	v_cmp_lt_u32_e64 s[20:21], 1, v11
	v_lshlrev_b32_e32 v6, 2, v6
	v_add_u32_e32 v11, v3, v12
	s_waitcnt vmcnt(0)
	v_xor_b32_e32 v7, 0x80000000, v7
	v_xor_b32_e32 v8, 0x80000000, v8
	;; [unrolled: 1-line block ×4, first 2 shown]
	s_branch .LBB18_2
.LBB18_1:                               ;   in Loop: Header=BB18_2 Depth=1
	s_add_i32 s31, s31, 1
	s_cmp_eq_u32 s31, 10
	s_cbranch_scc1 .LBB18_12
.LBB18_2:                               ; =>This Loop Header: Depth=1
                                        ;     Child Loop BB18_4 Depth 2
                                        ;       Child Loop BB18_5 Depth 3
	s_mov_b32 s34, 0
	s_branch .LBB18_4
.LBB18_3:                               ;   in Loop: Header=BB18_4 Depth=2
	s_or_b64 exec, exec, s[22:23]
	s_waitcnt lgkmcnt(0)
	v_add_u32_e32 v20, v21, v20
	ds_bpermute_b32 v20, v6, v20
	ds_read_b32 v26, v1 offset:8204
	ds_read2_b64 v[22:25], v3 offset1:1
	ds_read_b32 v28, v3 offset:24
	s_add_i32 s22, s34, 4
	s_cmp_lt_u32 s34, 28
	s_waitcnt lgkmcnt(3)
	v_cndmask_b32_e64 v20, v20, v21, s[6:7]
	s_waitcnt lgkmcnt(2)
	v_lshl_add_u32 v20, v26, 16, v20
	ds_read_b64 v[26:27], v3 offset:16
	s_waitcnt lgkmcnt(2)
	v_add_u32_e32 v21, v20, v22
	v_add_u32_e32 v22, v23, v21
	;; [unrolled: 1-line block ×3, first 2 shown]
	ds_write2_b64 v3, v[20:21], v[22:23] offset1:1
	v_add_u32_e32 v20, v25, v23
	s_waitcnt lgkmcnt(1)
	v_add_u32_e32 v21, v26, v20
	v_add_u32_e32 v22, v27, v21
	v_add_u32_e32 v23, v28, v22
	s_mov_b32 s34, s22
	ds_write2_b64 v3, v[20:21], v[22:23] offset0:2 offset1:3
	s_waitcnt lgkmcnt(0)
	s_barrier
	s_cbranch_scc0 .LBB18_1
.LBB18_4:                               ;   Parent Loop BB18_2 Depth=1
                                        ; =>  This Loop Header: Depth=2
                                        ;       Child Loop BB18_5 Depth 3
	s_mov_b64 s[24:25], 0
	v_mov_b32_e32 v12, v4
	v_mov_b32_e32 v13, v2
.LBB18_5:                               ;   Parent Loop BB18_2 Depth=1
                                        ;     Parent Loop BB18_4 Depth=2
                                        ; =>    This Inner Loop Header: Depth=3
	v_add_u32_e32 v12, 0x100, v12
	v_cmp_lt_u32_e64 s[22:23], s30, v12
	ds_write_b32 v13, v1
	s_or_b64 s[24:25], s[22:23], s[24:25]
	v_add_u32_e32 v13, 0x400, v13
	s_andn2_b64 exec, exec, s[24:25]
	s_cbranch_execnz .LBB18_5
; %bb.6:                                ;   in Loop: Header=BB18_4 Depth=2
	s_or_b64 exec, exec, s[24:25]
	s_sub_i32 s22, 28, s34
	v_lshlrev_b32_e32 v12, s22, v7
	v_lshrrev_b32_e32 v13, 20, v12
	v_and_or_b32 v13, v13, s33, v0
	v_alignbit_b32 v12, v13, v12, 31
	v_lshlrev_b32_e32 v13, 1, v12
	ds_read_u16 v12, v13
	v_lshlrev_b32_e32 v14, s22, v8
	v_lshrrev_b32_e32 v15, 20, v14
	v_and_or_b32 v15, v15, s33, v0
	v_alignbit_b32 v14, v15, v14, 31
	s_waitcnt lgkmcnt(0)
	v_add_u16_e32 v15, 1, v12
	ds_write_b16 v13, v15
	v_lshlrev_b32_e32 v15, 1, v14
	ds_read_u16 v14, v15
	v_lshlrev_b32_e32 v16, s22, v9
	v_lshrrev_b32_e32 v17, 20, v16
	v_and_or_b32 v17, v17, s33, v0
	v_alignbit_b32 v16, v17, v16, 31
	s_waitcnt lgkmcnt(0)
	v_add_u16_e32 v18, 1, v14
	ds_write_b16 v15, v18
	;; [unrolled: 9-line block ×3, first 2 shown]
	v_lshlrev_b32_e32 v19, 1, v18
	ds_read_u16 v18, v19
	s_waitcnt lgkmcnt(0)
	v_add_u16_e32 v20, 1, v18
	ds_write_b16 v19, v20
	s_waitcnt lgkmcnt(0)
	s_barrier
	ds_read2_b64 v[20:23], v3 offset1:1
	ds_read2_b64 v[24:27], v3 offset0:2 offset1:3
	s_waitcnt lgkmcnt(1)
	v_add_u32_e32 v20, v21, v20
	v_add3_u32 v20, v20, v22, v23
	s_waitcnt lgkmcnt(0)
	v_add3_u32 v20, v20, v24, v25
	v_add3_u32 v20, v20, v26, v27
	s_nop 1
	v_mov_b32_dpp v21, v20 row_shr:1 row_mask:0xf bank_mask:0xf
	v_cndmask_b32_e64 v21, v21, 0, s[8:9]
	v_add_u32_e32 v20, v21, v20
	s_nop 1
	v_mov_b32_dpp v21, v20 row_shr:2 row_mask:0xf bank_mask:0xf
	v_cndmask_b32_e64 v21, 0, v21, s[10:11]
	v_add_u32_e32 v20, v20, v21
	;; [unrolled: 4-line block ×4, first 2 shown]
	s_nop 1
	v_mov_b32_dpp v21, v20 row_bcast:15 row_mask:0xf bank_mask:0xf
	v_cndmask_b32_e64 v21, v21, 0, s[16:17]
	v_add_u32_e32 v20, v20, v21
	s_nop 1
	v_mov_b32_dpp v21, v20 row_bcast:31 row_mask:0xf bank_mask:0xf
	v_cndmask_b32_e64 v21, 0, v21, s[2:3]
	v_add_u32_e32 v20, v20, v21
	s_and_saveexec_b64 s[22:23], s[4:5]
; %bb.7:                                ;   in Loop: Header=BB18_4 Depth=2
	ds_write_b32 v5, v20 offset:8192
; %bb.8:                                ;   in Loop: Header=BB18_4 Depth=2
	s_or_b64 exec, exec, s[22:23]
	s_waitcnt lgkmcnt(0)
	s_barrier
	s_and_saveexec_b64 s[22:23], vcc
	s_cbranch_execz .LBB18_10
; %bb.9:                                ;   in Loop: Header=BB18_4 Depth=2
	ds_read_b32 v21, v11 offset:8192
	s_waitcnt lgkmcnt(0)
	s_nop 0
	v_mov_b32_dpp v22, v21 row_shr:1 row_mask:0xf bank_mask:0xf
	v_cndmask_b32_e64 v22, v22, 0, s[18:19]
	v_add_u32_e32 v21, v22, v21
	s_nop 1
	v_mov_b32_dpp v22, v21 row_shr:2 row_mask:0xf bank_mask:0xf
	v_cndmask_b32_e64 v22, 0, v22, s[20:21]
	v_add_u32_e32 v21, v21, v22
	ds_write_b32 v11, v21 offset:8192
.LBB18_10:                              ;   in Loop: Header=BB18_4 Depth=2
	s_or_b64 exec, exec, s[22:23]
	v_mov_b32_e32 v21, 0
	s_waitcnt lgkmcnt(0)
	s_barrier
	s_and_saveexec_b64 s[22:23], s[0:1]
	s_cbranch_execz .LBB18_3
; %bb.11:                               ;   in Loop: Header=BB18_4 Depth=2
	ds_read_b32 v21, v5 offset:8188
	s_branch .LBB18_3
.LBB18_12:
	ds_read_u16 v0, v13
	ds_read_u16 v1, v15
	;; [unrolled: 1-line block ×4, first 2 shown]
	s_add_u32 s0, s26, s28
	s_waitcnt lgkmcnt(3)
	v_add_u32_sdwa v3, v0, v12 dst_sel:DWORD dst_unused:UNUSED_PAD src0_sel:DWORD src1_sel:WORD_0
	s_waitcnt lgkmcnt(2)
	v_add_u32_sdwa v4, v1, v14 dst_sel:DWORD dst_unused:UNUSED_PAD src0_sel:DWORD src1_sel:WORD_0
	;; [unrolled: 2-line block ×4, first 2 shown]
	s_addc_u32 s1, s27, s29
	v_lshlrev_b32_e32 v0, 2, v2
	global_store_dwordx4 v0, v[3:6], s[0:1]
	s_endpgm
	.section	.rodata,"a",@progbits
	.p2align	6, 0x0
	.amdhsa_kernel _Z11rank_kernelIiLj4ELb0EL18RadixRankAlgorithm0ELj256ELj4ELj10EEvPKT_Pi
		.amdhsa_group_segment_fixed_size 8208
		.amdhsa_private_segment_fixed_size 0
		.amdhsa_kernarg_size 16
		.amdhsa_user_sgpr_count 6
		.amdhsa_user_sgpr_private_segment_buffer 1
		.amdhsa_user_sgpr_dispatch_ptr 0
		.amdhsa_user_sgpr_queue_ptr 0
		.amdhsa_user_sgpr_kernarg_segment_ptr 1
		.amdhsa_user_sgpr_dispatch_id 0
		.amdhsa_user_sgpr_flat_scratch_init 0
		.amdhsa_user_sgpr_private_segment_size 0
		.amdhsa_uses_dynamic_stack 0
		.amdhsa_system_sgpr_private_segment_wavefront_offset 0
		.amdhsa_system_sgpr_workgroup_id_x 1
		.amdhsa_system_sgpr_workgroup_id_y 0
		.amdhsa_system_sgpr_workgroup_id_z 0
		.amdhsa_system_sgpr_workgroup_info 0
		.amdhsa_system_vgpr_workitem_id 0
		.amdhsa_next_free_vgpr 33
		.amdhsa_next_free_sgpr 77
		.amdhsa_reserve_vcc 1
		.amdhsa_reserve_flat_scratch 0
		.amdhsa_float_round_mode_32 0
		.amdhsa_float_round_mode_16_64 0
		.amdhsa_float_denorm_mode_32 3
		.amdhsa_float_denorm_mode_16_64 3
		.amdhsa_dx10_clamp 1
		.amdhsa_ieee_mode 1
		.amdhsa_fp16_overflow 0
		.amdhsa_exception_fp_ieee_invalid_op 0
		.amdhsa_exception_fp_denorm_src 0
		.amdhsa_exception_fp_ieee_div_zero 0
		.amdhsa_exception_fp_ieee_overflow 0
		.amdhsa_exception_fp_ieee_underflow 0
		.amdhsa_exception_fp_ieee_inexact 0
		.amdhsa_exception_int_div_zero 0
	.end_amdhsa_kernel
	.section	.text._Z11rank_kernelIiLj4ELb0EL18RadixRankAlgorithm0ELj256ELj4ELj10EEvPKT_Pi,"axG",@progbits,_Z11rank_kernelIiLj4ELb0EL18RadixRankAlgorithm0ELj256ELj4ELj10EEvPKT_Pi,comdat
.Lfunc_end18:
	.size	_Z11rank_kernelIiLj4ELb0EL18RadixRankAlgorithm0ELj256ELj4ELj10EEvPKT_Pi, .Lfunc_end18-_Z11rank_kernelIiLj4ELb0EL18RadixRankAlgorithm0ELj256ELj4ELj10EEvPKT_Pi
                                        ; -- End function
	.set _Z11rank_kernelIiLj4ELb0EL18RadixRankAlgorithm0ELj256ELj4ELj10EEvPKT_Pi.num_vgpr, 29
	.set _Z11rank_kernelIiLj4ELb0EL18RadixRankAlgorithm0ELj256ELj4ELj10EEvPKT_Pi.num_agpr, 0
	.set _Z11rank_kernelIiLj4ELb0EL18RadixRankAlgorithm0ELj256ELj4ELj10EEvPKT_Pi.numbered_sgpr, 35
	.set _Z11rank_kernelIiLj4ELb0EL18RadixRankAlgorithm0ELj256ELj4ELj10EEvPKT_Pi.num_named_barrier, 0
	.set _Z11rank_kernelIiLj4ELb0EL18RadixRankAlgorithm0ELj256ELj4ELj10EEvPKT_Pi.private_seg_size, 0
	.set _Z11rank_kernelIiLj4ELb0EL18RadixRankAlgorithm0ELj256ELj4ELj10EEvPKT_Pi.uses_vcc, 1
	.set _Z11rank_kernelIiLj4ELb0EL18RadixRankAlgorithm0ELj256ELj4ELj10EEvPKT_Pi.uses_flat_scratch, 0
	.set _Z11rank_kernelIiLj4ELb0EL18RadixRankAlgorithm0ELj256ELj4ELj10EEvPKT_Pi.has_dyn_sized_stack, 0
	.set _Z11rank_kernelIiLj4ELb0EL18RadixRankAlgorithm0ELj256ELj4ELj10EEvPKT_Pi.has_recursion, 0
	.set _Z11rank_kernelIiLj4ELb0EL18RadixRankAlgorithm0ELj256ELj4ELj10EEvPKT_Pi.has_indirect_call, 0
	.section	.AMDGPU.csdata,"",@progbits
; Kernel info:
; codeLenInByte = 1168
; TotalNumSgprs: 39
; NumVgprs: 29
; ScratchSize: 0
; MemoryBound: 0
; FloatMode: 240
; IeeeMode: 1
; LDSByteSize: 8208 bytes/workgroup (compile time only)
; SGPRBlocks: 10
; VGPRBlocks: 8
; NumSGPRsForWavesPerEU: 81
; NumVGPRsForWavesPerEU: 33
; Occupancy: 7
; WaveLimiterHint : 0
; COMPUTE_PGM_RSRC2:SCRATCH_EN: 0
; COMPUTE_PGM_RSRC2:USER_SGPR: 6
; COMPUTE_PGM_RSRC2:TRAP_HANDLER: 0
; COMPUTE_PGM_RSRC2:TGID_X_EN: 1
; COMPUTE_PGM_RSRC2:TGID_Y_EN: 0
; COMPUTE_PGM_RSRC2:TGID_Z_EN: 0
; COMPUTE_PGM_RSRC2:TIDIG_COMP_CNT: 0
	.section	.text._Z11rank_kernelIiLj4ELb0EL18RadixRankAlgorithm1ELj256ELj4ELj10EEvPKT_Pi,"axG",@progbits,_Z11rank_kernelIiLj4ELb0EL18RadixRankAlgorithm1ELj256ELj4ELj10EEvPKT_Pi,comdat
	.protected	_Z11rank_kernelIiLj4ELb0EL18RadixRankAlgorithm1ELj256ELj4ELj10EEvPKT_Pi ; -- Begin function _Z11rank_kernelIiLj4ELb0EL18RadixRankAlgorithm1ELj256ELj4ELj10EEvPKT_Pi
	.globl	_Z11rank_kernelIiLj4ELb0EL18RadixRankAlgorithm1ELj256ELj4ELj10EEvPKT_Pi
	.p2align	8
	.type	_Z11rank_kernelIiLj4ELb0EL18RadixRankAlgorithm1ELj256ELj4ELj10EEvPKT_Pi,@function
_Z11rank_kernelIiLj4ELb0EL18RadixRankAlgorithm1ELj256ELj4ELj10EEvPKT_Pi: ; @_Z11rank_kernelIiLj4ELb0EL18RadixRankAlgorithm1ELj256ELj4ELj10EEvPKT_Pi
; %bb.0:
	s_load_dwordx4 s[24:27], s[4:5], 0x0
	s_lshl_b32 s30, s6, 10
	s_mov_b32 s31, 0
	s_lshl_b64 s[28:29], s[30:31], 2
	v_lshlrev_b32_e32 v1, 4, v0
	s_waitcnt lgkmcnt(0)
	s_add_u32 s0, s24, s28
	s_addc_u32 s1, s25, s29
	global_load_dwordx4 v[1:4], v1, s[0:1]
	v_mbcnt_lo_u32_b32 v5, -1, 0
	v_mbcnt_hi_u32_b32 v5, -1, v5
	v_or_b32_e32 v6, 63, v0
	v_cmp_eq_u32_e64 s[4:5], v0, v6
	v_subrev_co_u32_e64 v6, s[6:7], 1, v5
	v_and_b32_e32 v16, 64, v5
	v_lshrrev_b32_e32 v7, 4, v0
	v_cmp_lt_i32_e64 s[18:19], v6, v16
	v_lshlrev_b32_e32 v11, 5, v0
	v_mul_i32_i24_e32 v8, 0xffffffe4, v0
	v_and_b32_e32 v14, 15, v5
	v_and_b32_e32 v15, 16, v5
	v_cmp_lt_u32_e64 s[2:3], 31, v5
	v_and_b32_e32 v13, 12, v7
	v_and_b32_e32 v7, 3, v5
	v_cndmask_b32_e64 v5, v6, v5, s[18:19]
	v_mov_b32_e32 v9, 0
	s_movk_i32 s30, 0x6ff
	s_movk_i32 s33, 0x700
	v_lshlrev_b32_e32 v10, 2, v0
	v_cmp_gt_u32_e32 vcc, 4, v0
	v_cmp_lt_u32_e64 s[0:1], 63, v0
	v_or_b32_e32 v12, 0xffffff00, v0
	v_cmp_eq_u32_e64 s[8:9], 0, v14
	v_cmp_lt_u32_e64 s[10:11], 1, v14
	v_cmp_lt_u32_e64 s[12:13], 3, v14
	;; [unrolled: 1-line block ×3, first 2 shown]
	v_cmp_eq_u32_e64 s[16:17], 0, v15
	v_cmp_eq_u32_e64 s[18:19], 0, v7
	v_cmp_lt_u32_e64 s[20:21], 1, v7
	v_lshlrev_b32_e32 v14, 2, v5
	v_add_u32_e32 v19, v11, v8
	s_waitcnt vmcnt(0)
	v_xor_b32_e32 v15, 0x80000000, v1
	v_xor_b32_e32 v16, 0x80000000, v2
	;; [unrolled: 1-line block ×4, first 2 shown]
	s_branch .LBB19_2
.LBB19_1:                               ;   in Loop: Header=BB19_2 Depth=1
	s_add_i32 s31, s31, 1
	s_cmp_eq_u32 s31, 10
	s_cbranch_scc1 .LBB19_12
.LBB19_2:                               ; =>This Loop Header: Depth=1
                                        ;     Child Loop BB19_4 Depth 2
                                        ;       Child Loop BB19_5 Depth 3
	s_mov_b32 s34, 0
	s_branch .LBB19_4
.LBB19_3:                               ;   in Loop: Header=BB19_4 Depth=2
	s_or_b64 exec, exec, s[22:23]
	s_waitcnt lgkmcnt(0)
	v_add_u32_e32 v4, v28, v4
	ds_bpermute_b32 v4, v14, v4
	ds_read_b32 v29, v9 offset:8204
	s_add_i32 s22, s34, 4
	s_cmp_lt_u32 s34, 28
	s_mov_b32 s34, s22
	s_waitcnt lgkmcnt(1)
	v_cndmask_b32_e64 v4, v4, v28, s[6:7]
	s_waitcnt lgkmcnt(0)
	v_lshl_add_u32 v4, v29, 16, v4
	v_add_u32_e32 v5, v4, v5
	v_add_u32_e32 v6, v5, v6
	;; [unrolled: 1-line block ×7, first 2 shown]
	ds_write2_b64 v11, v[4:5], v[6:7] offset1:1
	ds_write2_b64 v11, v[28:29], v[1:2] offset0:2 offset1:3
	s_waitcnt lgkmcnt(0)
	s_barrier
	s_cbranch_scc0 .LBB19_1
.LBB19_4:                               ;   Parent Loop BB19_2 Depth=1
                                        ; =>  This Loop Header: Depth=2
                                        ;       Child Loop BB19_5 Depth 3
	s_mov_b64 s[24:25], 0
	v_mov_b32_e32 v1, v12
	v_mov_b32_e32 v2, v10
.LBB19_5:                               ;   Parent Loop BB19_2 Depth=1
                                        ;     Parent Loop BB19_4 Depth=2
                                        ; =>    This Inner Loop Header: Depth=3
	v_add_u32_e32 v1, 0x100, v1
	v_cmp_lt_u32_e64 s[22:23], s30, v1
	ds_write_b32 v2, v9
	s_or_b64 s[24:25], s[22:23], s[24:25]
	v_add_u32_e32 v2, 0x400, v2
	s_andn2_b64 exec, exec, s[24:25]
	s_cbranch_execnz .LBB19_5
; %bb.6:                                ;   in Loop: Header=BB19_4 Depth=2
	s_or_b64 exec, exec, s[24:25]
	s_sub_i32 s22, 28, s34
	v_lshlrev_b32_e32 v1, s22, v15
	v_lshrrev_b32_e32 v2, 20, v1
	v_and_or_b32 v2, v2, s33, v0
	v_alignbit_b32 v1, v2, v1, 31
	v_lshlrev_b32_e32 v21, 1, v1
	ds_read_u16 v20, v21
	v_lshlrev_b32_e32 v1, s22, v16
	v_lshrrev_b32_e32 v2, 20, v1
	v_and_or_b32 v2, v2, s33, v0
	v_alignbit_b32 v1, v2, v1, 31
	s_waitcnt lgkmcnt(0)
	v_add_u16_e32 v2, 1, v20
	ds_write_b16 v21, v2
	v_lshlrev_b32_e32 v23, 1, v1
	ds_read_u16 v22, v23
	v_lshlrev_b32_e32 v1, s22, v17
	v_lshrrev_b32_e32 v2, 20, v1
	v_and_or_b32 v2, v2, s33, v0
	v_alignbit_b32 v1, v2, v1, 31
	s_waitcnt lgkmcnt(0)
	v_add_u16_e32 v3, 1, v22
	ds_write_b16 v23, v3
	;; [unrolled: 9-line block ×3, first 2 shown]
	v_lshlrev_b32_e32 v27, 1, v1
	ds_read_u16 v26, v27
	s_waitcnt lgkmcnt(0)
	v_add_u16_e32 v1, 1, v26
	ds_write_b16 v27, v1
	s_waitcnt lgkmcnt(0)
	s_barrier
	ds_read2_b64 v[5:8], v11 offset1:1
	ds_read2_b64 v[1:4], v11 offset0:2 offset1:3
	s_waitcnt lgkmcnt(1)
	v_add_u32_e32 v28, v6, v5
	v_add3_u32 v28, v28, v7, v8
	s_waitcnt lgkmcnt(0)
	v_add3_u32 v28, v28, v1, v2
	v_add3_u32 v4, v28, v3, v4
	s_nop 1
	v_mov_b32_dpp v28, v4 row_shr:1 row_mask:0xf bank_mask:0xf
	v_cndmask_b32_e64 v28, v28, 0, s[8:9]
	v_add_u32_e32 v4, v28, v4
	s_nop 1
	v_mov_b32_dpp v28, v4 row_shr:2 row_mask:0xf bank_mask:0xf
	v_cndmask_b32_e64 v28, 0, v28, s[10:11]
	v_add_u32_e32 v4, v4, v28
	;; [unrolled: 4-line block ×4, first 2 shown]
	s_nop 1
	v_mov_b32_dpp v28, v4 row_bcast:15 row_mask:0xf bank_mask:0xf
	v_cndmask_b32_e64 v28, v28, 0, s[16:17]
	v_add_u32_e32 v4, v4, v28
	s_nop 1
	v_mov_b32_dpp v28, v4 row_bcast:31 row_mask:0xf bank_mask:0xf
	v_cndmask_b32_e64 v28, 0, v28, s[2:3]
	v_add_u32_e32 v4, v4, v28
	s_and_saveexec_b64 s[22:23], s[4:5]
; %bb.7:                                ;   in Loop: Header=BB19_4 Depth=2
	ds_write_b32 v13, v4 offset:8192
; %bb.8:                                ;   in Loop: Header=BB19_4 Depth=2
	s_or_b64 exec, exec, s[22:23]
	s_waitcnt lgkmcnt(0)
	s_barrier
	s_and_saveexec_b64 s[22:23], vcc
	s_cbranch_execz .LBB19_10
; %bb.9:                                ;   in Loop: Header=BB19_4 Depth=2
	ds_read_b32 v28, v19 offset:8192
	s_waitcnt lgkmcnt(0)
	s_nop 0
	v_mov_b32_dpp v29, v28 row_shr:1 row_mask:0xf bank_mask:0xf
	v_cndmask_b32_e64 v29, v29, 0, s[18:19]
	v_add_u32_e32 v28, v29, v28
	s_nop 1
	v_mov_b32_dpp v29, v28 row_shr:2 row_mask:0xf bank_mask:0xf
	v_cndmask_b32_e64 v29, 0, v29, s[20:21]
	v_add_u32_e32 v28, v28, v29
	ds_write_b32 v19, v28 offset:8192
.LBB19_10:                              ;   in Loop: Header=BB19_4 Depth=2
	s_or_b64 exec, exec, s[22:23]
	v_mov_b32_e32 v28, 0
	s_waitcnt lgkmcnt(0)
	s_barrier
	s_and_saveexec_b64 s[22:23], s[0:1]
	s_cbranch_execz .LBB19_3
; %bb.11:                               ;   in Loop: Header=BB19_4 Depth=2
	ds_read_b32 v28, v13 offset:8188
	s_branch .LBB19_3
.LBB19_12:
	ds_read_u16 v0, v21
	ds_read_u16 v1, v23
	;; [unrolled: 1-line block ×4, first 2 shown]
	s_add_u32 s0, s26, s28
	s_waitcnt lgkmcnt(3)
	v_add_u32_sdwa v0, v0, v20 dst_sel:DWORD dst_unused:UNUSED_PAD src0_sel:DWORD src1_sel:WORD_0
	s_waitcnt lgkmcnt(2)
	v_add_u32_sdwa v1, v1, v22 dst_sel:DWORD dst_unused:UNUSED_PAD src0_sel:DWORD src1_sel:WORD_0
	s_waitcnt lgkmcnt(1)
	v_add_u32_sdwa v2, v2, v24 dst_sel:DWORD dst_unused:UNUSED_PAD src0_sel:DWORD src1_sel:WORD_0
	s_waitcnt lgkmcnt(0)
	v_add_u32_sdwa v3, v3, v26 dst_sel:DWORD dst_unused:UNUSED_PAD src0_sel:DWORD src1_sel:WORD_0
	s_addc_u32 s1, s27, s29
	v_lshlrev_b32_e32 v4, 2, v10
	global_store_dwordx4 v4, v[0:3], s[0:1]
	s_endpgm
	.section	.rodata,"a",@progbits
	.p2align	6, 0x0
	.amdhsa_kernel _Z11rank_kernelIiLj4ELb0EL18RadixRankAlgorithm1ELj256ELj4ELj10EEvPKT_Pi
		.amdhsa_group_segment_fixed_size 8208
		.amdhsa_private_segment_fixed_size 0
		.amdhsa_kernarg_size 16
		.amdhsa_user_sgpr_count 6
		.amdhsa_user_sgpr_private_segment_buffer 1
		.amdhsa_user_sgpr_dispatch_ptr 0
		.amdhsa_user_sgpr_queue_ptr 0
		.amdhsa_user_sgpr_kernarg_segment_ptr 1
		.amdhsa_user_sgpr_dispatch_id 0
		.amdhsa_user_sgpr_flat_scratch_init 0
		.amdhsa_user_sgpr_private_segment_size 0
		.amdhsa_uses_dynamic_stack 0
		.amdhsa_system_sgpr_private_segment_wavefront_offset 0
		.amdhsa_system_sgpr_workgroup_id_x 1
		.amdhsa_system_sgpr_workgroup_id_y 0
		.amdhsa_system_sgpr_workgroup_id_z 0
		.amdhsa_system_sgpr_workgroup_info 0
		.amdhsa_system_vgpr_workitem_id 0
		.amdhsa_next_free_vgpr 33
		.amdhsa_next_free_sgpr 77
		.amdhsa_reserve_vcc 1
		.amdhsa_reserve_flat_scratch 0
		.amdhsa_float_round_mode_32 0
		.amdhsa_float_round_mode_16_64 0
		.amdhsa_float_denorm_mode_32 3
		.amdhsa_float_denorm_mode_16_64 3
		.amdhsa_dx10_clamp 1
		.amdhsa_ieee_mode 1
		.amdhsa_fp16_overflow 0
		.amdhsa_exception_fp_ieee_invalid_op 0
		.amdhsa_exception_fp_denorm_src 0
		.amdhsa_exception_fp_ieee_div_zero 0
		.amdhsa_exception_fp_ieee_overflow 0
		.amdhsa_exception_fp_ieee_underflow 0
		.amdhsa_exception_fp_ieee_inexact 0
		.amdhsa_exception_int_div_zero 0
	.end_amdhsa_kernel
	.section	.text._Z11rank_kernelIiLj4ELb0EL18RadixRankAlgorithm1ELj256ELj4ELj10EEvPKT_Pi,"axG",@progbits,_Z11rank_kernelIiLj4ELb0EL18RadixRankAlgorithm1ELj256ELj4ELj10EEvPKT_Pi,comdat
.Lfunc_end19:
	.size	_Z11rank_kernelIiLj4ELb0EL18RadixRankAlgorithm1ELj256ELj4ELj10EEvPKT_Pi, .Lfunc_end19-_Z11rank_kernelIiLj4ELb0EL18RadixRankAlgorithm1ELj256ELj4ELj10EEvPKT_Pi
                                        ; -- End function
	.set _Z11rank_kernelIiLj4ELb0EL18RadixRankAlgorithm1ELj256ELj4ELj10EEvPKT_Pi.num_vgpr, 30
	.set _Z11rank_kernelIiLj4ELb0EL18RadixRankAlgorithm1ELj256ELj4ELj10EEvPKT_Pi.num_agpr, 0
	.set _Z11rank_kernelIiLj4ELb0EL18RadixRankAlgorithm1ELj256ELj4ELj10EEvPKT_Pi.numbered_sgpr, 35
	.set _Z11rank_kernelIiLj4ELb0EL18RadixRankAlgorithm1ELj256ELj4ELj10EEvPKT_Pi.num_named_barrier, 0
	.set _Z11rank_kernelIiLj4ELb0EL18RadixRankAlgorithm1ELj256ELj4ELj10EEvPKT_Pi.private_seg_size, 0
	.set _Z11rank_kernelIiLj4ELb0EL18RadixRankAlgorithm1ELj256ELj4ELj10EEvPKT_Pi.uses_vcc, 1
	.set _Z11rank_kernelIiLj4ELb0EL18RadixRankAlgorithm1ELj256ELj4ELj10EEvPKT_Pi.uses_flat_scratch, 0
	.set _Z11rank_kernelIiLj4ELb0EL18RadixRankAlgorithm1ELj256ELj4ELj10EEvPKT_Pi.has_dyn_sized_stack, 0
	.set _Z11rank_kernelIiLj4ELb0EL18RadixRankAlgorithm1ELj256ELj4ELj10EEvPKT_Pi.has_recursion, 0
	.set _Z11rank_kernelIiLj4ELb0EL18RadixRankAlgorithm1ELj256ELj4ELj10EEvPKT_Pi.has_indirect_call, 0
	.section	.AMDGPU.csdata,"",@progbits
; Kernel info:
; codeLenInByte = 1136
; TotalNumSgprs: 39
; NumVgprs: 30
; ScratchSize: 0
; MemoryBound: 0
; FloatMode: 240
; IeeeMode: 1
; LDSByteSize: 8208 bytes/workgroup (compile time only)
; SGPRBlocks: 10
; VGPRBlocks: 8
; NumSGPRsForWavesPerEU: 81
; NumVGPRsForWavesPerEU: 33
; Occupancy: 7
; WaveLimiterHint : 0
; COMPUTE_PGM_RSRC2:SCRATCH_EN: 0
; COMPUTE_PGM_RSRC2:USER_SGPR: 6
; COMPUTE_PGM_RSRC2:TRAP_HANDLER: 0
; COMPUTE_PGM_RSRC2:TGID_X_EN: 1
; COMPUTE_PGM_RSRC2:TGID_Y_EN: 0
; COMPUTE_PGM_RSRC2:TGID_Z_EN: 0
; COMPUTE_PGM_RSRC2:TIDIG_COMP_CNT: 0
	.section	.text._Z11rank_kernelIiLj4ELb0EL18RadixRankAlgorithm2ELj256ELj4ELj10EEvPKT_Pi,"axG",@progbits,_Z11rank_kernelIiLj4ELb0EL18RadixRankAlgorithm2ELj256ELj4ELj10EEvPKT_Pi,comdat
	.protected	_Z11rank_kernelIiLj4ELb0EL18RadixRankAlgorithm2ELj256ELj4ELj10EEvPKT_Pi ; -- Begin function _Z11rank_kernelIiLj4ELb0EL18RadixRankAlgorithm2ELj256ELj4ELj10EEvPKT_Pi
	.globl	_Z11rank_kernelIiLj4ELb0EL18RadixRankAlgorithm2ELj256ELj4ELj10EEvPKT_Pi
	.p2align	8
	.type	_Z11rank_kernelIiLj4ELb0EL18RadixRankAlgorithm2ELj256ELj4ELj10EEvPKT_Pi,@function
_Z11rank_kernelIiLj4ELb0EL18RadixRankAlgorithm2ELj256ELj4ELj10EEvPKT_Pi: ; @_Z11rank_kernelIiLj4ELb0EL18RadixRankAlgorithm2ELj256ELj4ELj10EEvPKT_Pi
; %bb.0:
	s_load_dwordx4 s[24:27], s[4:5], 0x0
	s_load_dword s20, s[4:5], 0x1c
	s_lshl_b32 s30, s6, 10
	s_mov_b32 s31, 0
	s_lshl_b64 s[28:29], s[30:31], 2
	s_waitcnt lgkmcnt(0)
	s_add_u32 s0, s24, s28
	s_addc_u32 s1, s25, s29
	v_lshlrev_b32_e32 v3, 4, v0
	global_load_dwordx4 v[9:12], v3, s[0:1]
	s_lshr_b32 s21, s20, 16
	v_or_b32_e32 v6, 63, v0
	s_and_b32 s20, s20, 0xffff
	v_mad_u32_u24 v1, v2, s21, v1
	v_mbcnt_lo_u32_b32 v4, -1, 0
	v_lshlrev_b32_e32 v5, 2, v0
	v_cmp_gt_u32_e32 vcc, 4, v0
	v_cmp_lt_u32_e64 s[0:1], 63, v0
	v_lshrrev_b32_e32 v7, 4, v0
	v_cmp_eq_u32_e64 s[4:5], v0, v6
	v_mad_u64_u32 v[0:1], s[20:21], v1, s20, v[0:1]
	v_mbcnt_hi_u32_b32 v4, -1, v4
	v_subrev_co_u32_e64 v14, s[6:7], 1, v4
	v_and_b32_e32 v15, 64, v4
	v_cmp_lt_i32_e64 s[18:19], v14, v15
	v_and_b32_e32 v8, 15, v4
	v_and_b32_e32 v13, 16, v4
	v_cmp_lt_u32_e64 s[2:3], 31, v4
	v_and_b32_e32 v6, 12, v7
	v_and_b32_e32 v7, 3, v4
	v_cndmask_b32_e64 v4, v14, v4, s[18:19]
	v_lshrrev_b32_e32 v0, 4, v0
	v_mov_b32_e32 v3, 0
	v_cmp_eq_u32_e64 s[8:9], 0, v8
	v_cmp_lt_u32_e64 s[10:11], 1, v8
	v_cmp_lt_u32_e64 s[12:13], 3, v8
	;; [unrolled: 1-line block ×3, first 2 shown]
	v_cmp_eq_u32_e64 s[16:17], 0, v13
	v_cmp_eq_u32_e64 s[18:19], 0, v7
	v_cmp_lt_u32_e64 s[20:21], 1, v7
	v_add_u32_e32 v7, -4, v6
	v_lshlrev_b32_e32 v8, 2, v4
	v_and_b32_e32 v2, 0xffffffc, v0
	s_waitcnt vmcnt(0)
	v_xor_b32_e32 v9, 0x80000000, v9
	v_xor_b32_e32 v10, 0x80000000, v10
	v_xor_b32_e32 v11, 0x80000000, v11
	v_xor_b32_e32 v12, 0x80000000, v12
	s_branch .LBB20_2
.LBB20_1:                               ;   in Loop: Header=BB20_2 Depth=1
	s_add_i32 s31, s31, 1
	s_cmp_eq_u32 s31, 10
	s_cbranch_scc1 .LBB20_18
.LBB20_2:                               ; =>This Loop Header: Depth=1
                                        ;     Child Loop BB20_4 Depth 2
	s_mov_b32 s30, -4
	s_mov_b32 s33, 28
	s_branch .LBB20_4
.LBB20_3:                               ;   in Loop: Header=BB20_4 Depth=2
	s_or_b64 exec, exec, s[22:23]
	s_waitcnt lgkmcnt(0)
	v_add_u32_e32 v0, v1, v0
	ds_bpermute_b32 v0, v8, v0
	s_add_i32 s33, s33, -4
	s_add_i32 s30, s30, 4
	s_cmp_lt_u32 s30, 28
	s_waitcnt lgkmcnt(0)
	v_cndmask_b32_e64 v0, v0, v1, s[6:7]
	ds_write_b32 v5, v0 offset:16
	s_waitcnt lgkmcnt(0)
	s_barrier
	s_cbranch_scc0 .LBB20_1
.LBB20_4:                               ;   Parent Loop BB20_2 Depth=1
                                        ; =>  This Inner Loop Header: Depth=2
	v_lshlrev_b32_e32 v0, s33, v9
	v_lshrrev_b32_e32 v0, 28, v0
	v_and_b32_e32 v1, 1, v0
	v_add_co_u32_e64 v4, s[22:23], -1, v1
	v_addc_co_u32_e64 v14, s[22:23], 0, -1, s[22:23]
	v_cmp_ne_u32_e64 s[22:23], 0, v1
	v_xor_b32_e32 v4, s22, v4
	v_xor_b32_e32 v1, s23, v14
	v_and_b32_e32 v14, exec_lo, v4
	v_lshlrev_b32_e32 v4, 30, v0
	v_cmp_gt_i64_e64 s[22:23], 0, v[3:4]
	v_not_b32_e32 v4, v4
	v_ashrrev_i32_e32 v4, 31, v4
	v_xor_b32_e32 v15, s23, v4
	v_xor_b32_e32 v4, s22, v4
	v_and_b32_e32 v14, v14, v4
	v_lshlrev_b32_e32 v4, 29, v0
	v_cmp_gt_i64_e64 s[22:23], 0, v[3:4]
	v_not_b32_e32 v4, v4
	v_and_b32_e32 v1, exec_hi, v1
	v_ashrrev_i32_e32 v4, 31, v4
	v_and_b32_e32 v1, v1, v15
	v_xor_b32_e32 v15, s23, v4
	v_xor_b32_e32 v4, s22, v4
	v_and_b32_e32 v14, v14, v4
	v_lshlrev_b32_e32 v4, 28, v0
	v_mul_u32_u24_e32 v13, 20, v0
	v_cmp_gt_i64_e64 s[22:23], 0, v[3:4]
	v_not_b32_e32 v0, v4
	v_ashrrev_i32_e32 v0, 31, v0
	v_xor_b32_e32 v4, s23, v0
	v_xor_b32_e32 v0, s22, v0
	v_and_b32_e32 v1, v1, v15
	v_and_b32_e32 v0, v14, v0
	v_and_b32_e32 v1, v1, v4
	v_mbcnt_lo_u32_b32 v4, v0, 0
	v_mbcnt_hi_u32_b32 v14, v1, v4
	v_cmp_ne_u64_e64 s[22:23], 0, v[0:1]
	v_cmp_eq_u32_e64 s[24:25], 0, v14
	s_and_b64 s[24:25], s[22:23], s[24:25]
	ds_write_b32 v5, v3 offset:16
	s_waitcnt lgkmcnt(0)
	s_barrier
	; wave barrier
	s_and_saveexec_b64 s[22:23], s[24:25]
; %bb.5:                                ;   in Loop: Header=BB20_4 Depth=2
	v_bcnt_u32_b32 v0, v0, 0
	v_bcnt_u32_b32 v0, v1, v0
	v_add_u32_e32 v1, v2, v13
	ds_write_b32 v1, v0 offset:16
; %bb.6:                                ;   in Loop: Header=BB20_4 Depth=2
	s_or_b64 exec, exec, s[22:23]
	v_lshlrev_b32_e32 v0, s33, v10
	v_lshrrev_b32_e32 v0, 28, v0
	v_mad_u32_u24 v1, v0, 20, v2
	; wave barrier
	ds_read_b32 v15, v1 offset:16
	v_and_b32_e32 v1, 1, v0
	v_add_co_u32_e64 v4, s[22:23], -1, v1
	v_addc_co_u32_e64 v17, s[22:23], 0, -1, s[22:23]
	v_cmp_ne_u32_e64 s[22:23], 0, v1
	v_xor_b32_e32 v4, s22, v4
	v_xor_b32_e32 v1, s23, v17
	v_and_b32_e32 v17, exec_lo, v4
	v_lshlrev_b32_e32 v4, 30, v0
	v_cmp_gt_i64_e64 s[22:23], 0, v[3:4]
	v_not_b32_e32 v4, v4
	v_ashrrev_i32_e32 v4, 31, v4
	v_xor_b32_e32 v18, s23, v4
	v_xor_b32_e32 v4, s22, v4
	v_and_b32_e32 v17, v17, v4
	v_lshlrev_b32_e32 v4, 29, v0
	v_cmp_gt_i64_e64 s[22:23], 0, v[3:4]
	v_not_b32_e32 v4, v4
	v_and_b32_e32 v1, exec_hi, v1
	v_ashrrev_i32_e32 v4, 31, v4
	v_and_b32_e32 v1, v1, v18
	v_xor_b32_e32 v18, s23, v4
	v_xor_b32_e32 v4, s22, v4
	v_and_b32_e32 v17, v17, v4
	v_lshlrev_b32_e32 v4, 28, v0
	v_mul_u32_u24_e32 v16, 20, v0
	v_cmp_gt_i64_e64 s[22:23], 0, v[3:4]
	v_not_b32_e32 v0, v4
	v_ashrrev_i32_e32 v0, 31, v0
	v_xor_b32_e32 v4, s23, v0
	v_xor_b32_e32 v0, s22, v0
	v_and_b32_e32 v1, v1, v18
	v_and_b32_e32 v0, v17, v0
	;; [unrolled: 1-line block ×3, first 2 shown]
	v_mbcnt_lo_u32_b32 v4, v0, 0
	v_mbcnt_hi_u32_b32 v17, v1, v4
	v_cmp_ne_u64_e64 s[22:23], 0, v[0:1]
	v_cmp_eq_u32_e64 s[24:25], 0, v17
	s_and_b64 s[24:25], s[22:23], s[24:25]
	; wave barrier
	s_and_saveexec_b64 s[22:23], s[24:25]
	s_cbranch_execz .LBB20_8
; %bb.7:                                ;   in Loop: Header=BB20_4 Depth=2
	v_bcnt_u32_b32 v0, v0, 0
	v_bcnt_u32_b32 v0, v1, v0
	s_waitcnt lgkmcnt(0)
	v_add_u32_e32 v0, v15, v0
	v_add_u32_e32 v1, v2, v16
	ds_write_b32 v1, v0 offset:16
.LBB20_8:                               ;   in Loop: Header=BB20_4 Depth=2
	s_or_b64 exec, exec, s[22:23]
	v_lshlrev_b32_e32 v0, s33, v11
	v_lshrrev_b32_e32 v0, 28, v0
	v_mad_u32_u24 v1, v0, 20, v2
	; wave barrier
	ds_read_b32 v18, v1 offset:16
	v_and_b32_e32 v1, 1, v0
	v_add_co_u32_e64 v4, s[22:23], -1, v1
	v_addc_co_u32_e64 v20, s[22:23], 0, -1, s[22:23]
	v_cmp_ne_u32_e64 s[22:23], 0, v1
	v_xor_b32_e32 v4, s22, v4
	v_xor_b32_e32 v1, s23, v20
	v_and_b32_e32 v20, exec_lo, v4
	v_lshlrev_b32_e32 v4, 30, v0
	v_cmp_gt_i64_e64 s[22:23], 0, v[3:4]
	v_not_b32_e32 v4, v4
	v_ashrrev_i32_e32 v4, 31, v4
	v_xor_b32_e32 v21, s23, v4
	v_xor_b32_e32 v4, s22, v4
	v_and_b32_e32 v20, v20, v4
	v_lshlrev_b32_e32 v4, 29, v0
	v_cmp_gt_i64_e64 s[22:23], 0, v[3:4]
	v_not_b32_e32 v4, v4
	v_and_b32_e32 v1, exec_hi, v1
	v_ashrrev_i32_e32 v4, 31, v4
	v_and_b32_e32 v1, v1, v21
	v_xor_b32_e32 v21, s23, v4
	v_xor_b32_e32 v4, s22, v4
	v_and_b32_e32 v20, v20, v4
	v_lshlrev_b32_e32 v4, 28, v0
	v_mul_u32_u24_e32 v19, 20, v0
	v_cmp_gt_i64_e64 s[22:23], 0, v[3:4]
	v_not_b32_e32 v0, v4
	v_ashrrev_i32_e32 v0, 31, v0
	v_xor_b32_e32 v4, s23, v0
	v_xor_b32_e32 v0, s22, v0
	v_and_b32_e32 v1, v1, v21
	v_and_b32_e32 v0, v20, v0
	;; [unrolled: 1-line block ×3, first 2 shown]
	v_mbcnt_lo_u32_b32 v4, v0, 0
	v_mbcnt_hi_u32_b32 v20, v1, v4
	v_cmp_ne_u64_e64 s[22:23], 0, v[0:1]
	v_cmp_eq_u32_e64 s[24:25], 0, v20
	s_and_b64 s[24:25], s[22:23], s[24:25]
	; wave barrier
	s_and_saveexec_b64 s[22:23], s[24:25]
	s_cbranch_execz .LBB20_10
; %bb.9:                                ;   in Loop: Header=BB20_4 Depth=2
	v_bcnt_u32_b32 v0, v0, 0
	v_bcnt_u32_b32 v0, v1, v0
	s_waitcnt lgkmcnt(0)
	v_add_u32_e32 v0, v18, v0
	v_add_u32_e32 v1, v2, v19
	ds_write_b32 v1, v0 offset:16
.LBB20_10:                              ;   in Loop: Header=BB20_4 Depth=2
	s_or_b64 exec, exec, s[22:23]
	v_lshlrev_b32_e32 v0, s33, v12
	v_lshrrev_b32_e32 v0, 28, v0
	v_mad_u32_u24 v1, v0, 20, v2
	; wave barrier
	ds_read_b32 v21, v1 offset:16
	v_and_b32_e32 v1, 1, v0
	v_add_co_u32_e64 v4, s[22:23], -1, v1
	v_addc_co_u32_e64 v23, s[22:23], 0, -1, s[22:23]
	v_cmp_ne_u32_e64 s[22:23], 0, v1
	v_xor_b32_e32 v4, s22, v4
	v_xor_b32_e32 v1, s23, v23
	v_and_b32_e32 v23, exec_lo, v4
	v_lshlrev_b32_e32 v4, 30, v0
	v_cmp_gt_i64_e64 s[22:23], 0, v[3:4]
	v_not_b32_e32 v4, v4
	v_ashrrev_i32_e32 v4, 31, v4
	v_xor_b32_e32 v24, s23, v4
	v_xor_b32_e32 v4, s22, v4
	v_and_b32_e32 v23, v23, v4
	v_lshlrev_b32_e32 v4, 29, v0
	v_cmp_gt_i64_e64 s[22:23], 0, v[3:4]
	v_not_b32_e32 v4, v4
	v_and_b32_e32 v1, exec_hi, v1
	v_ashrrev_i32_e32 v4, 31, v4
	v_and_b32_e32 v1, v1, v24
	v_xor_b32_e32 v24, s23, v4
	v_xor_b32_e32 v4, s22, v4
	v_and_b32_e32 v23, v23, v4
	v_lshlrev_b32_e32 v4, 28, v0
	v_mul_u32_u24_e32 v22, 20, v0
	v_cmp_gt_i64_e64 s[22:23], 0, v[3:4]
	v_not_b32_e32 v0, v4
	v_ashrrev_i32_e32 v0, 31, v0
	v_xor_b32_e32 v4, s23, v0
	v_xor_b32_e32 v0, s22, v0
	v_and_b32_e32 v1, v1, v24
	v_and_b32_e32 v0, v23, v0
	;; [unrolled: 1-line block ×3, first 2 shown]
	v_mbcnt_lo_u32_b32 v4, v0, 0
	v_mbcnt_hi_u32_b32 v4, v1, v4
	v_cmp_ne_u64_e64 s[22:23], 0, v[0:1]
	v_cmp_eq_u32_e64 s[24:25], 0, v4
	s_and_b64 s[24:25], s[22:23], s[24:25]
	; wave barrier
	s_and_saveexec_b64 s[22:23], s[24:25]
	s_cbranch_execz .LBB20_12
; %bb.11:                               ;   in Loop: Header=BB20_4 Depth=2
	v_bcnt_u32_b32 v0, v0, 0
	v_bcnt_u32_b32 v0, v1, v0
	s_waitcnt lgkmcnt(0)
	v_add_u32_e32 v0, v21, v0
	v_add_u32_e32 v1, v2, v22
	ds_write_b32 v1, v0 offset:16
.LBB20_12:                              ;   in Loop: Header=BB20_4 Depth=2
	s_or_b64 exec, exec, s[22:23]
	; wave barrier
	s_waitcnt lgkmcnt(0)
	s_barrier
	ds_read_b32 v0, v5 offset:16
	s_waitcnt lgkmcnt(0)
	s_nop 0
	v_mov_b32_dpp v1, v0 row_shr:1 row_mask:0xf bank_mask:0xf
	v_cndmask_b32_e64 v1, v1, 0, s[8:9]
	v_add_u32_e32 v0, v1, v0
	s_nop 1
	v_mov_b32_dpp v1, v0 row_shr:2 row_mask:0xf bank_mask:0xf
	v_cndmask_b32_e64 v1, 0, v1, s[10:11]
	v_add_u32_e32 v0, v0, v1
	;; [unrolled: 4-line block ×4, first 2 shown]
	s_nop 1
	v_mov_b32_dpp v1, v0 row_bcast:15 row_mask:0xf bank_mask:0xf
	v_cndmask_b32_e64 v1, v1, 0, s[16:17]
	v_add_u32_e32 v0, v0, v1
	s_nop 1
	v_mov_b32_dpp v1, v0 row_bcast:31 row_mask:0xf bank_mask:0xf
	v_cndmask_b32_e64 v1, 0, v1, s[2:3]
	v_add_u32_e32 v0, v0, v1
	s_and_saveexec_b64 s[22:23], s[4:5]
; %bb.13:                               ;   in Loop: Header=BB20_4 Depth=2
	ds_write_b32 v6, v0
; %bb.14:                               ;   in Loop: Header=BB20_4 Depth=2
	s_or_b64 exec, exec, s[22:23]
	s_waitcnt lgkmcnt(0)
	s_barrier
	s_and_saveexec_b64 s[22:23], vcc
	s_cbranch_execz .LBB20_16
; %bb.15:                               ;   in Loop: Header=BB20_4 Depth=2
	ds_read_b32 v1, v5
	s_waitcnt lgkmcnt(0)
	s_nop 0
	v_mov_b32_dpp v23, v1 row_shr:1 row_mask:0xf bank_mask:0xf
	v_cndmask_b32_e64 v23, v23, 0, s[18:19]
	v_add_u32_e32 v1, v23, v1
	s_nop 1
	v_mov_b32_dpp v23, v1 row_shr:2 row_mask:0xf bank_mask:0xf
	v_cndmask_b32_e64 v23, 0, v23, s[20:21]
	v_add_u32_e32 v1, v1, v23
	ds_write_b32 v5, v1
.LBB20_16:                              ;   in Loop: Header=BB20_4 Depth=2
	s_or_b64 exec, exec, s[22:23]
	v_mov_b32_e32 v1, 0
	s_waitcnt lgkmcnt(0)
	s_barrier
	s_and_saveexec_b64 s[22:23], s[0:1]
	s_cbranch_execz .LBB20_3
; %bb.17:                               ;   in Loop: Header=BB20_4 Depth=2
	ds_read_b32 v1, v7
	s_branch .LBB20_3
.LBB20_18:
	v_add_u32_e32 v0, v2, v22
	v_add_u32_e32 v1, v2, v19
	v_add_u32_e32 v3, v2, v16
	v_add_u32_e32 v2, v2, v13
	ds_read_b32 v2, v2 offset:16
	ds_read_b32 v3, v3 offset:16
	;; [unrolled: 1-line block ×4, first 2 shown]
	s_add_u32 s0, s26, s28
	s_waitcnt lgkmcnt(3)
	v_add_u32_e32 v0, v2, v14
	s_waitcnt lgkmcnt(2)
	v_add3_u32 v1, v17, v15, v3
	s_waitcnt lgkmcnt(1)
	v_add3_u32 v2, v20, v18, v6
	;; [unrolled: 2-line block ×3, first 2 shown]
	s_addc_u32 s1, s27, s29
	v_lshlrev_b32_e32 v4, 2, v5
	global_store_dwordx4 v4, v[0:3], s[0:1]
	s_endpgm
	.section	.rodata,"a",@progbits
	.p2align	6, 0x0
	.amdhsa_kernel _Z11rank_kernelIiLj4ELb0EL18RadixRankAlgorithm2ELj256ELj4ELj10EEvPKT_Pi
		.amdhsa_group_segment_fixed_size 1040
		.amdhsa_private_segment_fixed_size 0
		.amdhsa_kernarg_size 272
		.amdhsa_user_sgpr_count 6
		.amdhsa_user_sgpr_private_segment_buffer 1
		.amdhsa_user_sgpr_dispatch_ptr 0
		.amdhsa_user_sgpr_queue_ptr 0
		.amdhsa_user_sgpr_kernarg_segment_ptr 1
		.amdhsa_user_sgpr_dispatch_id 0
		.amdhsa_user_sgpr_flat_scratch_init 0
		.amdhsa_user_sgpr_private_segment_size 0
		.amdhsa_uses_dynamic_stack 0
		.amdhsa_system_sgpr_private_segment_wavefront_offset 0
		.amdhsa_system_sgpr_workgroup_id_x 1
		.amdhsa_system_sgpr_workgroup_id_y 0
		.amdhsa_system_sgpr_workgroup_id_z 0
		.amdhsa_system_sgpr_workgroup_info 0
		.amdhsa_system_vgpr_workitem_id 2
		.amdhsa_next_free_vgpr 25
		.amdhsa_next_free_sgpr 34
		.amdhsa_reserve_vcc 1
		.amdhsa_reserve_flat_scratch 0
		.amdhsa_float_round_mode_32 0
		.amdhsa_float_round_mode_16_64 0
		.amdhsa_float_denorm_mode_32 3
		.amdhsa_float_denorm_mode_16_64 3
		.amdhsa_dx10_clamp 1
		.amdhsa_ieee_mode 1
		.amdhsa_fp16_overflow 0
		.amdhsa_exception_fp_ieee_invalid_op 0
		.amdhsa_exception_fp_denorm_src 0
		.amdhsa_exception_fp_ieee_div_zero 0
		.amdhsa_exception_fp_ieee_overflow 0
		.amdhsa_exception_fp_ieee_underflow 0
		.amdhsa_exception_fp_ieee_inexact 0
		.amdhsa_exception_int_div_zero 0
	.end_amdhsa_kernel
	.section	.text._Z11rank_kernelIiLj4ELb0EL18RadixRankAlgorithm2ELj256ELj4ELj10EEvPKT_Pi,"axG",@progbits,_Z11rank_kernelIiLj4ELb0EL18RadixRankAlgorithm2ELj256ELj4ELj10EEvPKT_Pi,comdat
.Lfunc_end20:
	.size	_Z11rank_kernelIiLj4ELb0EL18RadixRankAlgorithm2ELj256ELj4ELj10EEvPKT_Pi, .Lfunc_end20-_Z11rank_kernelIiLj4ELb0EL18RadixRankAlgorithm2ELj256ELj4ELj10EEvPKT_Pi
                                        ; -- End function
	.set _Z11rank_kernelIiLj4ELb0EL18RadixRankAlgorithm2ELj256ELj4ELj10EEvPKT_Pi.num_vgpr, 25
	.set _Z11rank_kernelIiLj4ELb0EL18RadixRankAlgorithm2ELj256ELj4ELj10EEvPKT_Pi.num_agpr, 0
	.set _Z11rank_kernelIiLj4ELb0EL18RadixRankAlgorithm2ELj256ELj4ELj10EEvPKT_Pi.numbered_sgpr, 34
	.set _Z11rank_kernelIiLj4ELb0EL18RadixRankAlgorithm2ELj256ELj4ELj10EEvPKT_Pi.num_named_barrier, 0
	.set _Z11rank_kernelIiLj4ELb0EL18RadixRankAlgorithm2ELj256ELj4ELj10EEvPKT_Pi.private_seg_size, 0
	.set _Z11rank_kernelIiLj4ELb0EL18RadixRankAlgorithm2ELj256ELj4ELj10EEvPKT_Pi.uses_vcc, 1
	.set _Z11rank_kernelIiLj4ELb0EL18RadixRankAlgorithm2ELj256ELj4ELj10EEvPKT_Pi.uses_flat_scratch, 0
	.set _Z11rank_kernelIiLj4ELb0EL18RadixRankAlgorithm2ELj256ELj4ELj10EEvPKT_Pi.has_dyn_sized_stack, 0
	.set _Z11rank_kernelIiLj4ELb0EL18RadixRankAlgorithm2ELj256ELj4ELj10EEvPKT_Pi.has_recursion, 0
	.set _Z11rank_kernelIiLj4ELb0EL18RadixRankAlgorithm2ELj256ELj4ELj10EEvPKT_Pi.has_indirect_call, 0
	.section	.AMDGPU.csdata,"",@progbits
; Kernel info:
; codeLenInByte = 1848
; TotalNumSgprs: 38
; NumVgprs: 25
; ScratchSize: 0
; MemoryBound: 0
; FloatMode: 240
; IeeeMode: 1
; LDSByteSize: 1040 bytes/workgroup (compile time only)
; SGPRBlocks: 4
; VGPRBlocks: 6
; NumSGPRsForWavesPerEU: 38
; NumVGPRsForWavesPerEU: 25
; Occupancy: 9
; WaveLimiterHint : 0
; COMPUTE_PGM_RSRC2:SCRATCH_EN: 0
; COMPUTE_PGM_RSRC2:USER_SGPR: 6
; COMPUTE_PGM_RSRC2:TRAP_HANDLER: 0
; COMPUTE_PGM_RSRC2:TGID_X_EN: 1
; COMPUTE_PGM_RSRC2:TGID_Y_EN: 0
; COMPUTE_PGM_RSRC2:TGID_Z_EN: 0
; COMPUTE_PGM_RSRC2:TIDIG_COMP_CNT: 2
	.section	.text._Z11rank_kernelIiLj4ELb0EL18RadixRankAlgorithm0ELj256ELj8ELj10EEvPKT_Pi,"axG",@progbits,_Z11rank_kernelIiLj4ELb0EL18RadixRankAlgorithm0ELj256ELj8ELj10EEvPKT_Pi,comdat
	.protected	_Z11rank_kernelIiLj4ELb0EL18RadixRankAlgorithm0ELj256ELj8ELj10EEvPKT_Pi ; -- Begin function _Z11rank_kernelIiLj4ELb0EL18RadixRankAlgorithm0ELj256ELj8ELj10EEvPKT_Pi
	.globl	_Z11rank_kernelIiLj4ELb0EL18RadixRankAlgorithm0ELj256ELj8ELj10EEvPKT_Pi
	.p2align	8
	.type	_Z11rank_kernelIiLj4ELb0EL18RadixRankAlgorithm0ELj256ELj8ELj10EEvPKT_Pi,@function
_Z11rank_kernelIiLj4ELb0EL18RadixRankAlgorithm0ELj256ELj8ELj10EEvPKT_Pi: ; @_Z11rank_kernelIiLj4ELb0EL18RadixRankAlgorithm0ELj256ELj8ELj10EEvPKT_Pi
; %bb.0:
	s_load_dwordx4 s[24:27], s[4:5], 0x0
	s_lshl_b32 s30, s6, 11
	s_mov_b32 s31, 0
	s_lshl_b64 s[28:29], s[30:31], 2
	v_lshlrev_b32_e32 v1, 5, v0
	s_waitcnt lgkmcnt(0)
	s_add_u32 s0, s24, s28
	s_addc_u32 s1, s25, s29
	global_load_dwordx4 v[8:11], v1, s[0:1]
	global_load_dwordx4 v[12:15], v1, s[0:1] offset:16
	v_mbcnt_lo_u32_b32 v4, -1, 0
	v_mbcnt_hi_u32_b32 v7, -1, v4
	v_subrev_co_u32_e64 v20, s[6:7], 1, v7
	v_and_b32_e32 v21, 64, v7
	v_or_b32_e32 v6, 63, v0
	v_lshrrev_b32_e32 v16, 4, v0
	v_cmp_lt_i32_e64 s[18:19], v20, v21
	v_mul_i32_i24_e32 v17, 0xffffffe4, v0
	v_and_b32_e32 v18, 15, v7
	v_and_b32_e32 v19, 16, v7
	v_cmp_lt_u32_e64 s[2:3], 31, v7
	v_cmp_eq_u32_e64 s[4:5], v0, v6
	v_and_b32_e32 v6, 12, v16
	v_and_b32_e32 v16, 3, v7
	v_cndmask_b32_e64 v7, v20, v7, s[18:19]
	v_mov_b32_e32 v2, 0
	s_movk_i32 s30, 0x6ff
	s_movk_i32 s33, 0x700
	v_lshlrev_b32_e32 v3, 3, v0
	v_cmp_gt_u32_e32 vcc, 4, v0
	v_cmp_lt_u32_e64 s[0:1], 63, v0
	v_lshlrev_b32_e32 v4, 2, v0
	v_or_b32_e32 v5, 0xffffff00, v0
	v_cmp_eq_u32_e64 s[8:9], 0, v18
	v_cmp_lt_u32_e64 s[10:11], 1, v18
	v_cmp_lt_u32_e64 s[12:13], 3, v18
	;; [unrolled: 1-line block ×3, first 2 shown]
	v_cmp_eq_u32_e64 s[16:17], 0, v19
	v_cmp_eq_u32_e64 s[18:19], 0, v16
	v_cmp_lt_u32_e64 s[20:21], 1, v16
	v_lshlrev_b32_e32 v7, 2, v7
	v_add_u32_e32 v16, v1, v17
	s_waitcnt vmcnt(1)
	v_xor_b32_e32 v8, 0x80000000, v8
	v_xor_b32_e32 v9, 0x80000000, v9
	;; [unrolled: 1-line block ×4, first 2 shown]
	s_waitcnt vmcnt(0)
	v_xor_b32_e32 v12, 0x80000000, v12
	v_xor_b32_e32 v13, 0x80000000, v13
	;; [unrolled: 1-line block ×4, first 2 shown]
	s_branch .LBB21_2
.LBB21_1:                               ;   in Loop: Header=BB21_2 Depth=1
	s_add_i32 s31, s31, 1
	s_cmp_eq_u32 s31, 10
	s_cbranch_scc1 .LBB21_12
.LBB21_2:                               ; =>This Loop Header: Depth=1
                                        ;     Child Loop BB21_4 Depth 2
                                        ;       Child Loop BB21_5 Depth 3
	s_mov_b32 s34, 0
	s_branch .LBB21_4
.LBB21_3:                               ;   in Loop: Header=BB21_4 Depth=2
	s_or_b64 exec, exec, s[22:23]
	s_waitcnt lgkmcnt(0)
	v_add_u32_e32 v33, v34, v33
	ds_bpermute_b32 v33, v7, v33
	s_add_i32 s22, s34, 4
	s_cmp_lt_u32 s34, 28
	s_mov_b32 s34, s22
	s_waitcnt lgkmcnt(0)
	v_cndmask_b32_e64 v33, v33, v34, s[6:7]
	ds_read_b32 v34, v2 offset:8204
	s_waitcnt lgkmcnt(0)
	v_lshl_add_u32 v37, v34, 16, v33
	ds_read2_b64 v[33:36], v1 offset1:1
	s_waitcnt lgkmcnt(0)
	v_add_u32_e32 v38, v37, v33
	v_add_u32_e32 v33, v34, v38
	;; [unrolled: 1-line block ×3, first 2 shown]
	ds_write2_b64 v1, v[37:38], v[33:34] offset1:1
	v_add_u32_e32 v33, v36, v34
	ds_read_b64 v[34:35], v1 offset:16
	ds_read_b32 v36, v1 offset:24
	s_waitcnt lgkmcnt(1)
	v_add_u32_e32 v34, v34, v33
	v_add_u32_e32 v35, v35, v34
	s_waitcnt lgkmcnt(0)
	v_add_u32_e32 v36, v36, v35
	ds_write2_b64 v1, v[33:34], v[35:36] offset0:2 offset1:3
	s_waitcnt lgkmcnt(0)
	s_barrier
	s_cbranch_scc0 .LBB21_1
.LBB21_4:                               ;   Parent Loop BB21_2 Depth=1
                                        ; =>  This Loop Header: Depth=2
                                        ;       Child Loop BB21_5 Depth 3
	s_mov_b64 s[24:25], 0
	v_mov_b32_e32 v17, v5
	v_mov_b32_e32 v18, v4
.LBB21_5:                               ;   Parent Loop BB21_2 Depth=1
                                        ;     Parent Loop BB21_4 Depth=2
                                        ; =>    This Inner Loop Header: Depth=3
	v_add_u32_e32 v17, 0x100, v17
	v_cmp_lt_u32_e64 s[22:23], s30, v17
	ds_write_b32 v18, v2
	s_or_b64 s[24:25], s[22:23], s[24:25]
	v_add_u32_e32 v18, 0x400, v18
	s_andn2_b64 exec, exec, s[24:25]
	s_cbranch_execnz .LBB21_5
; %bb.6:                                ;   in Loop: Header=BB21_4 Depth=2
	s_or_b64 exec, exec, s[24:25]
	s_sub_i32 s22, 28, s34
	v_lshlrev_b32_e32 v17, s22, v8
	v_lshrrev_b32_e32 v18, 20, v17
	v_and_or_b32 v18, v18, s33, v0
	v_alignbit_b32 v17, v18, v17, 31
	v_lshlrev_b32_e32 v18, 1, v17
	ds_read_u16 v17, v18
	s_waitcnt lgkmcnt(0)
	v_add_u16_e32 v19, 1, v17
	ds_write_b16 v18, v19
	v_lshlrev_b32_e32 v19, s22, v9
	v_lshrrev_b32_e32 v20, 20, v19
	v_and_or_b32 v20, v20, s33, v0
	v_alignbit_b32 v19, v20, v19, 31
	v_lshlrev_b32_e32 v20, 1, v19
	ds_read_u16 v19, v20
	s_waitcnt lgkmcnt(0)
	v_add_u16_e32 v21, 1, v19
	ds_write_b16 v20, v21
	;; [unrolled: 9-line block ×8, first 2 shown]
	s_waitcnt lgkmcnt(0)
	s_barrier
	ds_read2_b64 v[33:36], v1 offset1:1
	s_waitcnt lgkmcnt(0)
	v_add_u32_e32 v33, v34, v33
	v_add3_u32 v37, v33, v35, v36
	ds_read2_b64 v[33:36], v1 offset0:2 offset1:3
	s_waitcnt lgkmcnt(0)
	v_add3_u32 v33, v37, v33, v34
	v_add3_u32 v33, v33, v35, v36
	s_nop 1
	v_mov_b32_dpp v34, v33 row_shr:1 row_mask:0xf bank_mask:0xf
	v_cndmask_b32_e64 v34, v34, 0, s[8:9]
	v_add_u32_e32 v33, v34, v33
	s_nop 1
	v_mov_b32_dpp v34, v33 row_shr:2 row_mask:0xf bank_mask:0xf
	v_cndmask_b32_e64 v34, 0, v34, s[10:11]
	v_add_u32_e32 v33, v33, v34
	;; [unrolled: 4-line block ×4, first 2 shown]
	s_nop 1
	v_mov_b32_dpp v34, v33 row_bcast:15 row_mask:0xf bank_mask:0xf
	v_cndmask_b32_e64 v34, v34, 0, s[16:17]
	v_add_u32_e32 v33, v33, v34
	s_nop 1
	v_mov_b32_dpp v34, v33 row_bcast:31 row_mask:0xf bank_mask:0xf
	v_cndmask_b32_e64 v34, 0, v34, s[2:3]
	v_add_u32_e32 v33, v33, v34
	s_and_saveexec_b64 s[22:23], s[4:5]
; %bb.7:                                ;   in Loop: Header=BB21_4 Depth=2
	ds_write_b32 v6, v33 offset:8192
; %bb.8:                                ;   in Loop: Header=BB21_4 Depth=2
	s_or_b64 exec, exec, s[22:23]
	s_waitcnt lgkmcnt(0)
	s_barrier
	s_and_saveexec_b64 s[22:23], vcc
	s_cbranch_execz .LBB21_10
; %bb.9:                                ;   in Loop: Header=BB21_4 Depth=2
	ds_read_b32 v34, v16 offset:8192
	s_waitcnt lgkmcnt(0)
	s_nop 0
	v_mov_b32_dpp v35, v34 row_shr:1 row_mask:0xf bank_mask:0xf
	v_cndmask_b32_e64 v35, v35, 0, s[18:19]
	v_add_u32_e32 v34, v35, v34
	s_nop 1
	v_mov_b32_dpp v35, v34 row_shr:2 row_mask:0xf bank_mask:0xf
	v_cndmask_b32_e64 v35, 0, v35, s[20:21]
	v_add_u32_e32 v34, v34, v35
	ds_write_b32 v16, v34 offset:8192
.LBB21_10:                              ;   in Loop: Header=BB21_4 Depth=2
	s_or_b64 exec, exec, s[22:23]
	v_mov_b32_e32 v34, 0
	s_waitcnt lgkmcnt(0)
	s_barrier
	s_and_saveexec_b64 s[22:23], s[0:1]
	s_cbranch_execz .LBB21_3
; %bb.11:                               ;   in Loop: Header=BB21_4 Depth=2
	ds_read_b32 v34, v6 offset:8188
	s_branch .LBB21_3
.LBB21_12:
	ds_read_u16 v0, v24
	ds_read_u16 v1, v22
	;; [unrolled: 1-line block ×8, first 2 shown]
	s_add_u32 s0, s26, s28
	s_waitcnt lgkmcnt(4)
	v_add_u32_sdwa v4, v4, v17 dst_sel:DWORD dst_unused:UNUSED_PAD src0_sel:DWORD src1_sel:WORD_0
	v_add_u32_sdwa v5, v2, v19 dst_sel:DWORD dst_unused:UNUSED_PAD src0_sel:DWORD src1_sel:WORD_0
	;; [unrolled: 1-line block ×4, first 2 shown]
	s_addc_u32 s1, s27, s29
	v_lshlrev_b32_e32 v0, 2, v3
	s_waitcnt lgkmcnt(0)
	v_add_u32_sdwa v8, v8, v25 dst_sel:DWORD dst_unused:UNUSED_PAD src0_sel:DWORD src1_sel:WORD_0
	v_add_u32_sdwa v9, v9, v27 dst_sel:DWORD dst_unused:UNUSED_PAD src0_sel:DWORD src1_sel:WORD_0
	;; [unrolled: 1-line block ×4, first 2 shown]
	global_store_dwordx4 v0, v[4:7], s[0:1]
	global_store_dwordx4 v0, v[8:11], s[0:1] offset:16
	s_endpgm
	.section	.rodata,"a",@progbits
	.p2align	6, 0x0
	.amdhsa_kernel _Z11rank_kernelIiLj4ELb0EL18RadixRankAlgorithm0ELj256ELj8ELj10EEvPKT_Pi
		.amdhsa_group_segment_fixed_size 8208
		.amdhsa_private_segment_fixed_size 0
		.amdhsa_kernarg_size 16
		.amdhsa_user_sgpr_count 6
		.amdhsa_user_sgpr_private_segment_buffer 1
		.amdhsa_user_sgpr_dispatch_ptr 0
		.amdhsa_user_sgpr_queue_ptr 0
		.amdhsa_user_sgpr_kernarg_segment_ptr 1
		.amdhsa_user_sgpr_dispatch_id 0
		.amdhsa_user_sgpr_flat_scratch_init 0
		.amdhsa_user_sgpr_private_segment_size 0
		.amdhsa_uses_dynamic_stack 0
		.amdhsa_system_sgpr_private_segment_wavefront_offset 0
		.amdhsa_system_sgpr_workgroup_id_x 1
		.amdhsa_system_sgpr_workgroup_id_y 0
		.amdhsa_system_sgpr_workgroup_id_z 0
		.amdhsa_system_sgpr_workgroup_info 0
		.amdhsa_system_vgpr_workitem_id 0
		.amdhsa_next_free_vgpr 39
		.amdhsa_next_free_sgpr 77
		.amdhsa_reserve_vcc 1
		.amdhsa_reserve_flat_scratch 0
		.amdhsa_float_round_mode_32 0
		.amdhsa_float_round_mode_16_64 0
		.amdhsa_float_denorm_mode_32 3
		.amdhsa_float_denorm_mode_16_64 3
		.amdhsa_dx10_clamp 1
		.amdhsa_ieee_mode 1
		.amdhsa_fp16_overflow 0
		.amdhsa_exception_fp_ieee_invalid_op 0
		.amdhsa_exception_fp_denorm_src 0
		.amdhsa_exception_fp_ieee_div_zero 0
		.amdhsa_exception_fp_ieee_overflow 0
		.amdhsa_exception_fp_ieee_underflow 0
		.amdhsa_exception_fp_ieee_inexact 0
		.amdhsa_exception_int_div_zero 0
	.end_amdhsa_kernel
	.section	.text._Z11rank_kernelIiLj4ELb0EL18RadixRankAlgorithm0ELj256ELj8ELj10EEvPKT_Pi,"axG",@progbits,_Z11rank_kernelIiLj4ELb0EL18RadixRankAlgorithm0ELj256ELj8ELj10EEvPKT_Pi,comdat
.Lfunc_end21:
	.size	_Z11rank_kernelIiLj4ELb0EL18RadixRankAlgorithm0ELj256ELj8ELj10EEvPKT_Pi, .Lfunc_end21-_Z11rank_kernelIiLj4ELb0EL18RadixRankAlgorithm0ELj256ELj8ELj10EEvPKT_Pi
                                        ; -- End function
	.set _Z11rank_kernelIiLj4ELb0EL18RadixRankAlgorithm0ELj256ELj8ELj10EEvPKT_Pi.num_vgpr, 39
	.set _Z11rank_kernelIiLj4ELb0EL18RadixRankAlgorithm0ELj256ELj8ELj10EEvPKT_Pi.num_agpr, 0
	.set _Z11rank_kernelIiLj4ELb0EL18RadixRankAlgorithm0ELj256ELj8ELj10EEvPKT_Pi.numbered_sgpr, 35
	.set _Z11rank_kernelIiLj4ELb0EL18RadixRankAlgorithm0ELj256ELj8ELj10EEvPKT_Pi.num_named_barrier, 0
	.set _Z11rank_kernelIiLj4ELb0EL18RadixRankAlgorithm0ELj256ELj8ELj10EEvPKT_Pi.private_seg_size, 0
	.set _Z11rank_kernelIiLj4ELb0EL18RadixRankAlgorithm0ELj256ELj8ELj10EEvPKT_Pi.uses_vcc, 1
	.set _Z11rank_kernelIiLj4ELb0EL18RadixRankAlgorithm0ELj256ELj8ELj10EEvPKT_Pi.uses_flat_scratch, 0
	.set _Z11rank_kernelIiLj4ELb0EL18RadixRankAlgorithm0ELj256ELj8ELj10EEvPKT_Pi.has_dyn_sized_stack, 0
	.set _Z11rank_kernelIiLj4ELb0EL18RadixRankAlgorithm0ELj256ELj8ELj10EEvPKT_Pi.has_recursion, 0
	.set _Z11rank_kernelIiLj4ELb0EL18RadixRankAlgorithm0ELj256ELj8ELj10EEvPKT_Pi.has_indirect_call, 0
	.section	.AMDGPU.csdata,"",@progbits
; Kernel info:
; codeLenInByte = 1488
; TotalNumSgprs: 39
; NumVgprs: 39
; ScratchSize: 0
; MemoryBound: 0
; FloatMode: 240
; IeeeMode: 1
; LDSByteSize: 8208 bytes/workgroup (compile time only)
; SGPRBlocks: 10
; VGPRBlocks: 9
; NumSGPRsForWavesPerEU: 81
; NumVGPRsForWavesPerEU: 39
; Occupancy: 6
; WaveLimiterHint : 0
; COMPUTE_PGM_RSRC2:SCRATCH_EN: 0
; COMPUTE_PGM_RSRC2:USER_SGPR: 6
; COMPUTE_PGM_RSRC2:TRAP_HANDLER: 0
; COMPUTE_PGM_RSRC2:TGID_X_EN: 1
; COMPUTE_PGM_RSRC2:TGID_Y_EN: 0
; COMPUTE_PGM_RSRC2:TGID_Z_EN: 0
; COMPUTE_PGM_RSRC2:TIDIG_COMP_CNT: 0
	.section	.text._Z11rank_kernelIiLj4ELb0EL18RadixRankAlgorithm1ELj256ELj8ELj10EEvPKT_Pi,"axG",@progbits,_Z11rank_kernelIiLj4ELb0EL18RadixRankAlgorithm1ELj256ELj8ELj10EEvPKT_Pi,comdat
	.protected	_Z11rank_kernelIiLj4ELb0EL18RadixRankAlgorithm1ELj256ELj8ELj10EEvPKT_Pi ; -- Begin function _Z11rank_kernelIiLj4ELb0EL18RadixRankAlgorithm1ELj256ELj8ELj10EEvPKT_Pi
	.globl	_Z11rank_kernelIiLj4ELb0EL18RadixRankAlgorithm1ELj256ELj8ELj10EEvPKT_Pi
	.p2align	8
	.type	_Z11rank_kernelIiLj4ELb0EL18RadixRankAlgorithm1ELj256ELj8ELj10EEvPKT_Pi,@function
_Z11rank_kernelIiLj4ELb0EL18RadixRankAlgorithm1ELj256ELj8ELj10EEvPKT_Pi: ; @_Z11rank_kernelIiLj4ELb0EL18RadixRankAlgorithm1ELj256ELj8ELj10EEvPKT_Pi
; %bb.0:
	s_load_dwordx4 s[24:27], s[4:5], 0x0
	s_lshl_b32 s30, s6, 11
	s_mov_b32 s31, 0
	s_lshl_b64 s[28:29], s[30:31], 2
	v_lshlrev_b32_e32 v9, 5, v0
	s_waitcnt lgkmcnt(0)
	s_add_u32 s0, s24, s28
	s_addc_u32 s1, s25, s29
	global_load_dwordx4 v[1:4], v9, s[0:1]
	global_load_dwordx4 v[5:8], v9, s[0:1] offset:16
	v_mbcnt_lo_u32_b32 v12, -1, 0
	v_mbcnt_hi_u32_b32 v15, -1, v12
	v_subrev_co_u32_e64 v19, s[6:7], 1, v15
	v_and_b32_e32 v20, 64, v15
	v_or_b32_e32 v14, 63, v0
	v_lshrrev_b32_e32 v16, 4, v0
	v_cmp_lt_i32_e64 s[18:19], v19, v20
	v_mul_i32_i24_e32 v24, 0xffffffe4, v0
	v_and_b32_e32 v17, 15, v15
	v_and_b32_e32 v18, 16, v15
	v_cmp_lt_u32_e64 s[2:3], 31, v15
	v_cmp_eq_u32_e64 s[4:5], v0, v14
	v_and_b32_e32 v14, 12, v16
	v_and_b32_e32 v16, 3, v15
	v_cndmask_b32_e64 v15, v19, v15, s[18:19]
	v_mov_b32_e32 v10, 0
	s_movk_i32 s30, 0x6ff
	s_movk_i32 s33, 0x700
	v_lshlrev_b32_e32 v11, 3, v0
	v_cmp_gt_u32_e32 vcc, 4, v0
	v_cmp_lt_u32_e64 s[0:1], 63, v0
	v_lshlrev_b32_e32 v12, 2, v0
	v_or_b32_e32 v13, 0xffffff00, v0
	v_cmp_eq_u32_e64 s[8:9], 0, v17
	v_cmp_lt_u32_e64 s[10:11], 1, v17
	v_cmp_lt_u32_e64 s[12:13], 3, v17
	;; [unrolled: 1-line block ×3, first 2 shown]
	v_cmp_eq_u32_e64 s[16:17], 0, v18
	v_cmp_eq_u32_e64 s[18:19], 0, v16
	v_cmp_lt_u32_e64 s[20:21], 1, v16
	v_lshlrev_b32_e32 v15, 2, v15
	v_add_u32_e32 v24, v9, v24
	s_waitcnt vmcnt(1)
	v_xor_b32_e32 v16, 0x80000000, v1
	v_xor_b32_e32 v17, 0x80000000, v2
	;; [unrolled: 1-line block ×4, first 2 shown]
	s_waitcnt vmcnt(0)
	v_xor_b32_e32 v20, 0x80000000, v5
	v_xor_b32_e32 v21, 0x80000000, v6
	;; [unrolled: 1-line block ×4, first 2 shown]
	s_branch .LBB22_2
.LBB22_1:                               ;   in Loop: Header=BB22_2 Depth=1
	s_add_i32 s31, s31, 1
	s_cmp_eq_u32 s31, 10
	s_cbranch_scc1 .LBB22_12
.LBB22_2:                               ; =>This Loop Header: Depth=1
                                        ;     Child Loop BB22_4 Depth 2
                                        ;       Child Loop BB22_5 Depth 3
	s_mov_b32 s34, 0
	s_branch .LBB22_4
.LBB22_3:                               ;   in Loop: Header=BB22_4 Depth=2
	s_or_b64 exec, exec, s[22:23]
	s_waitcnt lgkmcnt(0)
	v_add_u32_e32 v4, v41, v4
	ds_bpermute_b32 v4, v15, v4
	ds_read_b32 v42, v10 offset:8204
	s_add_i32 s22, s34, 4
	s_cmp_lt_u32 s34, 28
	s_mov_b32 s34, s22
	s_waitcnt lgkmcnt(1)
	v_cndmask_b32_e64 v4, v4, v41, s[6:7]
	s_waitcnt lgkmcnt(0)
	v_lshl_add_u32 v4, v42, 16, v4
	v_add_u32_e32 v5, v4, v5
	v_add_u32_e32 v6, v5, v6
	;; [unrolled: 1-line block ×7, first 2 shown]
	ds_write2_b64 v9, v[4:5], v[6:7] offset1:1
	ds_write2_b64 v9, v[41:42], v[1:2] offset0:2 offset1:3
	s_waitcnt lgkmcnt(0)
	s_barrier
	s_cbranch_scc0 .LBB22_1
.LBB22_4:                               ;   Parent Loop BB22_2 Depth=1
                                        ; =>  This Loop Header: Depth=2
                                        ;       Child Loop BB22_5 Depth 3
	s_mov_b64 s[24:25], 0
	v_mov_b32_e32 v1, v13
	v_mov_b32_e32 v2, v12
.LBB22_5:                               ;   Parent Loop BB22_2 Depth=1
                                        ;     Parent Loop BB22_4 Depth=2
                                        ; =>    This Inner Loop Header: Depth=3
	v_add_u32_e32 v1, 0x100, v1
	v_cmp_lt_u32_e64 s[22:23], s30, v1
	ds_write_b32 v2, v10
	s_or_b64 s[24:25], s[22:23], s[24:25]
	v_add_u32_e32 v2, 0x400, v2
	s_andn2_b64 exec, exec, s[24:25]
	s_cbranch_execnz .LBB22_5
; %bb.6:                                ;   in Loop: Header=BB22_4 Depth=2
	s_or_b64 exec, exec, s[24:25]
	s_sub_i32 s22, 28, s34
	v_lshlrev_b32_e32 v1, s22, v16
	v_lshrrev_b32_e32 v2, 20, v1
	v_and_or_b32 v2, v2, s33, v0
	v_alignbit_b32 v1, v2, v1, 31
	v_lshlrev_b32_e32 v26, 1, v1
	ds_read_u16 v25, v26
	v_lshlrev_b32_e32 v1, s22, v17
	v_lshrrev_b32_e32 v2, 20, v1
	v_and_or_b32 v2, v2, s33, v0
	v_alignbit_b32 v1, v2, v1, 31
	s_waitcnt lgkmcnt(0)
	v_add_u16_e32 v2, 1, v25
	ds_write_b16 v26, v2
	v_lshlrev_b32_e32 v28, 1, v1
	ds_read_u16 v27, v28
	v_lshlrev_b32_e32 v1, s22, v18
	v_lshrrev_b32_e32 v2, 20, v1
	v_and_or_b32 v2, v2, s33, v0
	v_alignbit_b32 v1, v2, v1, 31
	s_waitcnt lgkmcnt(0)
	v_add_u16_e32 v3, 1, v27
	ds_write_b16 v28, v3
	;; [unrolled: 9-line block ×3, first 2 shown]
	v_lshlrev_b32_e32 v33, 1, v1
	ds_read_u16 v31, v33
	v_lshlrev_b32_e32 v1, s22, v20
	s_waitcnt lgkmcnt(0)
	v_add_u16_e32 v2, 1, v31
	ds_write_b16 v33, v2
	v_lshrrev_b32_e32 v2, 20, v1
	v_and_or_b32 v2, v2, s33, v0
	v_alignbit_b32 v1, v2, v1, 31
	v_lshlrev_b32_e32 v34, 1, v1
	ds_read_u16 v32, v34
	s_waitcnt lgkmcnt(0)
	v_add_u16_e32 v1, 1, v32
	ds_write_b16 v34, v1
	v_lshlrev_b32_e32 v1, s22, v21
	v_lshrrev_b32_e32 v2, 20, v1
	v_and_or_b32 v2, v2, s33, v0
	v_alignbit_b32 v1, v2, v1, 31
	v_lshlrev_b32_e32 v36, 1, v1
	ds_read_u16 v35, v36
	s_waitcnt lgkmcnt(0)
	v_add_u16_e32 v1, 1, v35
	ds_write_b16 v36, v1
	v_lshlrev_b32_e32 v1, s22, v22
	;; [unrolled: 9-line block ×3, first 2 shown]
	v_lshrrev_b32_e32 v2, 20, v1
	v_and_or_b32 v2, v2, s33, v0
	v_alignbit_b32 v1, v2, v1, 31
	v_lshlrev_b32_e32 v40, 1, v1
	ds_read_u16 v38, v40
	s_waitcnt lgkmcnt(0)
	v_add_u16_e32 v1, 1, v38
	ds_write_b16 v40, v1
	s_waitcnt lgkmcnt(0)
	s_barrier
	ds_read2_b64 v[5:8], v9 offset1:1
	ds_read2_b64 v[1:4], v9 offset0:2 offset1:3
	s_waitcnt lgkmcnt(1)
	v_add_u32_e32 v41, v6, v5
	v_add3_u32 v41, v41, v7, v8
	s_waitcnt lgkmcnt(0)
	v_add3_u32 v41, v41, v1, v2
	v_add3_u32 v4, v41, v3, v4
	s_nop 1
	v_mov_b32_dpp v41, v4 row_shr:1 row_mask:0xf bank_mask:0xf
	v_cndmask_b32_e64 v41, v41, 0, s[8:9]
	v_add_u32_e32 v4, v41, v4
	s_nop 1
	v_mov_b32_dpp v41, v4 row_shr:2 row_mask:0xf bank_mask:0xf
	v_cndmask_b32_e64 v41, 0, v41, s[10:11]
	v_add_u32_e32 v4, v4, v41
	;; [unrolled: 4-line block ×4, first 2 shown]
	s_nop 1
	v_mov_b32_dpp v41, v4 row_bcast:15 row_mask:0xf bank_mask:0xf
	v_cndmask_b32_e64 v41, v41, 0, s[16:17]
	v_add_u32_e32 v4, v4, v41
	s_nop 1
	v_mov_b32_dpp v41, v4 row_bcast:31 row_mask:0xf bank_mask:0xf
	v_cndmask_b32_e64 v41, 0, v41, s[2:3]
	v_add_u32_e32 v4, v4, v41
	s_and_saveexec_b64 s[22:23], s[4:5]
; %bb.7:                                ;   in Loop: Header=BB22_4 Depth=2
	ds_write_b32 v14, v4 offset:8192
; %bb.8:                                ;   in Loop: Header=BB22_4 Depth=2
	s_or_b64 exec, exec, s[22:23]
	s_waitcnt lgkmcnt(0)
	s_barrier
	s_and_saveexec_b64 s[22:23], vcc
	s_cbranch_execz .LBB22_10
; %bb.9:                                ;   in Loop: Header=BB22_4 Depth=2
	ds_read_b32 v41, v24 offset:8192
	s_waitcnt lgkmcnt(0)
	s_nop 0
	v_mov_b32_dpp v42, v41 row_shr:1 row_mask:0xf bank_mask:0xf
	v_cndmask_b32_e64 v42, v42, 0, s[18:19]
	v_add_u32_e32 v41, v42, v41
	s_nop 1
	v_mov_b32_dpp v42, v41 row_shr:2 row_mask:0xf bank_mask:0xf
	v_cndmask_b32_e64 v42, 0, v42, s[20:21]
	v_add_u32_e32 v41, v41, v42
	ds_write_b32 v24, v41 offset:8192
.LBB22_10:                              ;   in Loop: Header=BB22_4 Depth=2
	s_or_b64 exec, exec, s[22:23]
	v_mov_b32_e32 v41, 0
	s_waitcnt lgkmcnt(0)
	s_barrier
	s_and_saveexec_b64 s[22:23], s[0:1]
	s_cbranch_execz .LBB22_3
; %bb.11:                               ;   in Loop: Header=BB22_4 Depth=2
	ds_read_b32 v41, v14 offset:8188
	s_branch .LBB22_3
.LBB22_12:
	ds_read_u16 v3, v33
	ds_read_u16 v2, v30
	;; [unrolled: 1-line block ×8, first 2 shown]
	s_add_u32 s0, s26, s28
	s_waitcnt lgkmcnt(4)
	v_add_u32_sdwa v0, v0, v25 dst_sel:DWORD dst_unused:UNUSED_PAD src0_sel:DWORD src1_sel:WORD_0
	v_add_u32_sdwa v1, v1, v27 dst_sel:DWORD dst_unused:UNUSED_PAD src0_sel:DWORD src1_sel:WORD_0
	;; [unrolled: 1-line block ×4, first 2 shown]
	s_addc_u32 s1, s27, s29
	v_lshlrev_b32_e32 v8, 2, v11
	s_waitcnt lgkmcnt(0)
	v_add_u32_sdwa v4, v4, v32 dst_sel:DWORD dst_unused:UNUSED_PAD src0_sel:DWORD src1_sel:WORD_0
	v_add_u32_sdwa v5, v5, v35 dst_sel:DWORD dst_unused:UNUSED_PAD src0_sel:DWORD src1_sel:WORD_0
	;; [unrolled: 1-line block ×4, first 2 shown]
	global_store_dwordx4 v8, v[0:3], s[0:1]
	global_store_dwordx4 v8, v[4:7], s[0:1] offset:16
	s_endpgm
	.section	.rodata,"a",@progbits
	.p2align	6, 0x0
	.amdhsa_kernel _Z11rank_kernelIiLj4ELb0EL18RadixRankAlgorithm1ELj256ELj8ELj10EEvPKT_Pi
		.amdhsa_group_segment_fixed_size 8208
		.amdhsa_private_segment_fixed_size 0
		.amdhsa_kernarg_size 16
		.amdhsa_user_sgpr_count 6
		.amdhsa_user_sgpr_private_segment_buffer 1
		.amdhsa_user_sgpr_dispatch_ptr 0
		.amdhsa_user_sgpr_queue_ptr 0
		.amdhsa_user_sgpr_kernarg_segment_ptr 1
		.amdhsa_user_sgpr_dispatch_id 0
		.amdhsa_user_sgpr_flat_scratch_init 0
		.amdhsa_user_sgpr_private_segment_size 0
		.amdhsa_uses_dynamic_stack 0
		.amdhsa_system_sgpr_private_segment_wavefront_offset 0
		.amdhsa_system_sgpr_workgroup_id_x 1
		.amdhsa_system_sgpr_workgroup_id_y 0
		.amdhsa_system_sgpr_workgroup_id_z 0
		.amdhsa_system_sgpr_workgroup_info 0
		.amdhsa_system_vgpr_workitem_id 0
		.amdhsa_next_free_vgpr 43
		.amdhsa_next_free_sgpr 77
		.amdhsa_reserve_vcc 1
		.amdhsa_reserve_flat_scratch 0
		.amdhsa_float_round_mode_32 0
		.amdhsa_float_round_mode_16_64 0
		.amdhsa_float_denorm_mode_32 3
		.amdhsa_float_denorm_mode_16_64 3
		.amdhsa_dx10_clamp 1
		.amdhsa_ieee_mode 1
		.amdhsa_fp16_overflow 0
		.amdhsa_exception_fp_ieee_invalid_op 0
		.amdhsa_exception_fp_denorm_src 0
		.amdhsa_exception_fp_ieee_div_zero 0
		.amdhsa_exception_fp_ieee_overflow 0
		.amdhsa_exception_fp_ieee_underflow 0
		.amdhsa_exception_fp_ieee_inexact 0
		.amdhsa_exception_int_div_zero 0
	.end_amdhsa_kernel
	.section	.text._Z11rank_kernelIiLj4ELb0EL18RadixRankAlgorithm1ELj256ELj8ELj10EEvPKT_Pi,"axG",@progbits,_Z11rank_kernelIiLj4ELb0EL18RadixRankAlgorithm1ELj256ELj8ELj10EEvPKT_Pi,comdat
.Lfunc_end22:
	.size	_Z11rank_kernelIiLj4ELb0EL18RadixRankAlgorithm1ELj256ELj8ELj10EEvPKT_Pi, .Lfunc_end22-_Z11rank_kernelIiLj4ELb0EL18RadixRankAlgorithm1ELj256ELj8ELj10EEvPKT_Pi
                                        ; -- End function
	.set _Z11rank_kernelIiLj4ELb0EL18RadixRankAlgorithm1ELj256ELj8ELj10EEvPKT_Pi.num_vgpr, 43
	.set _Z11rank_kernelIiLj4ELb0EL18RadixRankAlgorithm1ELj256ELj8ELj10EEvPKT_Pi.num_agpr, 0
	.set _Z11rank_kernelIiLj4ELb0EL18RadixRankAlgorithm1ELj256ELj8ELj10EEvPKT_Pi.numbered_sgpr, 35
	.set _Z11rank_kernelIiLj4ELb0EL18RadixRankAlgorithm1ELj256ELj8ELj10EEvPKT_Pi.num_named_barrier, 0
	.set _Z11rank_kernelIiLj4ELb0EL18RadixRankAlgorithm1ELj256ELj8ELj10EEvPKT_Pi.private_seg_size, 0
	.set _Z11rank_kernelIiLj4ELb0EL18RadixRankAlgorithm1ELj256ELj8ELj10EEvPKT_Pi.uses_vcc, 1
	.set _Z11rank_kernelIiLj4ELb0EL18RadixRankAlgorithm1ELj256ELj8ELj10EEvPKT_Pi.uses_flat_scratch, 0
	.set _Z11rank_kernelIiLj4ELb0EL18RadixRankAlgorithm1ELj256ELj8ELj10EEvPKT_Pi.has_dyn_sized_stack, 0
	.set _Z11rank_kernelIiLj4ELb0EL18RadixRankAlgorithm1ELj256ELj8ELj10EEvPKT_Pi.has_recursion, 0
	.set _Z11rank_kernelIiLj4ELb0EL18RadixRankAlgorithm1ELj256ELj8ELj10EEvPKT_Pi.has_indirect_call, 0
	.section	.AMDGPU.csdata,"",@progbits
; Kernel info:
; codeLenInByte = 1452
; TotalNumSgprs: 39
; NumVgprs: 43
; ScratchSize: 0
; MemoryBound: 0
; FloatMode: 240
; IeeeMode: 1
; LDSByteSize: 8208 bytes/workgroup (compile time only)
; SGPRBlocks: 10
; VGPRBlocks: 10
; NumSGPRsForWavesPerEU: 81
; NumVGPRsForWavesPerEU: 43
; Occupancy: 5
; WaveLimiterHint : 0
; COMPUTE_PGM_RSRC2:SCRATCH_EN: 0
; COMPUTE_PGM_RSRC2:USER_SGPR: 6
; COMPUTE_PGM_RSRC2:TRAP_HANDLER: 0
; COMPUTE_PGM_RSRC2:TGID_X_EN: 1
; COMPUTE_PGM_RSRC2:TGID_Y_EN: 0
; COMPUTE_PGM_RSRC2:TGID_Z_EN: 0
; COMPUTE_PGM_RSRC2:TIDIG_COMP_CNT: 0
	.section	.text._Z11rank_kernelIiLj4ELb0EL18RadixRankAlgorithm2ELj256ELj8ELj10EEvPKT_Pi,"axG",@progbits,_Z11rank_kernelIiLj4ELb0EL18RadixRankAlgorithm2ELj256ELj8ELj10EEvPKT_Pi,comdat
	.protected	_Z11rank_kernelIiLj4ELb0EL18RadixRankAlgorithm2ELj256ELj8ELj10EEvPKT_Pi ; -- Begin function _Z11rank_kernelIiLj4ELb0EL18RadixRankAlgorithm2ELj256ELj8ELj10EEvPKT_Pi
	.globl	_Z11rank_kernelIiLj4ELb0EL18RadixRankAlgorithm2ELj256ELj8ELj10EEvPKT_Pi
	.p2align	8
	.type	_Z11rank_kernelIiLj4ELb0EL18RadixRankAlgorithm2ELj256ELj8ELj10EEvPKT_Pi,@function
_Z11rank_kernelIiLj4ELb0EL18RadixRankAlgorithm2ELj256ELj8ELj10EEvPKT_Pi: ; @_Z11rank_kernelIiLj4ELb0EL18RadixRankAlgorithm2ELj256ELj8ELj10EEvPKT_Pi
; %bb.0:
	s_load_dwordx4 s[24:27], s[4:5], 0x0
	s_load_dword s20, s[4:5], 0x1c
	s_lshl_b32 s30, s6, 11
	s_mov_b32 s31, 0
	s_lshl_b64 s[28:29], s[30:31], 2
	s_waitcnt lgkmcnt(0)
	s_add_u32 s0, s24, s28
	s_addc_u32 s1, s25, s29
	v_lshlrev_b32_e32 v3, 5, v0
	global_load_dwordx4 v[10:13], v3, s[0:1]
	global_load_dwordx4 v[14:17], v3, s[0:1] offset:16
	s_lshr_b32 s21, s20, 16
	v_or_b32_e32 v7, 63, v0
	s_and_b32 s20, s20, 0xffff
	v_mad_u32_u24 v1, v2, s21, v1
	v_mbcnt_lo_u32_b32 v4, -1, 0
	v_lshlrev_b32_e32 v5, 3, v0
	v_lshlrev_b32_e32 v6, 2, v0
	v_cmp_gt_u32_e32 vcc, 4, v0
	v_cmp_lt_u32_e64 s[0:1], 63, v0
	v_lshrrev_b32_e32 v8, 4, v0
	v_cmp_eq_u32_e64 s[2:3], v0, v7
	v_mad_u64_u32 v[0:1], s[20:21], v1, s20, v[0:1]
	v_mbcnt_hi_u32_b32 v4, -1, v4
	v_subrev_co_u32_e64 v19, s[6:7], 1, v4
	v_and_b32_e32 v20, 64, v4
	v_cmp_lt_i32_e64 s[18:19], v19, v20
	v_and_b32_e32 v9, 15, v4
	v_and_b32_e32 v18, 16, v4
	v_cmp_lt_u32_e64 s[4:5], 31, v4
	v_and_b32_e32 v7, 12, v8
	v_and_b32_e32 v8, 3, v4
	v_cndmask_b32_e64 v4, v19, v4, s[18:19]
	v_lshrrev_b32_e32 v0, 4, v0
	v_mov_b32_e32 v3, 0
	v_cmp_eq_u32_e64 s[8:9], 0, v9
	v_cmp_lt_u32_e64 s[10:11], 1, v9
	v_cmp_lt_u32_e64 s[12:13], 3, v9
	;; [unrolled: 1-line block ×3, first 2 shown]
	v_cmp_eq_u32_e64 s[16:17], 0, v18
	v_cmp_eq_u32_e64 s[18:19], 0, v8
	v_cmp_lt_u32_e64 s[20:21], 1, v8
	v_add_u32_e32 v8, -4, v7
	v_lshlrev_b32_e32 v9, 2, v4
	v_and_b32_e32 v2, 0xffffffc, v0
	s_waitcnt vmcnt(1)
	v_xor_b32_e32 v10, 0x80000000, v10
	v_xor_b32_e32 v11, 0x80000000, v11
	;; [unrolled: 1-line block ×4, first 2 shown]
	s_waitcnt vmcnt(0)
	v_xor_b32_e32 v14, 0x80000000, v14
	v_xor_b32_e32 v15, 0x80000000, v15
	;; [unrolled: 1-line block ×4, first 2 shown]
	s_branch .LBB23_2
.LBB23_1:                               ;   in Loop: Header=BB23_2 Depth=1
	s_add_i32 s31, s31, 1
	s_cmp_eq_u32 s31, 10
	s_cbranch_scc1 .LBB23_26
.LBB23_2:                               ; =>This Loop Header: Depth=1
                                        ;     Child Loop BB23_4 Depth 2
	s_mov_b32 s30, -4
	s_mov_b32 s33, 28
	s_branch .LBB23_4
.LBB23_3:                               ;   in Loop: Header=BB23_4 Depth=2
	s_or_b64 exec, exec, s[22:23]
	s_waitcnt lgkmcnt(0)
	v_add_u32_e32 v0, v1, v0
	ds_bpermute_b32 v0, v9, v0
	s_add_i32 s33, s33, -4
	s_add_i32 s30, s30, 4
	s_cmp_lt_u32 s30, 28
	s_waitcnt lgkmcnt(0)
	v_cndmask_b32_e64 v0, v0, v1, s[6:7]
	ds_write_b32 v6, v0 offset:16
	s_waitcnt lgkmcnt(0)
	s_barrier
	s_cbranch_scc0 .LBB23_1
.LBB23_4:                               ;   Parent Loop BB23_2 Depth=1
                                        ; =>  This Inner Loop Header: Depth=2
	v_lshlrev_b32_e32 v0, s33, v10
	v_lshrrev_b32_e32 v0, 28, v0
	v_and_b32_e32 v1, 1, v0
	v_add_co_u32_e64 v4, s[22:23], -1, v1
	v_addc_co_u32_e64 v19, s[22:23], 0, -1, s[22:23]
	v_cmp_ne_u32_e64 s[22:23], 0, v1
	v_xor_b32_e32 v4, s22, v4
	v_xor_b32_e32 v1, s23, v19
	v_and_b32_e32 v19, exec_lo, v4
	v_lshlrev_b32_e32 v4, 30, v0
	v_cmp_gt_i64_e64 s[22:23], 0, v[3:4]
	v_not_b32_e32 v4, v4
	v_ashrrev_i32_e32 v4, 31, v4
	v_xor_b32_e32 v20, s23, v4
	v_xor_b32_e32 v4, s22, v4
	v_and_b32_e32 v19, v19, v4
	v_lshlrev_b32_e32 v4, 29, v0
	v_cmp_gt_i64_e64 s[22:23], 0, v[3:4]
	v_not_b32_e32 v4, v4
	v_and_b32_e32 v1, exec_hi, v1
	v_ashrrev_i32_e32 v4, 31, v4
	v_and_b32_e32 v1, v1, v20
	v_xor_b32_e32 v20, s23, v4
	v_xor_b32_e32 v4, s22, v4
	v_and_b32_e32 v19, v19, v4
	v_lshlrev_b32_e32 v4, 28, v0
	v_mul_u32_u24_e32 v18, 20, v0
	v_cmp_gt_i64_e64 s[22:23], 0, v[3:4]
	v_not_b32_e32 v0, v4
	v_ashrrev_i32_e32 v0, 31, v0
	v_xor_b32_e32 v4, s23, v0
	v_xor_b32_e32 v0, s22, v0
	v_and_b32_e32 v1, v1, v20
	v_and_b32_e32 v0, v19, v0
	;; [unrolled: 1-line block ×3, first 2 shown]
	v_mbcnt_lo_u32_b32 v4, v0, 0
	v_mbcnt_hi_u32_b32 v19, v1, v4
	v_cmp_ne_u64_e64 s[22:23], 0, v[0:1]
	v_cmp_eq_u32_e64 s[24:25], 0, v19
	s_and_b64 s[24:25], s[22:23], s[24:25]
	ds_write_b32 v6, v3 offset:16
	s_waitcnt lgkmcnt(0)
	s_barrier
	; wave barrier
	s_and_saveexec_b64 s[22:23], s[24:25]
; %bb.5:                                ;   in Loop: Header=BB23_4 Depth=2
	v_bcnt_u32_b32 v0, v0, 0
	v_bcnt_u32_b32 v0, v1, v0
	v_add_u32_e32 v1, v2, v18
	ds_write_b32 v1, v0 offset:16
; %bb.6:                                ;   in Loop: Header=BB23_4 Depth=2
	s_or_b64 exec, exec, s[22:23]
	v_lshlrev_b32_e32 v0, s33, v11
	v_lshrrev_b32_e32 v0, 28, v0
	v_mad_u32_u24 v1, v0, 20, v2
	; wave barrier
	ds_read_b32 v20, v1 offset:16
	v_and_b32_e32 v1, 1, v0
	v_add_co_u32_e64 v4, s[22:23], -1, v1
	v_addc_co_u32_e64 v22, s[22:23], 0, -1, s[22:23]
	v_cmp_ne_u32_e64 s[22:23], 0, v1
	v_xor_b32_e32 v4, s22, v4
	v_xor_b32_e32 v1, s23, v22
	v_and_b32_e32 v22, exec_lo, v4
	v_lshlrev_b32_e32 v4, 30, v0
	v_cmp_gt_i64_e64 s[22:23], 0, v[3:4]
	v_not_b32_e32 v4, v4
	v_ashrrev_i32_e32 v4, 31, v4
	v_xor_b32_e32 v23, s23, v4
	v_xor_b32_e32 v4, s22, v4
	v_and_b32_e32 v22, v22, v4
	v_lshlrev_b32_e32 v4, 29, v0
	v_cmp_gt_i64_e64 s[22:23], 0, v[3:4]
	v_not_b32_e32 v4, v4
	v_and_b32_e32 v1, exec_hi, v1
	v_ashrrev_i32_e32 v4, 31, v4
	v_and_b32_e32 v1, v1, v23
	v_xor_b32_e32 v23, s23, v4
	v_xor_b32_e32 v4, s22, v4
	v_and_b32_e32 v22, v22, v4
	v_lshlrev_b32_e32 v4, 28, v0
	v_mul_u32_u24_e32 v21, 20, v0
	v_cmp_gt_i64_e64 s[22:23], 0, v[3:4]
	v_not_b32_e32 v0, v4
	v_ashrrev_i32_e32 v0, 31, v0
	v_xor_b32_e32 v4, s23, v0
	v_xor_b32_e32 v0, s22, v0
	v_and_b32_e32 v1, v1, v23
	v_and_b32_e32 v0, v22, v0
	v_and_b32_e32 v1, v1, v4
	v_mbcnt_lo_u32_b32 v4, v0, 0
	v_mbcnt_hi_u32_b32 v22, v1, v4
	v_cmp_ne_u64_e64 s[22:23], 0, v[0:1]
	v_cmp_eq_u32_e64 s[24:25], 0, v22
	s_and_b64 s[24:25], s[22:23], s[24:25]
	; wave barrier
	s_and_saveexec_b64 s[22:23], s[24:25]
	s_cbranch_execz .LBB23_8
; %bb.7:                                ;   in Loop: Header=BB23_4 Depth=2
	v_bcnt_u32_b32 v0, v0, 0
	v_bcnt_u32_b32 v0, v1, v0
	s_waitcnt lgkmcnt(0)
	v_add_u32_e32 v0, v20, v0
	v_add_u32_e32 v1, v2, v21
	ds_write_b32 v1, v0 offset:16
.LBB23_8:                               ;   in Loop: Header=BB23_4 Depth=2
	s_or_b64 exec, exec, s[22:23]
	v_lshlrev_b32_e32 v0, s33, v12
	v_lshrrev_b32_e32 v0, 28, v0
	v_mad_u32_u24 v1, v0, 20, v2
	; wave barrier
	ds_read_b32 v23, v1 offset:16
	v_and_b32_e32 v1, 1, v0
	v_add_co_u32_e64 v4, s[22:23], -1, v1
	v_addc_co_u32_e64 v25, s[22:23], 0, -1, s[22:23]
	v_cmp_ne_u32_e64 s[22:23], 0, v1
	v_xor_b32_e32 v4, s22, v4
	v_xor_b32_e32 v1, s23, v25
	v_and_b32_e32 v25, exec_lo, v4
	v_lshlrev_b32_e32 v4, 30, v0
	v_cmp_gt_i64_e64 s[22:23], 0, v[3:4]
	v_not_b32_e32 v4, v4
	v_ashrrev_i32_e32 v4, 31, v4
	v_xor_b32_e32 v26, s23, v4
	v_xor_b32_e32 v4, s22, v4
	v_and_b32_e32 v25, v25, v4
	v_lshlrev_b32_e32 v4, 29, v0
	v_cmp_gt_i64_e64 s[22:23], 0, v[3:4]
	v_not_b32_e32 v4, v4
	v_and_b32_e32 v1, exec_hi, v1
	v_ashrrev_i32_e32 v4, 31, v4
	v_and_b32_e32 v1, v1, v26
	v_xor_b32_e32 v26, s23, v4
	v_xor_b32_e32 v4, s22, v4
	v_and_b32_e32 v25, v25, v4
	v_lshlrev_b32_e32 v4, 28, v0
	v_mul_u32_u24_e32 v24, 20, v0
	v_cmp_gt_i64_e64 s[22:23], 0, v[3:4]
	v_not_b32_e32 v0, v4
	v_ashrrev_i32_e32 v0, 31, v0
	v_xor_b32_e32 v4, s23, v0
	v_xor_b32_e32 v0, s22, v0
	v_and_b32_e32 v1, v1, v26
	v_and_b32_e32 v0, v25, v0
	;; [unrolled: 1-line block ×3, first 2 shown]
	v_mbcnt_lo_u32_b32 v4, v0, 0
	v_mbcnt_hi_u32_b32 v25, v1, v4
	v_cmp_ne_u64_e64 s[22:23], 0, v[0:1]
	v_cmp_eq_u32_e64 s[24:25], 0, v25
	s_and_b64 s[24:25], s[22:23], s[24:25]
	; wave barrier
	s_and_saveexec_b64 s[22:23], s[24:25]
	s_cbranch_execz .LBB23_10
; %bb.9:                                ;   in Loop: Header=BB23_4 Depth=2
	v_bcnt_u32_b32 v0, v0, 0
	v_bcnt_u32_b32 v0, v1, v0
	s_waitcnt lgkmcnt(0)
	v_add_u32_e32 v0, v23, v0
	v_add_u32_e32 v1, v2, v24
	ds_write_b32 v1, v0 offset:16
.LBB23_10:                              ;   in Loop: Header=BB23_4 Depth=2
	s_or_b64 exec, exec, s[22:23]
	v_lshlrev_b32_e32 v0, s33, v13
	v_lshrrev_b32_e32 v0, 28, v0
	v_mad_u32_u24 v1, v0, 20, v2
	; wave barrier
	ds_read_b32 v26, v1 offset:16
	v_and_b32_e32 v1, 1, v0
	v_add_co_u32_e64 v4, s[22:23], -1, v1
	v_addc_co_u32_e64 v28, s[22:23], 0, -1, s[22:23]
	v_cmp_ne_u32_e64 s[22:23], 0, v1
	v_xor_b32_e32 v4, s22, v4
	v_xor_b32_e32 v1, s23, v28
	v_and_b32_e32 v28, exec_lo, v4
	v_lshlrev_b32_e32 v4, 30, v0
	v_cmp_gt_i64_e64 s[22:23], 0, v[3:4]
	v_not_b32_e32 v4, v4
	v_ashrrev_i32_e32 v4, 31, v4
	v_xor_b32_e32 v29, s23, v4
	v_xor_b32_e32 v4, s22, v4
	v_and_b32_e32 v28, v28, v4
	v_lshlrev_b32_e32 v4, 29, v0
	v_cmp_gt_i64_e64 s[22:23], 0, v[3:4]
	v_not_b32_e32 v4, v4
	v_and_b32_e32 v1, exec_hi, v1
	v_ashrrev_i32_e32 v4, 31, v4
	v_and_b32_e32 v1, v1, v29
	v_xor_b32_e32 v29, s23, v4
	v_xor_b32_e32 v4, s22, v4
	v_and_b32_e32 v28, v28, v4
	v_lshlrev_b32_e32 v4, 28, v0
	v_mul_u32_u24_e32 v27, 20, v0
	v_cmp_gt_i64_e64 s[22:23], 0, v[3:4]
	v_not_b32_e32 v0, v4
	v_ashrrev_i32_e32 v0, 31, v0
	v_xor_b32_e32 v4, s23, v0
	v_xor_b32_e32 v0, s22, v0
	v_and_b32_e32 v1, v1, v29
	v_and_b32_e32 v0, v28, v0
	v_and_b32_e32 v1, v1, v4
	v_mbcnt_lo_u32_b32 v4, v0, 0
	v_mbcnt_hi_u32_b32 v28, v1, v4
	v_cmp_ne_u64_e64 s[22:23], 0, v[0:1]
	v_cmp_eq_u32_e64 s[24:25], 0, v28
	s_and_b64 s[24:25], s[22:23], s[24:25]
	; wave barrier
	s_and_saveexec_b64 s[22:23], s[24:25]
	s_cbranch_execz .LBB23_12
; %bb.11:                               ;   in Loop: Header=BB23_4 Depth=2
	v_bcnt_u32_b32 v0, v0, 0
	v_bcnt_u32_b32 v0, v1, v0
	s_waitcnt lgkmcnt(0)
	v_add_u32_e32 v0, v26, v0
	v_add_u32_e32 v1, v2, v27
	ds_write_b32 v1, v0 offset:16
.LBB23_12:                              ;   in Loop: Header=BB23_4 Depth=2
	s_or_b64 exec, exec, s[22:23]
	v_lshlrev_b32_e32 v0, s33, v14
	v_lshrrev_b32_e32 v0, 28, v0
	v_mad_u32_u24 v1, v0, 20, v2
	; wave barrier
	ds_read_b32 v29, v1 offset:16
	v_and_b32_e32 v1, 1, v0
	v_add_co_u32_e64 v4, s[22:23], -1, v1
	v_addc_co_u32_e64 v31, s[22:23], 0, -1, s[22:23]
	v_cmp_ne_u32_e64 s[22:23], 0, v1
	v_xor_b32_e32 v4, s22, v4
	v_xor_b32_e32 v1, s23, v31
	v_and_b32_e32 v31, exec_lo, v4
	v_lshlrev_b32_e32 v4, 30, v0
	v_cmp_gt_i64_e64 s[22:23], 0, v[3:4]
	v_not_b32_e32 v4, v4
	v_ashrrev_i32_e32 v4, 31, v4
	v_xor_b32_e32 v32, s23, v4
	v_xor_b32_e32 v4, s22, v4
	v_and_b32_e32 v31, v31, v4
	v_lshlrev_b32_e32 v4, 29, v0
	v_cmp_gt_i64_e64 s[22:23], 0, v[3:4]
	v_not_b32_e32 v4, v4
	v_and_b32_e32 v1, exec_hi, v1
	v_ashrrev_i32_e32 v4, 31, v4
	v_and_b32_e32 v1, v1, v32
	v_xor_b32_e32 v32, s23, v4
	v_xor_b32_e32 v4, s22, v4
	v_and_b32_e32 v31, v31, v4
	v_lshlrev_b32_e32 v4, 28, v0
	v_mul_u32_u24_e32 v30, 20, v0
	v_cmp_gt_i64_e64 s[22:23], 0, v[3:4]
	v_not_b32_e32 v0, v4
	v_ashrrev_i32_e32 v0, 31, v0
	v_xor_b32_e32 v4, s23, v0
	v_xor_b32_e32 v0, s22, v0
	v_and_b32_e32 v1, v1, v32
	v_and_b32_e32 v0, v31, v0
	v_and_b32_e32 v1, v1, v4
	v_mbcnt_lo_u32_b32 v4, v0, 0
	v_mbcnt_hi_u32_b32 v31, v1, v4
	v_cmp_ne_u64_e64 s[22:23], 0, v[0:1]
	v_cmp_eq_u32_e64 s[24:25], 0, v31
	s_and_b64 s[24:25], s[22:23], s[24:25]
	; wave barrier
	s_and_saveexec_b64 s[22:23], s[24:25]
	s_cbranch_execz .LBB23_14
; %bb.13:                               ;   in Loop: Header=BB23_4 Depth=2
	v_bcnt_u32_b32 v0, v0, 0
	v_bcnt_u32_b32 v0, v1, v0
	s_waitcnt lgkmcnt(0)
	v_add_u32_e32 v0, v29, v0
	v_add_u32_e32 v1, v2, v30
	ds_write_b32 v1, v0 offset:16
.LBB23_14:                              ;   in Loop: Header=BB23_4 Depth=2
	;; [unrolled: 55-line block ×5, first 2 shown]
	s_or_b64 exec, exec, s[22:23]
	; wave barrier
	s_waitcnt lgkmcnt(0)
	s_barrier
	ds_read_b32 v0, v6 offset:16
	s_waitcnt lgkmcnt(0)
	s_nop 0
	v_mov_b32_dpp v1, v0 row_shr:1 row_mask:0xf bank_mask:0xf
	v_cndmask_b32_e64 v1, v1, 0, s[8:9]
	v_add_u32_e32 v0, v1, v0
	s_nop 1
	v_mov_b32_dpp v1, v0 row_shr:2 row_mask:0xf bank_mask:0xf
	v_cndmask_b32_e64 v1, 0, v1, s[10:11]
	v_add_u32_e32 v0, v0, v1
	s_nop 1
	v_mov_b32_dpp v1, v0 row_shr:4 row_mask:0xf bank_mask:0xf
	v_cndmask_b32_e64 v1, 0, v1, s[12:13]
	v_add_u32_e32 v0, v0, v1
	s_nop 1
	v_mov_b32_dpp v1, v0 row_shr:8 row_mask:0xf bank_mask:0xf
	v_cndmask_b32_e64 v1, 0, v1, s[14:15]
	v_add_u32_e32 v0, v0, v1
	s_nop 1
	v_mov_b32_dpp v1, v0 row_bcast:15 row_mask:0xf bank_mask:0xf
	v_cndmask_b32_e64 v1, v1, 0, s[16:17]
	v_add_u32_e32 v0, v0, v1
	s_nop 1
	v_mov_b32_dpp v1, v0 row_bcast:31 row_mask:0xf bank_mask:0xf
	v_cndmask_b32_e64 v1, 0, v1, s[4:5]
	v_add_u32_e32 v0, v0, v1
	s_and_saveexec_b64 s[22:23], s[2:3]
; %bb.21:                               ;   in Loop: Header=BB23_4 Depth=2
	ds_write_b32 v7, v0
; %bb.22:                               ;   in Loop: Header=BB23_4 Depth=2
	s_or_b64 exec, exec, s[22:23]
	s_waitcnt lgkmcnt(0)
	s_barrier
	s_and_saveexec_b64 s[22:23], vcc
	s_cbranch_execz .LBB23_24
; %bb.23:                               ;   in Loop: Header=BB23_4 Depth=2
	ds_read_b32 v1, v6
	s_waitcnt lgkmcnt(0)
	s_nop 0
	v_mov_b32_dpp v40, v1 row_shr:1 row_mask:0xf bank_mask:0xf
	v_cndmask_b32_e64 v40, v40, 0, s[18:19]
	v_add_u32_e32 v1, v40, v1
	s_nop 1
	v_mov_b32_dpp v40, v1 row_shr:2 row_mask:0xf bank_mask:0xf
	v_cndmask_b32_e64 v40, 0, v40, s[20:21]
	v_add_u32_e32 v1, v1, v40
	ds_write_b32 v6, v1
.LBB23_24:                              ;   in Loop: Header=BB23_4 Depth=2
	s_or_b64 exec, exec, s[22:23]
	v_mov_b32_e32 v1, 0
	s_waitcnt lgkmcnt(0)
	s_barrier
	s_and_saveexec_b64 s[22:23], s[0:1]
	s_cbranch_execz .LBB23_3
; %bb.25:                               ;   in Loop: Header=BB23_4 Depth=2
	ds_read_b32 v1, v8
	s_branch .LBB23_3
.LBB23_26:
	v_add_u32_e32 v0, v2, v24
	v_add_u32_e32 v1, v2, v21
	v_add_u32_e32 v3, v2, v18
	ds_read_b32 v1, v1 offset:16
	ds_read_b32 v3, v3 offset:16
	;; [unrolled: 1-line block ×3, first 2 shown]
	v_add_u32_e32 v9, v2, v33
	s_add_u32 s0, s26, s28
	s_addc_u32 s1, s27, s29
	s_waitcnt lgkmcnt(2)
	v_add3_u32 v7, v22, v20, v1
	v_add_u32_e32 v1, v2, v27
	s_waitcnt lgkmcnt(0)
	v_add3_u32 v8, v25, v23, v0
	v_add_u32_e32 v6, v3, v19
	v_add_u32_e32 v0, v2, v39
	;; [unrolled: 1-line block ×4, first 2 shown]
	ds_read_b32 v1, v1 offset:16
	ds_read_b32 v2, v2 offset:16
	;; [unrolled: 1-line block ×5, first 2 shown]
	s_waitcnt lgkmcnt(3)
	v_add3_u32 v0, v31, v29, v2
	v_add3_u32 v9, v28, v26, v1
	s_waitcnt lgkmcnt(1)
	v_add3_u32 v2, v37, v35, v3
	s_waitcnt lgkmcnt(0)
	v_add3_u32 v3, v4, v38, v11
	v_lshlrev_b32_e32 v4, 2, v5
	v_add3_u32 v1, v34, v32, v10
	global_store_dwordx4 v4, v[6:9], s[0:1]
	global_store_dwordx4 v4, v[0:3], s[0:1] offset:16
	s_endpgm
	.section	.rodata,"a",@progbits
	.p2align	6, 0x0
	.amdhsa_kernel _Z11rank_kernelIiLj4ELb0EL18RadixRankAlgorithm2ELj256ELj8ELj10EEvPKT_Pi
		.amdhsa_group_segment_fixed_size 1040
		.amdhsa_private_segment_fixed_size 0
		.amdhsa_kernarg_size 272
		.amdhsa_user_sgpr_count 6
		.amdhsa_user_sgpr_private_segment_buffer 1
		.amdhsa_user_sgpr_dispatch_ptr 0
		.amdhsa_user_sgpr_queue_ptr 0
		.amdhsa_user_sgpr_kernarg_segment_ptr 1
		.amdhsa_user_sgpr_dispatch_id 0
		.amdhsa_user_sgpr_flat_scratch_init 0
		.amdhsa_user_sgpr_private_segment_size 0
		.amdhsa_uses_dynamic_stack 0
		.amdhsa_system_sgpr_private_segment_wavefront_offset 0
		.amdhsa_system_sgpr_workgroup_id_x 1
		.amdhsa_system_sgpr_workgroup_id_y 0
		.amdhsa_system_sgpr_workgroup_id_z 0
		.amdhsa_system_sgpr_workgroup_info 0
		.amdhsa_system_vgpr_workitem_id 2
		.amdhsa_next_free_vgpr 42
		.amdhsa_next_free_sgpr 34
		.amdhsa_reserve_vcc 1
		.amdhsa_reserve_flat_scratch 0
		.amdhsa_float_round_mode_32 0
		.amdhsa_float_round_mode_16_64 0
		.amdhsa_float_denorm_mode_32 3
		.amdhsa_float_denorm_mode_16_64 3
		.amdhsa_dx10_clamp 1
		.amdhsa_ieee_mode 1
		.amdhsa_fp16_overflow 0
		.amdhsa_exception_fp_ieee_invalid_op 0
		.amdhsa_exception_fp_denorm_src 0
		.amdhsa_exception_fp_ieee_div_zero 0
		.amdhsa_exception_fp_ieee_overflow 0
		.amdhsa_exception_fp_ieee_underflow 0
		.amdhsa_exception_fp_ieee_inexact 0
		.amdhsa_exception_int_div_zero 0
	.end_amdhsa_kernel
	.section	.text._Z11rank_kernelIiLj4ELb0EL18RadixRankAlgorithm2ELj256ELj8ELj10EEvPKT_Pi,"axG",@progbits,_Z11rank_kernelIiLj4ELb0EL18RadixRankAlgorithm2ELj256ELj8ELj10EEvPKT_Pi,comdat
.Lfunc_end23:
	.size	_Z11rank_kernelIiLj4ELb0EL18RadixRankAlgorithm2ELj256ELj8ELj10EEvPKT_Pi, .Lfunc_end23-_Z11rank_kernelIiLj4ELb0EL18RadixRankAlgorithm2ELj256ELj8ELj10EEvPKT_Pi
                                        ; -- End function
	.set _Z11rank_kernelIiLj4ELb0EL18RadixRankAlgorithm2ELj256ELj8ELj10EEvPKT_Pi.num_vgpr, 42
	.set _Z11rank_kernelIiLj4ELb0EL18RadixRankAlgorithm2ELj256ELj8ELj10EEvPKT_Pi.num_agpr, 0
	.set _Z11rank_kernelIiLj4ELb0EL18RadixRankAlgorithm2ELj256ELj8ELj10EEvPKT_Pi.numbered_sgpr, 34
	.set _Z11rank_kernelIiLj4ELb0EL18RadixRankAlgorithm2ELj256ELj8ELj10EEvPKT_Pi.num_named_barrier, 0
	.set _Z11rank_kernelIiLj4ELb0EL18RadixRankAlgorithm2ELj256ELj8ELj10EEvPKT_Pi.private_seg_size, 0
	.set _Z11rank_kernelIiLj4ELb0EL18RadixRankAlgorithm2ELj256ELj8ELj10EEvPKT_Pi.uses_vcc, 1
	.set _Z11rank_kernelIiLj4ELb0EL18RadixRankAlgorithm2ELj256ELj8ELj10EEvPKT_Pi.uses_flat_scratch, 0
	.set _Z11rank_kernelIiLj4ELb0EL18RadixRankAlgorithm2ELj256ELj8ELj10EEvPKT_Pi.has_dyn_sized_stack, 0
	.set _Z11rank_kernelIiLj4ELb0EL18RadixRankAlgorithm2ELj256ELj8ELj10EEvPKT_Pi.has_recursion, 0
	.set _Z11rank_kernelIiLj4ELb0EL18RadixRankAlgorithm2ELj256ELj8ELj10EEvPKT_Pi.has_indirect_call, 0
	.section	.AMDGPU.csdata,"",@progbits
; Kernel info:
; codeLenInByte = 3044
; TotalNumSgprs: 38
; NumVgprs: 42
; ScratchSize: 0
; MemoryBound: 0
; FloatMode: 240
; IeeeMode: 1
; LDSByteSize: 1040 bytes/workgroup (compile time only)
; SGPRBlocks: 4
; VGPRBlocks: 10
; NumSGPRsForWavesPerEU: 38
; NumVGPRsForWavesPerEU: 42
; Occupancy: 5
; WaveLimiterHint : 0
; COMPUTE_PGM_RSRC2:SCRATCH_EN: 0
; COMPUTE_PGM_RSRC2:USER_SGPR: 6
; COMPUTE_PGM_RSRC2:TRAP_HANDLER: 0
; COMPUTE_PGM_RSRC2:TGID_X_EN: 1
; COMPUTE_PGM_RSRC2:TGID_Y_EN: 0
; COMPUTE_PGM_RSRC2:TGID_Z_EN: 0
; COMPUTE_PGM_RSRC2:TIDIG_COMP_CNT: 2
	.section	.text._Z11rank_kernelIiLj4ELb0EL18RadixRankAlgorithm0ELj256ELj16ELj10EEvPKT_Pi,"axG",@progbits,_Z11rank_kernelIiLj4ELb0EL18RadixRankAlgorithm0ELj256ELj16ELj10EEvPKT_Pi,comdat
	.protected	_Z11rank_kernelIiLj4ELb0EL18RadixRankAlgorithm0ELj256ELj16ELj10EEvPKT_Pi ; -- Begin function _Z11rank_kernelIiLj4ELb0EL18RadixRankAlgorithm0ELj256ELj16ELj10EEvPKT_Pi
	.globl	_Z11rank_kernelIiLj4ELb0EL18RadixRankAlgorithm0ELj256ELj16ELj10EEvPKT_Pi
	.p2align	8
	.type	_Z11rank_kernelIiLj4ELb0EL18RadixRankAlgorithm0ELj256ELj16ELj10EEvPKT_Pi,@function
_Z11rank_kernelIiLj4ELb0EL18RadixRankAlgorithm0ELj256ELj16ELj10EEvPKT_Pi: ; @_Z11rank_kernelIiLj4ELb0EL18RadixRankAlgorithm0ELj256ELj16ELj10EEvPKT_Pi
; %bb.0:
	s_load_dwordx4 s[24:27], s[4:5], 0x0
	s_lshl_b32 s30, s6, 12
	s_mov_b32 s31, 0
	s_lshl_b64 s[28:29], s[30:31], 2
	v_lshlrev_b32_e32 v1, 6, v0
	s_waitcnt lgkmcnt(0)
	s_add_u32 s0, s24, s28
	s_addc_u32 s1, s25, s29
	global_load_dwordx4 v[8:11], v1, s[0:1]
	global_load_dwordx4 v[13:16], v1, s[0:1] offset:16
	global_load_dwordx4 v[17:20], v1, s[0:1] offset:32
	;; [unrolled: 1-line block ×3, first 2 shown]
	v_mbcnt_lo_u32_b32 v4, -1, 0
	v_mbcnt_hi_u32_b32 v7, -1, v4
	v_subrev_co_u32_e64 v28, s[6:7], 1, v7
	v_and_b32_e32 v29, 64, v7
	v_or_b32_e32 v6, 63, v0
	v_lshrrev_b32_e32 v12, 4, v0
	v_cmp_lt_i32_e64 s[18:19], v28, v29
	v_lshlrev_b32_e32 v3, 5, v0
	v_mul_i32_i24_e32 v25, 0xffffffe4, v0
	v_and_b32_e32 v26, 15, v7
	v_and_b32_e32 v27, 16, v7
	v_cmp_lt_u32_e64 s[2:3], 31, v7
	v_cmp_eq_u32_e64 s[4:5], v0, v6
	v_and_b32_e32 v6, 12, v12
	v_and_b32_e32 v12, 3, v7
	v_cndmask_b32_e64 v7, v28, v7, s[18:19]
	v_mov_b32_e32 v2, 0
	s_movk_i32 s30, 0x6ff
	s_movk_i32 s33, 0x700
	v_lshlrev_b32_e32 v1, 4, v0
	v_cmp_gt_u32_e32 vcc, 4, v0
	v_cmp_lt_u32_e64 s[0:1], 63, v0
	v_lshlrev_b32_e32 v4, 2, v0
	v_or_b32_e32 v5, 0xffffff00, v0
	v_cmp_eq_u32_e64 s[8:9], 0, v26
	v_cmp_lt_u32_e64 s[10:11], 1, v26
	v_cmp_lt_u32_e64 s[12:13], 3, v26
	;; [unrolled: 1-line block ×3, first 2 shown]
	v_cmp_eq_u32_e64 s[16:17], 0, v27
	v_cmp_eq_u32_e64 s[18:19], 0, v12
	v_cmp_lt_u32_e64 s[20:21], 1, v12
	v_lshlrev_b32_e32 v7, 2, v7
	v_add_u32_e32 v25, v3, v25
	s_waitcnt vmcnt(3)
	v_xor_b32_e32 v8, 0x80000000, v8
	v_xor_b32_e32 v9, 0x80000000, v9
	v_xor_b32_e32 v10, 0x80000000, v10
	v_xor_b32_e32 v11, 0x80000000, v11
	s_waitcnt vmcnt(2)
	v_xor_b32_e32 v12, 0x80000000, v13
	v_xor_b32_e32 v14, 0x80000000, v14
	v_xor_b32_e32 v15, 0x80000000, v15
	v_xor_b32_e32 v16, 0x80000000, v16
	;; [unrolled: 5-line block ×4, first 2 shown]
	s_branch .LBB24_2
.LBB24_1:                               ;   in Loop: Header=BB24_2 Depth=1
	s_add_i32 s31, s31, 1
	s_cmp_eq_u32 s31, 10
	s_cbranch_scc1 .LBB24_12
.LBB24_2:                               ; =>This Loop Header: Depth=1
                                        ;     Child Loop BB24_4 Depth 2
                                        ;       Child Loop BB24_5 Depth 3
	s_mov_b32 s34, 0
	s_branch .LBB24_4
.LBB24_3:                               ;   in Loop: Header=BB24_4 Depth=2
	s_or_b64 exec, exec, s[22:23]
	s_waitcnt lgkmcnt(0)
	v_add_u32_e32 v57, v58, v57
	ds_bpermute_b32 v57, v7, v57
	s_add_i32 s22, s34, 4
	s_cmp_lt_u32 s34, 28
	s_mov_b32 s34, s22
	s_waitcnt lgkmcnt(0)
	v_cndmask_b32_e64 v57, v57, v58, s[6:7]
	ds_read_b32 v58, v2 offset:8204
	s_waitcnt lgkmcnt(0)
	v_lshl_add_u32 v61, v58, 16, v57
	ds_read2_b64 v[57:60], v3 offset1:1
	s_waitcnt lgkmcnt(0)
	v_add_u32_e32 v62, v61, v57
	v_add_u32_e32 v57, v58, v62
	;; [unrolled: 1-line block ×3, first 2 shown]
	ds_write2_b64 v3, v[61:62], v[57:58] offset1:1
	v_add_u32_e32 v57, v60, v58
	ds_read_b64 v[58:59], v3 offset:16
	ds_read_b32 v60, v3 offset:24
	s_waitcnt lgkmcnt(1)
	v_add_u32_e32 v58, v58, v57
	v_add_u32_e32 v59, v59, v58
	s_waitcnt lgkmcnt(0)
	v_add_u32_e32 v60, v60, v59
	ds_write2_b64 v3, v[57:58], v[59:60] offset0:2 offset1:3
	s_waitcnt lgkmcnt(0)
	s_barrier
	s_cbranch_scc0 .LBB24_1
.LBB24_4:                               ;   Parent Loop BB24_2 Depth=1
                                        ; =>  This Loop Header: Depth=2
                                        ;       Child Loop BB24_5 Depth 3
	s_mov_b64 s[24:25], 0
	v_mov_b32_e32 v13, v5
	v_mov_b32_e32 v26, v4
.LBB24_5:                               ;   Parent Loop BB24_2 Depth=1
                                        ;     Parent Loop BB24_4 Depth=2
                                        ; =>    This Inner Loop Header: Depth=3
	v_add_u32_e32 v13, 0x100, v13
	v_cmp_lt_u32_e64 s[22:23], s30, v13
	ds_write_b32 v26, v2
	s_or_b64 s[24:25], s[22:23], s[24:25]
	v_add_u32_e32 v26, 0x400, v26
	s_andn2_b64 exec, exec, s[24:25]
	s_cbranch_execnz .LBB24_5
; %bb.6:                                ;   in Loop: Header=BB24_4 Depth=2
	s_or_b64 exec, exec, s[24:25]
	s_sub_i32 s22, 28, s34
	v_lshlrev_b32_e32 v13, s22, v8
	v_lshrrev_b32_e32 v26, 20, v13
	v_and_or_b32 v26, v26, s33, v0
	v_alignbit_b32 v13, v26, v13, 31
	v_lshlrev_b32_e32 v26, 1, v13
	ds_read_u16 v13, v26
	v_lshlrev_b32_e32 v27, s22, v9
	v_lshrrev_b32_e32 v28, 20, v27
	v_and_or_b32 v28, v28, s33, v0
	v_alignbit_b32 v27, v28, v27, 31
	s_waitcnt lgkmcnt(0)
	v_add_u16_e32 v28, 1, v13
	ds_write_b16 v26, v28
	v_lshlrev_b32_e32 v28, 1, v27
	ds_read_u16 v27, v28
	v_lshlrev_b32_e32 v29, s22, v10
	v_lshrrev_b32_e32 v30, 20, v29
	v_and_or_b32 v30, v30, s33, v0
	v_alignbit_b32 v29, v30, v29, 31
	s_waitcnt lgkmcnt(0)
	v_add_u16_e32 v31, 1, v27
	ds_write_b16 v28, v31
	v_lshlrev_b32_e32 v30, 1, v29
	ds_read_u16 v29, v30
	v_lshlrev_b32_e32 v31, s22, v11
	v_lshrrev_b32_e32 v32, 20, v31
	v_and_or_b32 v32, v32, s33, v0
	v_alignbit_b32 v31, v32, v31, 31
	s_waitcnt lgkmcnt(0)
	v_add_u16_e32 v33, 1, v29
	ds_write_b16 v30, v33
	v_lshlrev_b32_e32 v32, 1, v31
	ds_read_u16 v31, v32
	v_lshlrev_b32_e32 v33, s22, v12
	s_waitcnt lgkmcnt(0)
	v_add_u16_e32 v34, 1, v31
	ds_write_b16 v32, v34
	v_lshrrev_b32_e32 v34, 20, v33
	v_and_or_b32 v34, v34, s33, v0
	v_alignbit_b32 v33, v34, v33, 31
	v_lshlrev_b32_e32 v35, 1, v33
	ds_read_u16 v33, v35
	s_waitcnt lgkmcnt(0)
	v_add_u16_e32 v34, 1, v33
	ds_write_b16 v35, v34
	v_lshlrev_b32_e32 v34, s22, v14
	v_lshrrev_b32_e32 v36, 20, v34
	v_and_or_b32 v36, v36, s33, v0
	v_alignbit_b32 v34, v36, v34, 31
	v_lshlrev_b32_e32 v37, 1, v34
	ds_read_u16 v34, v37
	s_waitcnt lgkmcnt(0)
	v_add_u16_e32 v36, 1, v34
	ds_write_b16 v37, v36
	v_lshlrev_b32_e32 v36, s22, v15
	;; [unrolled: 9-line block ×11, first 2 shown]
	v_lshrrev_b32_e32 v56, 20, v54
	v_and_or_b32 v56, v56, s33, v0
	v_alignbit_b32 v54, v56, v54, 31
	v_lshlrev_b32_e32 v56, 1, v54
	ds_read_u16 v54, v56
	s_waitcnt lgkmcnt(0)
	v_add_u16_e32 v57, 1, v54
	ds_write_b16 v56, v57
	s_waitcnt lgkmcnt(0)
	s_barrier
	ds_read2_b64 v[57:60], v3 offset1:1
	s_waitcnt lgkmcnt(0)
	v_add_u32_e32 v57, v58, v57
	v_add3_u32 v61, v57, v59, v60
	ds_read2_b64 v[57:60], v3 offset0:2 offset1:3
	s_waitcnt lgkmcnt(0)
	v_add3_u32 v57, v61, v57, v58
	v_add3_u32 v57, v57, v59, v60
	s_nop 1
	v_mov_b32_dpp v58, v57 row_shr:1 row_mask:0xf bank_mask:0xf
	v_cndmask_b32_e64 v58, v58, 0, s[8:9]
	v_add_u32_e32 v57, v58, v57
	s_nop 1
	v_mov_b32_dpp v58, v57 row_shr:2 row_mask:0xf bank_mask:0xf
	v_cndmask_b32_e64 v58, 0, v58, s[10:11]
	v_add_u32_e32 v57, v57, v58
	;; [unrolled: 4-line block ×4, first 2 shown]
	s_nop 1
	v_mov_b32_dpp v58, v57 row_bcast:15 row_mask:0xf bank_mask:0xf
	v_cndmask_b32_e64 v58, v58, 0, s[16:17]
	v_add_u32_e32 v57, v57, v58
	s_nop 1
	v_mov_b32_dpp v58, v57 row_bcast:31 row_mask:0xf bank_mask:0xf
	v_cndmask_b32_e64 v58, 0, v58, s[2:3]
	v_add_u32_e32 v57, v57, v58
	s_and_saveexec_b64 s[22:23], s[4:5]
; %bb.7:                                ;   in Loop: Header=BB24_4 Depth=2
	ds_write_b32 v6, v57 offset:8192
; %bb.8:                                ;   in Loop: Header=BB24_4 Depth=2
	s_or_b64 exec, exec, s[22:23]
	s_waitcnt lgkmcnt(0)
	s_barrier
	s_and_saveexec_b64 s[22:23], vcc
	s_cbranch_execz .LBB24_10
; %bb.9:                                ;   in Loop: Header=BB24_4 Depth=2
	ds_read_b32 v58, v25 offset:8192
	s_waitcnt lgkmcnt(0)
	s_nop 0
	v_mov_b32_dpp v59, v58 row_shr:1 row_mask:0xf bank_mask:0xf
	v_cndmask_b32_e64 v59, v59, 0, s[18:19]
	v_add_u32_e32 v58, v59, v58
	s_nop 1
	v_mov_b32_dpp v59, v58 row_shr:2 row_mask:0xf bank_mask:0xf
	v_cndmask_b32_e64 v59, 0, v59, s[20:21]
	v_add_u32_e32 v58, v58, v59
	ds_write_b32 v25, v58 offset:8192
.LBB24_10:                              ;   in Loop: Header=BB24_4 Depth=2
	s_or_b64 exec, exec, s[22:23]
	v_mov_b32_e32 v58, 0
	s_waitcnt lgkmcnt(0)
	s_barrier
	s_and_saveexec_b64 s[22:23], s[0:1]
	s_cbranch_execz .LBB24_3
; %bb.11:                               ;   in Loop: Header=BB24_4 Depth=2
	ds_read_b32 v58, v6 offset:8188
	s_branch .LBB24_3
.LBB24_12:
	ds_read_u16 v0, v56
	ds_read_u16 v2, v55
	;; [unrolled: 1-line block ×4, first 2 shown]
	s_add_u32 s0, s26, s28
	s_waitcnt lgkmcnt(3)
	v_add_u32_sdwa v5, v0, v54 dst_sel:DWORD dst_unused:UNUSED_PAD src0_sel:DWORD src1_sel:WORD_0
	ds_read_u16 v0, v49
	ds_read_u16 v7, v47
	;; [unrolled: 1-line block ×12, first 2 shown]
	s_waitcnt lgkmcnt(11)
	v_add_u32_sdwa v9, v0, v46 dst_sel:DWORD dst_unused:UNUSED_PAD src0_sel:DWORD src1_sel:WORD_0
	s_waitcnt lgkmcnt(6)
	v_add_u32_sdwa v16, v14, v36 dst_sel:DWORD dst_unused:UNUSED_PAD src0_sel:DWORD src1_sel:WORD_0
	;; [unrolled: 2-line block ×7, first 2 shown]
	s_addc_u32 s1, s27, s29
	v_lshlrev_b32_e32 v0, 2, v1
	v_add_u32_sdwa v4, v2, v52 dst_sel:DWORD dst_unused:UNUSED_PAD src0_sel:DWORD src1_sel:WORD_0
	v_add_u32_sdwa v3, v3, v51 dst_sel:DWORD dst_unused:UNUSED_PAD src0_sel:DWORD src1_sel:WORD_0
	;; [unrolled: 1-line block ×8, first 2 shown]
	global_store_dwordx4 v0, v[18:21], s[0:1]
	global_store_dwordx4 v0, v[14:17], s[0:1] offset:16
	global_store_dwordx4 v0, v[6:9], s[0:1] offset:32
	;; [unrolled: 1-line block ×3, first 2 shown]
	s_endpgm
	.section	.rodata,"a",@progbits
	.p2align	6, 0x0
	.amdhsa_kernel _Z11rank_kernelIiLj4ELb0EL18RadixRankAlgorithm0ELj256ELj16ELj10EEvPKT_Pi
		.amdhsa_group_segment_fixed_size 8208
		.amdhsa_private_segment_fixed_size 0
		.amdhsa_kernarg_size 16
		.amdhsa_user_sgpr_count 6
		.amdhsa_user_sgpr_private_segment_buffer 1
		.amdhsa_user_sgpr_dispatch_ptr 0
		.amdhsa_user_sgpr_queue_ptr 0
		.amdhsa_user_sgpr_kernarg_segment_ptr 1
		.amdhsa_user_sgpr_dispatch_id 0
		.amdhsa_user_sgpr_flat_scratch_init 0
		.amdhsa_user_sgpr_private_segment_size 0
		.amdhsa_uses_dynamic_stack 0
		.amdhsa_system_sgpr_private_segment_wavefront_offset 0
		.amdhsa_system_sgpr_workgroup_id_x 1
		.amdhsa_system_sgpr_workgroup_id_y 0
		.amdhsa_system_sgpr_workgroup_id_z 0
		.amdhsa_system_sgpr_workgroup_info 0
		.amdhsa_system_vgpr_workitem_id 0
		.amdhsa_next_free_vgpr 63
		.amdhsa_next_free_sgpr 77
		.amdhsa_reserve_vcc 1
		.amdhsa_reserve_flat_scratch 0
		.amdhsa_float_round_mode_32 0
		.amdhsa_float_round_mode_16_64 0
		.amdhsa_float_denorm_mode_32 3
		.amdhsa_float_denorm_mode_16_64 3
		.amdhsa_dx10_clamp 1
		.amdhsa_ieee_mode 1
		.amdhsa_fp16_overflow 0
		.amdhsa_exception_fp_ieee_invalid_op 0
		.amdhsa_exception_fp_denorm_src 0
		.amdhsa_exception_fp_ieee_div_zero 0
		.amdhsa_exception_fp_ieee_overflow 0
		.amdhsa_exception_fp_ieee_underflow 0
		.amdhsa_exception_fp_ieee_inexact 0
		.amdhsa_exception_int_div_zero 0
	.end_amdhsa_kernel
	.section	.text._Z11rank_kernelIiLj4ELb0EL18RadixRankAlgorithm0ELj256ELj16ELj10EEvPKT_Pi,"axG",@progbits,_Z11rank_kernelIiLj4ELb0EL18RadixRankAlgorithm0ELj256ELj16ELj10EEvPKT_Pi,comdat
.Lfunc_end24:
	.size	_Z11rank_kernelIiLj4ELb0EL18RadixRankAlgorithm0ELj256ELj16ELj10EEvPKT_Pi, .Lfunc_end24-_Z11rank_kernelIiLj4ELb0EL18RadixRankAlgorithm0ELj256ELj16ELj10EEvPKT_Pi
                                        ; -- End function
	.set _Z11rank_kernelIiLj4ELb0EL18RadixRankAlgorithm0ELj256ELj16ELj10EEvPKT_Pi.num_vgpr, 63
	.set _Z11rank_kernelIiLj4ELb0EL18RadixRankAlgorithm0ELj256ELj16ELj10EEvPKT_Pi.num_agpr, 0
	.set _Z11rank_kernelIiLj4ELb0EL18RadixRankAlgorithm0ELj256ELj16ELj10EEvPKT_Pi.numbered_sgpr, 35
	.set _Z11rank_kernelIiLj4ELb0EL18RadixRankAlgorithm0ELj256ELj16ELj10EEvPKT_Pi.num_named_barrier, 0
	.set _Z11rank_kernelIiLj4ELb0EL18RadixRankAlgorithm0ELj256ELj16ELj10EEvPKT_Pi.private_seg_size, 0
	.set _Z11rank_kernelIiLj4ELb0EL18RadixRankAlgorithm0ELj256ELj16ELj10EEvPKT_Pi.uses_vcc, 1
	.set _Z11rank_kernelIiLj4ELb0EL18RadixRankAlgorithm0ELj256ELj16ELj10EEvPKT_Pi.uses_flat_scratch, 0
	.set _Z11rank_kernelIiLj4ELb0EL18RadixRankAlgorithm0ELj256ELj16ELj10EEvPKT_Pi.has_dyn_sized_stack, 0
	.set _Z11rank_kernelIiLj4ELb0EL18RadixRankAlgorithm0ELj256ELj16ELj10EEvPKT_Pi.has_recursion, 0
	.set _Z11rank_kernelIiLj4ELb0EL18RadixRankAlgorithm0ELj256ELj16ELj10EEvPKT_Pi.has_indirect_call, 0
	.section	.AMDGPU.csdata,"",@progbits
; Kernel info:
; codeLenInByte = 2164
; TotalNumSgprs: 39
; NumVgprs: 63
; ScratchSize: 0
; MemoryBound: 0
; FloatMode: 240
; IeeeMode: 1
; LDSByteSize: 8208 bytes/workgroup (compile time only)
; SGPRBlocks: 10
; VGPRBlocks: 15
; NumSGPRsForWavesPerEU: 81
; NumVGPRsForWavesPerEU: 63
; Occupancy: 4
; WaveLimiterHint : 0
; COMPUTE_PGM_RSRC2:SCRATCH_EN: 0
; COMPUTE_PGM_RSRC2:USER_SGPR: 6
; COMPUTE_PGM_RSRC2:TRAP_HANDLER: 0
; COMPUTE_PGM_RSRC2:TGID_X_EN: 1
; COMPUTE_PGM_RSRC2:TGID_Y_EN: 0
; COMPUTE_PGM_RSRC2:TGID_Z_EN: 0
; COMPUTE_PGM_RSRC2:TIDIG_COMP_CNT: 0
	.section	.text._Z11rank_kernelIiLj4ELb0EL18RadixRankAlgorithm1ELj256ELj16ELj10EEvPKT_Pi,"axG",@progbits,_Z11rank_kernelIiLj4ELb0EL18RadixRankAlgorithm1ELj256ELj16ELj10EEvPKT_Pi,comdat
	.protected	_Z11rank_kernelIiLj4ELb0EL18RadixRankAlgorithm1ELj256ELj16ELj10EEvPKT_Pi ; -- Begin function _Z11rank_kernelIiLj4ELb0EL18RadixRankAlgorithm1ELj256ELj16ELj10EEvPKT_Pi
	.globl	_Z11rank_kernelIiLj4ELb0EL18RadixRankAlgorithm1ELj256ELj16ELj10EEvPKT_Pi
	.p2align	8
	.type	_Z11rank_kernelIiLj4ELb0EL18RadixRankAlgorithm1ELj256ELj16ELj10EEvPKT_Pi,@function
_Z11rank_kernelIiLj4ELb0EL18RadixRankAlgorithm1ELj256ELj16ELj10EEvPKT_Pi: ; @_Z11rank_kernelIiLj4ELb0EL18RadixRankAlgorithm1ELj256ELj16ELj10EEvPKT_Pi
; %bb.0:
	s_load_dwordx4 s[24:27], s[4:5], 0x0
	s_lshl_b32 s30, s6, 12
	s_mov_b32 s31, 0
	s_lshl_b64 s[28:29], s[30:31], 2
	v_lshlrev_b32_e32 v9, 6, v0
	s_waitcnt lgkmcnt(0)
	s_add_u32 s0, s24, s28
	s_addc_u32 s1, s25, s29
	global_load_dwordx4 v[1:4], v9, s[0:1]
	global_load_dwordx4 v[5:8], v9, s[0:1] offset:16
	global_load_dwordx4 v[25:28], v9, s[0:1] offset:32
	;; [unrolled: 1-line block ×3, first 2 shown]
	v_mbcnt_lo_u32_b32 v12, -1, 0
	v_mbcnt_hi_u32_b32 v15, -1, v12
	v_subrev_co_u32_e64 v19, s[6:7], 1, v15
	v_and_b32_e32 v20, 64, v15
	v_or_b32_e32 v14, 63, v0
	v_lshrrev_b32_e32 v16, 4, v0
	v_cmp_lt_i32_e64 s[18:19], v19, v20
	v_lshlrev_b32_e32 v11, 5, v0
	v_mul_i32_i24_e32 v21, 0xffffffe4, v0
	v_and_b32_e32 v17, 15, v15
	v_and_b32_e32 v18, 16, v15
	v_cmp_lt_u32_e64 s[2:3], 31, v15
	v_cmp_eq_u32_e64 s[4:5], v0, v14
	v_and_b32_e32 v14, 12, v16
	v_and_b32_e32 v16, 3, v15
	v_cndmask_b32_e64 v15, v19, v15, s[18:19]
	v_mov_b32_e32 v10, 0
	s_movk_i32 s30, 0x6ff
	s_movk_i32 s33, 0x700
	v_lshlrev_b32_e32 v9, 4, v0
	v_cmp_gt_u32_e32 vcc, 4, v0
	v_cmp_lt_u32_e64 s[0:1], 63, v0
	v_lshlrev_b32_e32 v12, 2, v0
	v_or_b32_e32 v13, 0xffffff00, v0
	v_cmp_eq_u32_e64 s[8:9], 0, v17
	v_cmp_lt_u32_e64 s[10:11], 1, v17
	v_cmp_lt_u32_e64 s[12:13], 3, v17
	;; [unrolled: 1-line block ×3, first 2 shown]
	v_cmp_eq_u32_e64 s[16:17], 0, v18
	v_cmp_eq_u32_e64 s[18:19], 0, v16
	v_cmp_lt_u32_e64 s[20:21], 1, v16
	v_lshlrev_b32_e32 v15, 2, v15
	v_add_u32_e32 v34, v11, v21
	s_waitcnt vmcnt(3)
	v_xor_b32_e32 v16, 0x80000000, v1
	v_xor_b32_e32 v17, 0x80000000, v2
	v_xor_b32_e32 v18, 0x80000000, v3
	v_xor_b32_e32 v19, 0x80000000, v4
	s_waitcnt vmcnt(2)
	v_xor_b32_e32 v20, 0x80000000, v5
	v_xor_b32_e32 v22, 0x80000000, v6
	v_xor_b32_e32 v23, 0x80000000, v7
	v_xor_b32_e32 v24, 0x80000000, v8
	;; [unrolled: 5-line block ×4, first 2 shown]
	s_branch .LBB25_2
.LBB25_1:                               ;   in Loop: Header=BB25_2 Depth=1
	s_add_i32 s31, s31, 1
	s_cmp_eq_u32 s31, 10
	s_cbranch_scc1 .LBB25_12
.LBB25_2:                               ; =>This Loop Header: Depth=1
                                        ;     Child Loop BB25_4 Depth 2
                                        ;       Child Loop BB25_5 Depth 3
	s_mov_b32 s34, 0
	s_branch .LBB25_4
.LBB25_3:                               ;   in Loop: Header=BB25_4 Depth=2
	s_or_b64 exec, exec, s[22:23]
	s_waitcnt lgkmcnt(0)
	v_add_u32_e32 v4, v65, v4
	ds_bpermute_b32 v4, v15, v4
	ds_read_b32 v66, v10 offset:8204
	s_add_i32 s22, s34, 4
	s_cmp_lt_u32 s34, 28
	s_mov_b32 s34, s22
	s_waitcnt lgkmcnt(1)
	v_cndmask_b32_e64 v4, v4, v65, s[6:7]
	s_waitcnt lgkmcnt(0)
	v_lshl_add_u32 v4, v66, 16, v4
	v_add_u32_e32 v5, v4, v5
	v_add_u32_e32 v6, v5, v6
	v_add_u32_e32 v7, v6, v7
	v_add_u32_e32 v65, v7, v8
	v_add_u32_e32 v66, v65, v1
	v_add_u32_e32 v1, v66, v2
	v_add_u32_e32 v2, v1, v3
	ds_write2_b64 v11, v[4:5], v[6:7] offset1:1
	ds_write2_b64 v11, v[65:66], v[1:2] offset0:2 offset1:3
	s_waitcnt lgkmcnt(0)
	s_barrier
	s_cbranch_scc0 .LBB25_1
.LBB25_4:                               ;   Parent Loop BB25_2 Depth=1
                                        ; =>  This Loop Header: Depth=2
                                        ;       Child Loop BB25_5 Depth 3
	s_mov_b64 s[24:25], 0
	v_mov_b32_e32 v1, v13
	v_mov_b32_e32 v2, v12
.LBB25_5:                               ;   Parent Loop BB25_2 Depth=1
                                        ;     Parent Loop BB25_4 Depth=2
                                        ; =>    This Inner Loop Header: Depth=3
	v_add_u32_e32 v1, 0x100, v1
	v_cmp_lt_u32_e64 s[22:23], s30, v1
	ds_write_b32 v2, v10
	s_or_b64 s[24:25], s[22:23], s[24:25]
	v_add_u32_e32 v2, 0x400, v2
	s_andn2_b64 exec, exec, s[24:25]
	s_cbranch_execnz .LBB25_5
; %bb.6:                                ;   in Loop: Header=BB25_4 Depth=2
	s_or_b64 exec, exec, s[24:25]
	s_sub_i32 s22, 28, s34
	v_lshlrev_b32_e32 v1, s22, v16
	v_lshrrev_b32_e32 v2, 20, v1
	v_and_or_b32 v2, v2, s33, v0
	v_alignbit_b32 v1, v2, v1, 31
	v_lshlrev_b32_e32 v35, 1, v1
	ds_read_u16 v21, v35
	v_lshlrev_b32_e32 v1, s22, v17
	v_lshrrev_b32_e32 v2, 20, v1
	v_and_or_b32 v2, v2, s33, v0
	v_alignbit_b32 v1, v2, v1, 31
	s_waitcnt lgkmcnt(0)
	v_add_u16_e32 v2, 1, v21
	ds_write_b16 v35, v2
	v_lshlrev_b32_e32 v37, 1, v1
	ds_read_u16 v33, v37
	v_lshlrev_b32_e32 v1, s22, v18
	v_lshrrev_b32_e32 v2, 20, v1
	v_and_or_b32 v2, v2, s33, v0
	v_alignbit_b32 v1, v2, v1, 31
	s_waitcnt lgkmcnt(0)
	v_add_u16_e32 v3, 1, v33
	ds_write_b16 v37, v3
	;; [unrolled: 9-line block ×3, first 2 shown]
	v_lshlrev_b32_e32 v41, 1, v1
	ds_read_u16 v38, v41
	v_lshlrev_b32_e32 v1, s22, v20
	s_waitcnt lgkmcnt(0)
	v_add_u16_e32 v2, 1, v38
	ds_write_b16 v41, v2
	v_lshrrev_b32_e32 v2, 20, v1
	v_and_or_b32 v2, v2, s33, v0
	v_alignbit_b32 v1, v2, v1, 31
	v_lshlrev_b32_e32 v43, 1, v1
	ds_read_u16 v40, v43
	s_waitcnt lgkmcnt(0)
	v_add_u16_e32 v1, 1, v40
	ds_write_b16 v43, v1
	v_lshlrev_b32_e32 v1, s22, v22
	v_lshrrev_b32_e32 v2, 20, v1
	v_and_or_b32 v2, v2, s33, v0
	v_alignbit_b32 v1, v2, v1, 31
	v_lshlrev_b32_e32 v45, 1, v1
	ds_read_u16 v42, v45
	s_waitcnt lgkmcnt(0)
	v_add_u16_e32 v1, 1, v42
	ds_write_b16 v45, v1
	v_lshlrev_b32_e32 v1, s22, v23
	;; [unrolled: 9-line block ×11, first 2 shown]
	v_lshrrev_b32_e32 v2, 20, v1
	v_and_or_b32 v2, v2, s33, v0
	v_alignbit_b32 v1, v2, v1, 31
	v_lshlrev_b32_e32 v64, 1, v1
	ds_read_u16 v62, v64
	s_waitcnt lgkmcnt(0)
	v_add_u16_e32 v1, 1, v62
	ds_write_b16 v64, v1
	s_waitcnt lgkmcnt(0)
	s_barrier
	ds_read2_b64 v[5:8], v11 offset1:1
	ds_read2_b64 v[1:4], v11 offset0:2 offset1:3
	s_waitcnt lgkmcnt(1)
	v_add_u32_e32 v65, v6, v5
	v_add3_u32 v65, v65, v7, v8
	s_waitcnt lgkmcnt(0)
	v_add3_u32 v65, v65, v1, v2
	v_add3_u32 v4, v65, v3, v4
	s_nop 1
	v_mov_b32_dpp v65, v4 row_shr:1 row_mask:0xf bank_mask:0xf
	v_cndmask_b32_e64 v65, v65, 0, s[8:9]
	v_add_u32_e32 v4, v65, v4
	s_nop 1
	v_mov_b32_dpp v65, v4 row_shr:2 row_mask:0xf bank_mask:0xf
	v_cndmask_b32_e64 v65, 0, v65, s[10:11]
	v_add_u32_e32 v4, v4, v65
	;; [unrolled: 4-line block ×4, first 2 shown]
	s_nop 1
	v_mov_b32_dpp v65, v4 row_bcast:15 row_mask:0xf bank_mask:0xf
	v_cndmask_b32_e64 v65, v65, 0, s[16:17]
	v_add_u32_e32 v4, v4, v65
	s_nop 1
	v_mov_b32_dpp v65, v4 row_bcast:31 row_mask:0xf bank_mask:0xf
	v_cndmask_b32_e64 v65, 0, v65, s[2:3]
	v_add_u32_e32 v4, v4, v65
	s_and_saveexec_b64 s[22:23], s[4:5]
; %bb.7:                                ;   in Loop: Header=BB25_4 Depth=2
	ds_write_b32 v14, v4 offset:8192
; %bb.8:                                ;   in Loop: Header=BB25_4 Depth=2
	s_or_b64 exec, exec, s[22:23]
	s_waitcnt lgkmcnt(0)
	s_barrier
	s_and_saveexec_b64 s[22:23], vcc
	s_cbranch_execz .LBB25_10
; %bb.9:                                ;   in Loop: Header=BB25_4 Depth=2
	ds_read_b32 v65, v34 offset:8192
	s_waitcnt lgkmcnt(0)
	s_nop 0
	v_mov_b32_dpp v66, v65 row_shr:1 row_mask:0xf bank_mask:0xf
	v_cndmask_b32_e64 v66, v66, 0, s[18:19]
	v_add_u32_e32 v65, v66, v65
	s_nop 1
	v_mov_b32_dpp v66, v65 row_shr:2 row_mask:0xf bank_mask:0xf
	v_cndmask_b32_e64 v66, 0, v66, s[20:21]
	v_add_u32_e32 v65, v65, v66
	ds_write_b32 v34, v65 offset:8192
.LBB25_10:                              ;   in Loop: Header=BB25_4 Depth=2
	s_or_b64 exec, exec, s[22:23]
	v_mov_b32_e32 v65, 0
	s_waitcnt lgkmcnt(0)
	s_barrier
	s_and_saveexec_b64 s[22:23], s[0:1]
	s_cbranch_execz .LBB25_3
; %bb.11:                               ;   in Loop: Header=BB25_4 Depth=2
	ds_read_b32 v65, v14 offset:8188
	s_branch .LBB25_3
.LBB25_12:
	ds_read_u16 v0, v64
	ds_read_u16 v1, v63
	;; [unrolled: 1-line block ×4, first 2 shown]
	s_add_u32 s0, s26, s28
	s_waitcnt lgkmcnt(3)
	v_add_u32_sdwa v3, v0, v62 dst_sel:DWORD dst_unused:UNUSED_PAD src0_sel:DWORD src1_sel:WORD_0
	s_waitcnt lgkmcnt(2)
	v_add_u32_sdwa v2, v1, v60 dst_sel:DWORD dst_unused:UNUSED_PAD src0_sel:DWORD src1_sel:WORD_0
	s_waitcnt lgkmcnt(1)
	v_add_u32_sdwa v1, v4, v59 dst_sel:DWORD dst_unused:UNUSED_PAD src0_sel:DWORD src1_sel:WORD_0
	ds_read_u16 v4, v57
	ds_read_u16 v6, v55
	;; [unrolled: 1-line block ×12, first 2 shown]
	s_waitcnt lgkmcnt(12)
	v_add_u32_sdwa v0, v5, v56 dst_sel:DWORD dst_unused:UNUSED_PAD src0_sel:DWORD src1_sel:WORD_0
	s_waitcnt lgkmcnt(11)
	v_add_u32_sdwa v7, v4, v54 dst_sel:DWORD dst_unused:UNUSED_PAD src0_sel:DWORD src1_sel:WORD_0
	;; [unrolled: 2-line block ×11, first 2 shown]
	s_addc_u32 s1, s27, s29
	v_lshlrev_b32_e32 v8, 2, v9
	v_add_u32_sdwa v6, v6, v52 dst_sel:DWORD dst_unused:UNUSED_PAD src0_sel:DWORD src1_sel:WORD_0
	v_add_u32_sdwa v12, v12, v44 dst_sel:DWORD dst_unused:UNUSED_PAD src0_sel:DWORD src1_sel:WORD_0
	global_store_dwordx4 v8, v[14:17], s[0:1]
	global_store_dwordx4 v8, v[10:13], s[0:1] offset:16
	global_store_dwordx4 v8, v[4:7], s[0:1] offset:32
	;; [unrolled: 1-line block ×3, first 2 shown]
	s_endpgm
	.section	.rodata,"a",@progbits
	.p2align	6, 0x0
	.amdhsa_kernel _Z11rank_kernelIiLj4ELb0EL18RadixRankAlgorithm1ELj256ELj16ELj10EEvPKT_Pi
		.amdhsa_group_segment_fixed_size 8208
		.amdhsa_private_segment_fixed_size 0
		.amdhsa_kernarg_size 16
		.amdhsa_user_sgpr_count 6
		.amdhsa_user_sgpr_private_segment_buffer 1
		.amdhsa_user_sgpr_dispatch_ptr 0
		.amdhsa_user_sgpr_queue_ptr 0
		.amdhsa_user_sgpr_kernarg_segment_ptr 1
		.amdhsa_user_sgpr_dispatch_id 0
		.amdhsa_user_sgpr_flat_scratch_init 0
		.amdhsa_user_sgpr_private_segment_size 0
		.amdhsa_uses_dynamic_stack 0
		.amdhsa_system_sgpr_private_segment_wavefront_offset 0
		.amdhsa_system_sgpr_workgroup_id_x 1
		.amdhsa_system_sgpr_workgroup_id_y 0
		.amdhsa_system_sgpr_workgroup_id_z 0
		.amdhsa_system_sgpr_workgroup_info 0
		.amdhsa_system_vgpr_workitem_id 0
		.amdhsa_next_free_vgpr 67
		.amdhsa_next_free_sgpr 77
		.amdhsa_reserve_vcc 1
		.amdhsa_reserve_flat_scratch 0
		.amdhsa_float_round_mode_32 0
		.amdhsa_float_round_mode_16_64 0
		.amdhsa_float_denorm_mode_32 3
		.amdhsa_float_denorm_mode_16_64 3
		.amdhsa_dx10_clamp 1
		.amdhsa_ieee_mode 1
		.amdhsa_fp16_overflow 0
		.amdhsa_exception_fp_ieee_invalid_op 0
		.amdhsa_exception_fp_denorm_src 0
		.amdhsa_exception_fp_ieee_div_zero 0
		.amdhsa_exception_fp_ieee_overflow 0
		.amdhsa_exception_fp_ieee_underflow 0
		.amdhsa_exception_fp_ieee_inexact 0
		.amdhsa_exception_int_div_zero 0
	.end_amdhsa_kernel
	.section	.text._Z11rank_kernelIiLj4ELb0EL18RadixRankAlgorithm1ELj256ELj16ELj10EEvPKT_Pi,"axG",@progbits,_Z11rank_kernelIiLj4ELb0EL18RadixRankAlgorithm1ELj256ELj16ELj10EEvPKT_Pi,comdat
.Lfunc_end25:
	.size	_Z11rank_kernelIiLj4ELb0EL18RadixRankAlgorithm1ELj256ELj16ELj10EEvPKT_Pi, .Lfunc_end25-_Z11rank_kernelIiLj4ELb0EL18RadixRankAlgorithm1ELj256ELj16ELj10EEvPKT_Pi
                                        ; -- End function
	.set _Z11rank_kernelIiLj4ELb0EL18RadixRankAlgorithm1ELj256ELj16ELj10EEvPKT_Pi.num_vgpr, 67
	.set _Z11rank_kernelIiLj4ELb0EL18RadixRankAlgorithm1ELj256ELj16ELj10EEvPKT_Pi.num_agpr, 0
	.set _Z11rank_kernelIiLj4ELb0EL18RadixRankAlgorithm1ELj256ELj16ELj10EEvPKT_Pi.numbered_sgpr, 35
	.set _Z11rank_kernelIiLj4ELb0EL18RadixRankAlgorithm1ELj256ELj16ELj10EEvPKT_Pi.num_named_barrier, 0
	.set _Z11rank_kernelIiLj4ELb0EL18RadixRankAlgorithm1ELj256ELj16ELj10EEvPKT_Pi.private_seg_size, 0
	.set _Z11rank_kernelIiLj4ELb0EL18RadixRankAlgorithm1ELj256ELj16ELj10EEvPKT_Pi.uses_vcc, 1
	.set _Z11rank_kernelIiLj4ELb0EL18RadixRankAlgorithm1ELj256ELj16ELj10EEvPKT_Pi.uses_flat_scratch, 0
	.set _Z11rank_kernelIiLj4ELb0EL18RadixRankAlgorithm1ELj256ELj16ELj10EEvPKT_Pi.has_dyn_sized_stack, 0
	.set _Z11rank_kernelIiLj4ELb0EL18RadixRankAlgorithm1ELj256ELj16ELj10EEvPKT_Pi.has_recursion, 0
	.set _Z11rank_kernelIiLj4ELb0EL18RadixRankAlgorithm1ELj256ELj16ELj10EEvPKT_Pi.has_indirect_call, 0
	.section	.AMDGPU.csdata,"",@progbits
; Kernel info:
; codeLenInByte = 2152
; TotalNumSgprs: 39
; NumVgprs: 67
; ScratchSize: 0
; MemoryBound: 0
; FloatMode: 240
; IeeeMode: 1
; LDSByteSize: 8208 bytes/workgroup (compile time only)
; SGPRBlocks: 10
; VGPRBlocks: 16
; NumSGPRsForWavesPerEU: 81
; NumVGPRsForWavesPerEU: 67
; Occupancy: 3
; WaveLimiterHint : 0
; COMPUTE_PGM_RSRC2:SCRATCH_EN: 0
; COMPUTE_PGM_RSRC2:USER_SGPR: 6
; COMPUTE_PGM_RSRC2:TRAP_HANDLER: 0
; COMPUTE_PGM_RSRC2:TGID_X_EN: 1
; COMPUTE_PGM_RSRC2:TGID_Y_EN: 0
; COMPUTE_PGM_RSRC2:TGID_Z_EN: 0
; COMPUTE_PGM_RSRC2:TIDIG_COMP_CNT: 0
	.section	.text._Z11rank_kernelIiLj4ELb0EL18RadixRankAlgorithm2ELj256ELj16ELj10EEvPKT_Pi,"axG",@progbits,_Z11rank_kernelIiLj4ELb0EL18RadixRankAlgorithm2ELj256ELj16ELj10EEvPKT_Pi,comdat
	.protected	_Z11rank_kernelIiLj4ELb0EL18RadixRankAlgorithm2ELj256ELj16ELj10EEvPKT_Pi ; -- Begin function _Z11rank_kernelIiLj4ELb0EL18RadixRankAlgorithm2ELj256ELj16ELj10EEvPKT_Pi
	.globl	_Z11rank_kernelIiLj4ELb0EL18RadixRankAlgorithm2ELj256ELj16ELj10EEvPKT_Pi
	.p2align	8
	.type	_Z11rank_kernelIiLj4ELb0EL18RadixRankAlgorithm2ELj256ELj16ELj10EEvPKT_Pi,@function
_Z11rank_kernelIiLj4ELb0EL18RadixRankAlgorithm2ELj256ELj16ELj10EEvPKT_Pi: ; @_Z11rank_kernelIiLj4ELb0EL18RadixRankAlgorithm2ELj256ELj16ELj10EEvPKT_Pi
; %bb.0:
	s_load_dwordx4 s[24:27], s[4:5], 0x0
	s_load_dword s20, s[4:5], 0x1c
	s_lshl_b32 s30, s6, 12
	s_mov_b32 s31, 0
	s_lshl_b64 s[28:29], s[30:31], 2
	s_waitcnt lgkmcnt(0)
	s_add_u32 s0, s24, s28
	s_addc_u32 s1, s25, s29
	v_lshlrev_b32_e32 v3, 6, v0
	global_load_dwordx4 v[11:14], v3, s[0:1]
	global_load_dwordx4 v[15:18], v3, s[0:1] offset:16
	global_load_dwordx4 v[19:22], v3, s[0:1] offset:32
	;; [unrolled: 1-line block ×3, first 2 shown]
	s_lshr_b32 s21, s20, 16
	v_or_b32_e32 v7, 63, v0
	s_and_b32 s20, s20, 0xffff
	v_mad_u32_u24 v1, v2, s21, v1
	v_mbcnt_lo_u32_b32 v4, -1, 0
	v_lshlrev_b32_e32 v5, 4, v0
	v_lshlrev_b32_e32 v6, 2, v0
	v_cmp_gt_u32_e32 vcc, 4, v0
	v_cmp_lt_u32_e64 s[0:1], 63, v0
	v_lshrrev_b32_e32 v8, 4, v0
	v_cmp_eq_u32_e64 s[4:5], v0, v7
	v_mad_u64_u32 v[0:1], s[20:21], v1, s20, v[0:1]
	v_mbcnt_hi_u32_b32 v4, -1, v4
	v_subrev_co_u32_e64 v23, s[6:7], 1, v4
	v_and_b32_e32 v28, 64, v4
	v_cmp_lt_i32_e64 s[18:19], v23, v28
	v_and_b32_e32 v9, 15, v4
	v_and_b32_e32 v10, 16, v4
	v_cmp_lt_u32_e64 s[2:3], 31, v4
	v_and_b32_e32 v7, 12, v8
	v_and_b32_e32 v8, 3, v4
	v_cndmask_b32_e64 v4, v23, v4, s[18:19]
	v_lshrrev_b32_e32 v0, 4, v0
	v_mov_b32_e32 v3, 0
	v_cmp_eq_u32_e64 s[8:9], 0, v9
	v_cmp_lt_u32_e64 s[10:11], 1, v9
	v_cmp_lt_u32_e64 s[12:13], 3, v9
	;; [unrolled: 1-line block ×3, first 2 shown]
	v_cmp_eq_u32_e64 s[16:17], 0, v10
	v_cmp_eq_u32_e64 s[18:19], 0, v8
	v_cmp_lt_u32_e64 s[20:21], 1, v8
	v_add_u32_e32 v9, -4, v7
	v_lshlrev_b32_e32 v10, 2, v4
	v_and_b32_e32 v2, 0xffffffc, v0
	s_waitcnt vmcnt(3)
	v_xor_b32_e32 v11, 0x80000000, v11
	v_xor_b32_e32 v12, 0x80000000, v12
	v_xor_b32_e32 v13, 0x80000000, v13
	v_xor_b32_e32 v14, 0x80000000, v14
	s_waitcnt vmcnt(2)
	v_xor_b32_e32 v15, 0x80000000, v15
	v_xor_b32_e32 v16, 0x80000000, v16
	v_xor_b32_e32 v17, 0x80000000, v17
	v_xor_b32_e32 v18, 0x80000000, v18
	;; [unrolled: 5-line block ×4, first 2 shown]
	s_branch .LBB26_2
.LBB26_1:                               ;   in Loop: Header=BB26_2 Depth=1
	s_add_i32 s31, s31, 1
	s_cmp_eq_u32 s31, 10
	s_cbranch_scc1 .LBB26_42
.LBB26_2:                               ; =>This Loop Header: Depth=1
                                        ;     Child Loop BB26_4 Depth 2
	s_mov_b32 s30, -4
	s_mov_b32 s33, 28
	s_branch .LBB26_4
.LBB26_3:                               ;   in Loop: Header=BB26_4 Depth=2
	s_or_b64 exec, exec, s[22:23]
	s_waitcnt lgkmcnt(0)
	v_add_u32_e32 v0, v1, v0
	ds_bpermute_b32 v0, v10, v0
	s_add_i32 s33, s33, -4
	s_add_i32 s30, s30, 4
	s_cmp_lt_u32 s30, 28
	s_waitcnt lgkmcnt(0)
	v_cndmask_b32_e64 v0, v0, v1, s[6:7]
	ds_write_b32 v6, v0 offset:16
	s_waitcnt lgkmcnt(0)
	s_barrier
	s_cbranch_scc0 .LBB26_1
.LBB26_4:                               ;   Parent Loop BB26_2 Depth=1
                                        ; =>  This Inner Loop Header: Depth=2
	v_lshlrev_b32_e32 v0, s33, v11
	v_lshrrev_b32_e32 v0, 28, v0
	v_and_b32_e32 v1, 1, v0
	v_add_co_u32_e64 v4, s[22:23], -1, v1
	v_addc_co_u32_e64 v23, s[22:23], 0, -1, s[22:23]
	v_cmp_ne_u32_e64 s[22:23], 0, v1
	v_xor_b32_e32 v4, s22, v4
	v_xor_b32_e32 v1, s23, v23
	v_and_b32_e32 v23, exec_lo, v4
	v_lshlrev_b32_e32 v4, 30, v0
	v_cmp_gt_i64_e64 s[22:23], 0, v[3:4]
	v_not_b32_e32 v4, v4
	v_ashrrev_i32_e32 v4, 31, v4
	v_xor_b32_e32 v28, s23, v4
	v_xor_b32_e32 v4, s22, v4
	v_and_b32_e32 v23, v23, v4
	v_lshlrev_b32_e32 v4, 29, v0
	v_cmp_gt_i64_e64 s[22:23], 0, v[3:4]
	v_not_b32_e32 v4, v4
	v_and_b32_e32 v1, exec_hi, v1
	v_ashrrev_i32_e32 v4, 31, v4
	v_and_b32_e32 v1, v1, v28
	v_xor_b32_e32 v28, s23, v4
	v_xor_b32_e32 v4, s22, v4
	v_and_b32_e32 v23, v23, v4
	v_lshlrev_b32_e32 v4, 28, v0
	v_mul_u32_u24_e32 v8, 20, v0
	v_cmp_gt_i64_e64 s[22:23], 0, v[3:4]
	v_not_b32_e32 v0, v4
	v_ashrrev_i32_e32 v0, 31, v0
	v_xor_b32_e32 v4, s23, v0
	v_xor_b32_e32 v0, s22, v0
	v_and_b32_e32 v1, v1, v28
	v_and_b32_e32 v0, v23, v0
	;; [unrolled: 1-line block ×3, first 2 shown]
	v_mbcnt_lo_u32_b32 v4, v0, 0
	v_mbcnt_hi_u32_b32 v23, v1, v4
	v_cmp_ne_u64_e64 s[22:23], 0, v[0:1]
	v_cmp_eq_u32_e64 s[24:25], 0, v23
	s_and_b64 s[24:25], s[22:23], s[24:25]
	ds_write_b32 v6, v3 offset:16
	s_waitcnt lgkmcnt(0)
	s_barrier
	; wave barrier
	s_and_saveexec_b64 s[22:23], s[24:25]
; %bb.5:                                ;   in Loop: Header=BB26_4 Depth=2
	v_bcnt_u32_b32 v0, v0, 0
	v_bcnt_u32_b32 v0, v1, v0
	v_add_u32_e32 v1, v2, v8
	ds_write_b32 v1, v0 offset:16
; %bb.6:                                ;   in Loop: Header=BB26_4 Depth=2
	s_or_b64 exec, exec, s[22:23]
	v_lshlrev_b32_e32 v0, s33, v12
	v_lshrrev_b32_e32 v0, 28, v0
	v_mad_u32_u24 v1, v0, 20, v2
	; wave barrier
	ds_read_b32 v28, v1 offset:16
	v_and_b32_e32 v1, 1, v0
	v_add_co_u32_e64 v4, s[22:23], -1, v1
	v_addc_co_u32_e64 v30, s[22:23], 0, -1, s[22:23]
	v_cmp_ne_u32_e64 s[22:23], 0, v1
	v_xor_b32_e32 v4, s22, v4
	v_xor_b32_e32 v1, s23, v30
	v_and_b32_e32 v30, exec_lo, v4
	v_lshlrev_b32_e32 v4, 30, v0
	v_cmp_gt_i64_e64 s[22:23], 0, v[3:4]
	v_not_b32_e32 v4, v4
	v_ashrrev_i32_e32 v4, 31, v4
	v_xor_b32_e32 v31, s23, v4
	v_xor_b32_e32 v4, s22, v4
	v_and_b32_e32 v30, v30, v4
	v_lshlrev_b32_e32 v4, 29, v0
	v_cmp_gt_i64_e64 s[22:23], 0, v[3:4]
	v_not_b32_e32 v4, v4
	v_and_b32_e32 v1, exec_hi, v1
	v_ashrrev_i32_e32 v4, 31, v4
	v_and_b32_e32 v1, v1, v31
	v_xor_b32_e32 v31, s23, v4
	v_xor_b32_e32 v4, s22, v4
	v_and_b32_e32 v30, v30, v4
	v_lshlrev_b32_e32 v4, 28, v0
	v_mul_u32_u24_e32 v29, 20, v0
	v_cmp_gt_i64_e64 s[22:23], 0, v[3:4]
	v_not_b32_e32 v0, v4
	v_ashrrev_i32_e32 v0, 31, v0
	v_xor_b32_e32 v4, s23, v0
	v_xor_b32_e32 v0, s22, v0
	v_and_b32_e32 v1, v1, v31
	v_and_b32_e32 v0, v30, v0
	;; [unrolled: 1-line block ×3, first 2 shown]
	v_mbcnt_lo_u32_b32 v4, v0, 0
	v_mbcnt_hi_u32_b32 v30, v1, v4
	v_cmp_ne_u64_e64 s[22:23], 0, v[0:1]
	v_cmp_eq_u32_e64 s[24:25], 0, v30
	s_and_b64 s[24:25], s[22:23], s[24:25]
	; wave barrier
	s_and_saveexec_b64 s[22:23], s[24:25]
	s_cbranch_execz .LBB26_8
; %bb.7:                                ;   in Loop: Header=BB26_4 Depth=2
	v_bcnt_u32_b32 v0, v0, 0
	v_bcnt_u32_b32 v0, v1, v0
	s_waitcnt lgkmcnt(0)
	v_add_u32_e32 v0, v28, v0
	v_add_u32_e32 v1, v2, v29
	ds_write_b32 v1, v0 offset:16
.LBB26_8:                               ;   in Loop: Header=BB26_4 Depth=2
	s_or_b64 exec, exec, s[22:23]
	v_lshlrev_b32_e32 v0, s33, v13
	v_lshrrev_b32_e32 v0, 28, v0
	v_mad_u32_u24 v1, v0, 20, v2
	; wave barrier
	ds_read_b32 v31, v1 offset:16
	v_and_b32_e32 v1, 1, v0
	v_add_co_u32_e64 v4, s[22:23], -1, v1
	v_addc_co_u32_e64 v33, s[22:23], 0, -1, s[22:23]
	v_cmp_ne_u32_e64 s[22:23], 0, v1
	v_xor_b32_e32 v4, s22, v4
	v_xor_b32_e32 v1, s23, v33
	v_and_b32_e32 v33, exec_lo, v4
	v_lshlrev_b32_e32 v4, 30, v0
	v_cmp_gt_i64_e64 s[22:23], 0, v[3:4]
	v_not_b32_e32 v4, v4
	v_ashrrev_i32_e32 v4, 31, v4
	v_xor_b32_e32 v34, s23, v4
	v_xor_b32_e32 v4, s22, v4
	v_and_b32_e32 v33, v33, v4
	v_lshlrev_b32_e32 v4, 29, v0
	v_cmp_gt_i64_e64 s[22:23], 0, v[3:4]
	v_not_b32_e32 v4, v4
	v_and_b32_e32 v1, exec_hi, v1
	v_ashrrev_i32_e32 v4, 31, v4
	v_and_b32_e32 v1, v1, v34
	v_xor_b32_e32 v34, s23, v4
	v_xor_b32_e32 v4, s22, v4
	v_and_b32_e32 v33, v33, v4
	v_lshlrev_b32_e32 v4, 28, v0
	v_mul_u32_u24_e32 v32, 20, v0
	v_cmp_gt_i64_e64 s[22:23], 0, v[3:4]
	v_not_b32_e32 v0, v4
	v_ashrrev_i32_e32 v0, 31, v0
	v_xor_b32_e32 v4, s23, v0
	v_xor_b32_e32 v0, s22, v0
	v_and_b32_e32 v1, v1, v34
	v_and_b32_e32 v0, v33, v0
	;; [unrolled: 1-line block ×3, first 2 shown]
	v_mbcnt_lo_u32_b32 v4, v0, 0
	v_mbcnt_hi_u32_b32 v33, v1, v4
	v_cmp_ne_u64_e64 s[22:23], 0, v[0:1]
	v_cmp_eq_u32_e64 s[24:25], 0, v33
	s_and_b64 s[24:25], s[22:23], s[24:25]
	; wave barrier
	s_and_saveexec_b64 s[22:23], s[24:25]
	s_cbranch_execz .LBB26_10
; %bb.9:                                ;   in Loop: Header=BB26_4 Depth=2
	v_bcnt_u32_b32 v0, v0, 0
	v_bcnt_u32_b32 v0, v1, v0
	s_waitcnt lgkmcnt(0)
	v_add_u32_e32 v0, v31, v0
	v_add_u32_e32 v1, v2, v32
	ds_write_b32 v1, v0 offset:16
.LBB26_10:                              ;   in Loop: Header=BB26_4 Depth=2
	s_or_b64 exec, exec, s[22:23]
	v_lshlrev_b32_e32 v0, s33, v14
	v_lshrrev_b32_e32 v0, 28, v0
	v_mad_u32_u24 v1, v0, 20, v2
	; wave barrier
	ds_read_b32 v34, v1 offset:16
	v_and_b32_e32 v1, 1, v0
	v_add_co_u32_e64 v4, s[22:23], -1, v1
	v_addc_co_u32_e64 v36, s[22:23], 0, -1, s[22:23]
	v_cmp_ne_u32_e64 s[22:23], 0, v1
	v_xor_b32_e32 v4, s22, v4
	v_xor_b32_e32 v1, s23, v36
	v_and_b32_e32 v36, exec_lo, v4
	v_lshlrev_b32_e32 v4, 30, v0
	v_cmp_gt_i64_e64 s[22:23], 0, v[3:4]
	v_not_b32_e32 v4, v4
	v_ashrrev_i32_e32 v4, 31, v4
	v_xor_b32_e32 v37, s23, v4
	v_xor_b32_e32 v4, s22, v4
	v_and_b32_e32 v36, v36, v4
	v_lshlrev_b32_e32 v4, 29, v0
	v_cmp_gt_i64_e64 s[22:23], 0, v[3:4]
	v_not_b32_e32 v4, v4
	v_and_b32_e32 v1, exec_hi, v1
	v_ashrrev_i32_e32 v4, 31, v4
	v_and_b32_e32 v1, v1, v37
	v_xor_b32_e32 v37, s23, v4
	v_xor_b32_e32 v4, s22, v4
	v_and_b32_e32 v36, v36, v4
	v_lshlrev_b32_e32 v4, 28, v0
	v_mul_u32_u24_e32 v35, 20, v0
	v_cmp_gt_i64_e64 s[22:23], 0, v[3:4]
	v_not_b32_e32 v0, v4
	v_ashrrev_i32_e32 v0, 31, v0
	v_xor_b32_e32 v4, s23, v0
	v_xor_b32_e32 v0, s22, v0
	v_and_b32_e32 v1, v1, v37
	v_and_b32_e32 v0, v36, v0
	v_and_b32_e32 v1, v1, v4
	v_mbcnt_lo_u32_b32 v4, v0, 0
	v_mbcnt_hi_u32_b32 v36, v1, v4
	v_cmp_ne_u64_e64 s[22:23], 0, v[0:1]
	v_cmp_eq_u32_e64 s[24:25], 0, v36
	s_and_b64 s[24:25], s[22:23], s[24:25]
	; wave barrier
	s_and_saveexec_b64 s[22:23], s[24:25]
	s_cbranch_execz .LBB26_12
; %bb.11:                               ;   in Loop: Header=BB26_4 Depth=2
	v_bcnt_u32_b32 v0, v0, 0
	v_bcnt_u32_b32 v0, v1, v0
	s_waitcnt lgkmcnt(0)
	v_add_u32_e32 v0, v34, v0
	v_add_u32_e32 v1, v2, v35
	ds_write_b32 v1, v0 offset:16
.LBB26_12:                              ;   in Loop: Header=BB26_4 Depth=2
	s_or_b64 exec, exec, s[22:23]
	v_lshlrev_b32_e32 v0, s33, v15
	v_lshrrev_b32_e32 v0, 28, v0
	v_mad_u32_u24 v1, v0, 20, v2
	; wave barrier
	ds_read_b32 v37, v1 offset:16
	v_and_b32_e32 v1, 1, v0
	v_add_co_u32_e64 v4, s[22:23], -1, v1
	v_addc_co_u32_e64 v39, s[22:23], 0, -1, s[22:23]
	v_cmp_ne_u32_e64 s[22:23], 0, v1
	v_xor_b32_e32 v4, s22, v4
	v_xor_b32_e32 v1, s23, v39
	v_and_b32_e32 v39, exec_lo, v4
	v_lshlrev_b32_e32 v4, 30, v0
	v_cmp_gt_i64_e64 s[22:23], 0, v[3:4]
	v_not_b32_e32 v4, v4
	v_ashrrev_i32_e32 v4, 31, v4
	v_xor_b32_e32 v40, s23, v4
	v_xor_b32_e32 v4, s22, v4
	v_and_b32_e32 v39, v39, v4
	v_lshlrev_b32_e32 v4, 29, v0
	v_cmp_gt_i64_e64 s[22:23], 0, v[3:4]
	v_not_b32_e32 v4, v4
	v_and_b32_e32 v1, exec_hi, v1
	v_ashrrev_i32_e32 v4, 31, v4
	v_and_b32_e32 v1, v1, v40
	v_xor_b32_e32 v40, s23, v4
	v_xor_b32_e32 v4, s22, v4
	v_and_b32_e32 v39, v39, v4
	v_lshlrev_b32_e32 v4, 28, v0
	v_mul_u32_u24_e32 v38, 20, v0
	v_cmp_gt_i64_e64 s[22:23], 0, v[3:4]
	v_not_b32_e32 v0, v4
	v_ashrrev_i32_e32 v0, 31, v0
	v_xor_b32_e32 v4, s23, v0
	v_xor_b32_e32 v0, s22, v0
	v_and_b32_e32 v1, v1, v40
	v_and_b32_e32 v0, v39, v0
	v_and_b32_e32 v1, v1, v4
	v_mbcnt_lo_u32_b32 v4, v0, 0
	v_mbcnt_hi_u32_b32 v39, v1, v4
	v_cmp_ne_u64_e64 s[22:23], 0, v[0:1]
	v_cmp_eq_u32_e64 s[24:25], 0, v39
	s_and_b64 s[24:25], s[22:23], s[24:25]
	; wave barrier
	s_and_saveexec_b64 s[22:23], s[24:25]
	s_cbranch_execz .LBB26_14
; %bb.13:                               ;   in Loop: Header=BB26_4 Depth=2
	v_bcnt_u32_b32 v0, v0, 0
	v_bcnt_u32_b32 v0, v1, v0
	s_waitcnt lgkmcnt(0)
	v_add_u32_e32 v0, v37, v0
	v_add_u32_e32 v1, v2, v38
	ds_write_b32 v1, v0 offset:16
.LBB26_14:                              ;   in Loop: Header=BB26_4 Depth=2
	;; [unrolled: 55-line block ×13, first 2 shown]
	s_or_b64 exec, exec, s[22:23]
	; wave barrier
	s_waitcnt lgkmcnt(0)
	s_barrier
	ds_read_b32 v0, v6 offset:16
	s_waitcnt lgkmcnt(0)
	s_nop 0
	v_mov_b32_dpp v1, v0 row_shr:1 row_mask:0xf bank_mask:0xf
	v_cndmask_b32_e64 v1, v1, 0, s[8:9]
	v_add_u32_e32 v0, v1, v0
	s_nop 1
	v_mov_b32_dpp v1, v0 row_shr:2 row_mask:0xf bank_mask:0xf
	v_cndmask_b32_e64 v1, 0, v1, s[10:11]
	v_add_u32_e32 v0, v0, v1
	;; [unrolled: 4-line block ×4, first 2 shown]
	s_nop 1
	v_mov_b32_dpp v1, v0 row_bcast:15 row_mask:0xf bank_mask:0xf
	v_cndmask_b32_e64 v1, v1, 0, s[16:17]
	v_add_u32_e32 v0, v0, v1
	s_nop 1
	v_mov_b32_dpp v1, v0 row_bcast:31 row_mask:0xf bank_mask:0xf
	v_cndmask_b32_e64 v1, 0, v1, s[2:3]
	v_add_u32_e32 v0, v0, v1
	s_and_saveexec_b64 s[22:23], s[4:5]
; %bb.37:                               ;   in Loop: Header=BB26_4 Depth=2
	ds_write_b32 v7, v0
; %bb.38:                               ;   in Loop: Header=BB26_4 Depth=2
	s_or_b64 exec, exec, s[22:23]
	s_waitcnt lgkmcnt(0)
	s_barrier
	s_and_saveexec_b64 s[22:23], vcc
	s_cbranch_execz .LBB26_40
; %bb.39:                               ;   in Loop: Header=BB26_4 Depth=2
	ds_read_b32 v1, v6
	s_waitcnt lgkmcnt(0)
	s_nop 0
	v_mov_b32_dpp v72, v1 row_shr:1 row_mask:0xf bank_mask:0xf
	v_cndmask_b32_e64 v72, v72, 0, s[18:19]
	v_add_u32_e32 v1, v72, v1
	s_nop 1
	v_mov_b32_dpp v72, v1 row_shr:2 row_mask:0xf bank_mask:0xf
	v_cndmask_b32_e64 v72, 0, v72, s[20:21]
	v_add_u32_e32 v1, v1, v72
	ds_write_b32 v6, v1
.LBB26_40:                              ;   in Loop: Header=BB26_4 Depth=2
	s_or_b64 exec, exec, s[22:23]
	v_mov_b32_e32 v1, 0
	s_waitcnt lgkmcnt(0)
	s_barrier
	s_and_saveexec_b64 s[22:23], s[0:1]
	s_cbranch_execz .LBB26_3
; %bb.41:                               ;   in Loop: Header=BB26_4 Depth=2
	ds_read_b32 v1, v9
	s_branch .LBB26_3
.LBB26_42:
	v_add_u32_e32 v0, v2, v71
	v_add_u32_e32 v1, v2, v68
	;; [unrolled: 1-line block ×8, first 2 shown]
	ds_read_b32 v0, v0 offset:16
	ds_read_b32 v1, v1 offset:16
	;; [unrolled: 1-line block ×8, first 2 shown]
	s_waitcnt lgkmcnt(7)
	v_add3_u32 v12, v4, v70, v0
	s_waitcnt lgkmcnt(6)
	v_add3_u32 v11, v69, v67, v1
	;; [unrolled: 2-line block ×6, first 2 shown]
	v_add_u32_e32 v0, v2, v47
	v_add_u32_e32 v1, v2, v44
	;; [unrolled: 1-line block ×6, first 2 shown]
	v_add3_u32 v10, v66, v64, v3
	v_add_u32_e32 v3, v2, v41
	v_add_u32_e32 v2, v2, v8
	ds_read_b32 v0, v0 offset:16
	ds_read_b32 v1, v1 offset:16
	;; [unrolled: 1-line block ×8, first 2 shown]
	s_add_u32 s0, s26, s28
	s_waitcnt lgkmcnt(7)
	v_add3_u32 v3, v48, v46, v0
	s_waitcnt lgkmcnt(4)
	v_add3_u32 v0, v39, v37, v4
	s_waitcnt lgkmcnt(3)
	v_add3_u32 v20, v36, v34, v6
	s_waitcnt lgkmcnt(2)
	v_add3_u32 v19, v33, v31, v7
	s_waitcnt lgkmcnt(1)
	v_add3_u32 v18, v30, v28, v17
	s_waitcnt lgkmcnt(0)
	v_add_u32_e32 v17, v21, v23
	s_addc_u32 s1, s27, s29
	v_lshlrev_b32_e32 v4, 2, v5
	v_add3_u32 v14, v54, v52, v14
	v_add3_u32 v2, v45, v43, v1
	;; [unrolled: 1-line block ×3, first 2 shown]
	global_store_dwordx4 v4, v[17:20], s[0:1]
	global_store_dwordx4 v4, v[0:3], s[0:1] offset:16
	global_store_dwordx4 v4, v[13:16], s[0:1] offset:32
	global_store_dwordx4 v4, v[9:12], s[0:1] offset:48
	s_endpgm
	.section	.rodata,"a",@progbits
	.p2align	6, 0x0
	.amdhsa_kernel _Z11rank_kernelIiLj4ELb0EL18RadixRankAlgorithm2ELj256ELj16ELj10EEvPKT_Pi
		.amdhsa_group_segment_fixed_size 1040
		.amdhsa_private_segment_fixed_size 0
		.amdhsa_kernarg_size 272
		.amdhsa_user_sgpr_count 6
		.amdhsa_user_sgpr_private_segment_buffer 1
		.amdhsa_user_sgpr_dispatch_ptr 0
		.amdhsa_user_sgpr_queue_ptr 0
		.amdhsa_user_sgpr_kernarg_segment_ptr 1
		.amdhsa_user_sgpr_dispatch_id 0
		.amdhsa_user_sgpr_flat_scratch_init 0
		.amdhsa_user_sgpr_private_segment_size 0
		.amdhsa_uses_dynamic_stack 0
		.amdhsa_system_sgpr_private_segment_wavefront_offset 0
		.amdhsa_system_sgpr_workgroup_id_x 1
		.amdhsa_system_sgpr_workgroup_id_y 0
		.amdhsa_system_sgpr_workgroup_id_z 0
		.amdhsa_system_sgpr_workgroup_info 0
		.amdhsa_system_vgpr_workitem_id 2
		.amdhsa_next_free_vgpr 74
		.amdhsa_next_free_sgpr 34
		.amdhsa_reserve_vcc 1
		.amdhsa_reserve_flat_scratch 0
		.amdhsa_float_round_mode_32 0
		.amdhsa_float_round_mode_16_64 0
		.amdhsa_float_denorm_mode_32 3
		.amdhsa_float_denorm_mode_16_64 3
		.amdhsa_dx10_clamp 1
		.amdhsa_ieee_mode 1
		.amdhsa_fp16_overflow 0
		.amdhsa_exception_fp_ieee_invalid_op 0
		.amdhsa_exception_fp_denorm_src 0
		.amdhsa_exception_fp_ieee_div_zero 0
		.amdhsa_exception_fp_ieee_overflow 0
		.amdhsa_exception_fp_ieee_underflow 0
		.amdhsa_exception_fp_ieee_inexact 0
		.amdhsa_exception_int_div_zero 0
	.end_amdhsa_kernel
	.section	.text._Z11rank_kernelIiLj4ELb0EL18RadixRankAlgorithm2ELj256ELj16ELj10EEvPKT_Pi,"axG",@progbits,_Z11rank_kernelIiLj4ELb0EL18RadixRankAlgorithm2ELj256ELj16ELj10EEvPKT_Pi,comdat
.Lfunc_end26:
	.size	_Z11rank_kernelIiLj4ELb0EL18RadixRankAlgorithm2ELj256ELj16ELj10EEvPKT_Pi, .Lfunc_end26-_Z11rank_kernelIiLj4ELb0EL18RadixRankAlgorithm2ELj256ELj16ELj10EEvPKT_Pi
                                        ; -- End function
	.set _Z11rank_kernelIiLj4ELb0EL18RadixRankAlgorithm2ELj256ELj16ELj10EEvPKT_Pi.num_vgpr, 74
	.set _Z11rank_kernelIiLj4ELb0EL18RadixRankAlgorithm2ELj256ELj16ELj10EEvPKT_Pi.num_agpr, 0
	.set _Z11rank_kernelIiLj4ELb0EL18RadixRankAlgorithm2ELj256ELj16ELj10EEvPKT_Pi.numbered_sgpr, 34
	.set _Z11rank_kernelIiLj4ELb0EL18RadixRankAlgorithm2ELj256ELj16ELj10EEvPKT_Pi.num_named_barrier, 0
	.set _Z11rank_kernelIiLj4ELb0EL18RadixRankAlgorithm2ELj256ELj16ELj10EEvPKT_Pi.private_seg_size, 0
	.set _Z11rank_kernelIiLj4ELb0EL18RadixRankAlgorithm2ELj256ELj16ELj10EEvPKT_Pi.uses_vcc, 1
	.set _Z11rank_kernelIiLj4ELb0EL18RadixRankAlgorithm2ELj256ELj16ELj10EEvPKT_Pi.uses_flat_scratch, 0
	.set _Z11rank_kernelIiLj4ELb0EL18RadixRankAlgorithm2ELj256ELj16ELj10EEvPKT_Pi.has_dyn_sized_stack, 0
	.set _Z11rank_kernelIiLj4ELb0EL18RadixRankAlgorithm2ELj256ELj16ELj10EEvPKT_Pi.has_recursion, 0
	.set _Z11rank_kernelIiLj4ELb0EL18RadixRankAlgorithm2ELj256ELj16ELj10EEvPKT_Pi.has_indirect_call, 0
	.section	.AMDGPU.csdata,"",@progbits
; Kernel info:
; codeLenInByte = 5448
; TotalNumSgprs: 38
; NumVgprs: 74
; ScratchSize: 0
; MemoryBound: 0
; FloatMode: 240
; IeeeMode: 1
; LDSByteSize: 1040 bytes/workgroup (compile time only)
; SGPRBlocks: 4
; VGPRBlocks: 18
; NumSGPRsForWavesPerEU: 38
; NumVGPRsForWavesPerEU: 74
; Occupancy: 3
; WaveLimiterHint : 0
; COMPUTE_PGM_RSRC2:SCRATCH_EN: 0
; COMPUTE_PGM_RSRC2:USER_SGPR: 6
; COMPUTE_PGM_RSRC2:TRAP_HANDLER: 0
; COMPUTE_PGM_RSRC2:TGID_X_EN: 1
; COMPUTE_PGM_RSRC2:TGID_Y_EN: 0
; COMPUTE_PGM_RSRC2:TGID_Z_EN: 0
; COMPUTE_PGM_RSRC2:TIDIG_COMP_CNT: 2
	.section	.text._Z11rank_kernelIiLj4ELb0EL18RadixRankAlgorithm0ELj256ELj32ELj10EEvPKT_Pi,"axG",@progbits,_Z11rank_kernelIiLj4ELb0EL18RadixRankAlgorithm0ELj256ELj32ELj10EEvPKT_Pi,comdat
	.protected	_Z11rank_kernelIiLj4ELb0EL18RadixRankAlgorithm0ELj256ELj32ELj10EEvPKT_Pi ; -- Begin function _Z11rank_kernelIiLj4ELb0EL18RadixRankAlgorithm0ELj256ELj32ELj10EEvPKT_Pi
	.globl	_Z11rank_kernelIiLj4ELb0EL18RadixRankAlgorithm0ELj256ELj32ELj10EEvPKT_Pi
	.p2align	8
	.type	_Z11rank_kernelIiLj4ELb0EL18RadixRankAlgorithm0ELj256ELj32ELj10EEvPKT_Pi,@function
_Z11rank_kernelIiLj4ELb0EL18RadixRankAlgorithm0ELj256ELj32ELj10EEvPKT_Pi: ; @_Z11rank_kernelIiLj4ELb0EL18RadixRankAlgorithm0ELj256ELj32ELj10EEvPKT_Pi
; %bb.0:
	s_load_dwordx4 s[24:27], s[4:5], 0x0
	s_lshl_b32 s30, s6, 13
	s_mov_b32 s31, 0
	s_lshl_b64 s[28:29], s[30:31], 2
	v_lshlrev_b32_e32 v1, 7, v0
	s_waitcnt lgkmcnt(0)
	s_add_u32 s0, s24, s28
	s_addc_u32 s1, s25, s29
	global_load_dwordx4 v[16:19], v1, s[0:1]
	global_load_dwordx4 v[20:23], v1, s[0:1] offset:16
	global_load_dwordx4 v[25:28], v1, s[0:1] offset:32
	;; [unrolled: 1-line block ×7, first 2 shown]
	v_mbcnt_lo_u32_b32 v1, -1, 0
	v_mbcnt_hi_u32_b32 v3, -1, v1
	v_or_b32_e32 v2, 63, v0
	v_subrev_co_u32_e64 v9, s[4:5], 1, v3
	v_and_b32_e32 v11, 64, v3
	v_cmp_eq_u32_e64 s[2:3], v0, v2
	v_and_b32_e32 v2, 15, v3
	v_cmp_lt_i32_e64 s[18:19], v9, v11
	v_lshrrev_b32_e32 v4, 4, v0
	v_lshlrev_b32_e32 v1, 5, v0
	v_mul_i32_i24_e32 v6, 0xffffffe4, v0
	v_and_b32_e32 v7, 16, v3
	v_and_b32_e32 v13, 3, v3
	v_cmp_eq_u32_e64 s[8:9], 0, v2
	v_cmp_lt_u32_e64 s[10:11], 1, v2
	v_cmp_lt_u32_e64 s[12:13], 3, v2
	;; [unrolled: 1-line block ×3, first 2 shown]
	v_cndmask_b32_e64 v2, v9, v3, s[18:19]
	s_movk_i32 s30, 0x6ff
	s_movk_i32 s33, 0x700
	v_mov_b32_e32 v5, 0
	v_cmp_gt_u32_e32 vcc, 4, v0
	v_cmp_lt_u32_e64 s[0:1], 63, v0
	v_lshlrev_b32_e32 v8, 2, v0
	v_cmp_lt_u32_e64 s[6:7], 31, v3
	v_and_b32_e32 v10, 12, v4
	v_add_u32_e32 v12, v1, v6
	v_cmp_eq_u32_e64 s[16:17], 0, v7
	v_cmp_eq_u32_e64 s[18:19], 0, v13
	v_cmp_lt_u32_e64 s[20:21], 1, v13
	v_lshlrev_b32_e32 v14, 2, v2
	v_or_b32_e32 v53, 0xffffff00, v0
	s_waitcnt vmcnt(7)
	v_xor_b32_e32 v16, 0x80000000, v16
	v_xor_b32_e32 v17, 0x80000000, v17
	v_xor_b32_e32 v18, 0x80000000, v18
	v_xor_b32_e32 v19, 0x80000000, v19
	s_waitcnt vmcnt(6)
	v_xor_b32_e32 v20, 0x80000000, v20
	v_xor_b32_e32 v21, 0x80000000, v21
	v_xor_b32_e32 v22, 0x80000000, v22
	v_xor_b32_e32 v23, 0x80000000, v23
	s_waitcnt vmcnt(5)
	v_xor_b32_e32 v25, 0x80000000, v25
	v_xor_b32_e32 v26, 0x80000000, v26
	v_xor_b32_e32 v27, 0x80000000, v27
	v_xor_b32_e32 v28, 0x80000000, v28
	s_waitcnt vmcnt(4)
	v_xor_b32_e32 v29, 0x80000000, v29
	v_xor_b32_e32 v30, 0x80000000, v30
	v_xor_b32_e32 v31, 0x80000000, v31
	v_xor_b32_e32 v32, 0x80000000, v32
	s_waitcnt vmcnt(3)
	v_xor_b32_e32 v34, 0x80000000, v34
	v_xor_b32_e32 v35, 0x80000000, v35
	v_xor_b32_e32 v36, 0x80000000, v36
	v_xor_b32_e32 v37, 0x80000000, v37
	s_waitcnt vmcnt(2)
	v_xor_b32_e32 v39, 0x80000000, v39
	v_xor_b32_e32 v40, 0x80000000, v40
	v_xor_b32_e32 v41, 0x80000000, v41
	v_xor_b32_e32 v42, 0x80000000, v42
	s_waitcnt vmcnt(1)
	v_xor_b32_e32 v43, 0x80000000, v44
	v_xor_b32_e32 v44, 0x80000000, v45
	v_xor_b32_e32 v46, 0x80000000, v46
	v_xor_b32_e32 v47, 0x80000000, v47
	s_waitcnt vmcnt(0)
	v_xor_b32_e32 v48, 0x80000000, v49
	v_xor_b32_e32 v49, 0x80000000, v50
	v_xor_b32_e32 v51, 0x80000000, v51
	v_xor_b32_e32 v52, 0x80000000, v52
	s_branch .LBB27_2
.LBB27_1:                               ;   in Loop: Header=BB27_2 Depth=1
	s_add_i32 s31, s31, 1
	s_cmp_eq_u32 s31, 10
	s_cbranch_scc1 .LBB27_12
.LBB27_2:                               ; =>This Loop Header: Depth=1
                                        ;     Child Loop BB27_4 Depth 2
                                        ;       Child Loop BB27_5 Depth 3
	s_mov_b32 s34, 0
	s_branch .LBB27_4
.LBB27_3:                               ;   in Loop: Header=BB27_4 Depth=2
	s_or_b64 exec, exec, s[22:23]
	s_waitcnt lgkmcnt(0)
	v_add_u32_e32 v104, v105, v104
	ds_bpermute_b32 v104, v14, v104
	ds_read_b32 v112, v5 offset:8204
	ds_read2_b64 v[106:109], v1 offset1:1
	ds_read_b64 v[110:111], v1 offset:16
	s_add_i32 s22, s34, 4
	s_cmp_lt_u32 s34, 28
	s_waitcnt lgkmcnt(3)
	v_cndmask_b32_e64 v104, v104, v105, s[4:5]
	s_waitcnt lgkmcnt(2)
	v_lshl_add_u32 v104, v112, 16, v104
	s_waitcnt lgkmcnt(1)
	v_add_u32_e32 v105, v104, v106
	v_add_u32_e32 v106, v107, v105
	;; [unrolled: 1-line block ×3, first 2 shown]
	ds_read_b32 v108, v1 offset:24
	ds_write2_b64 v1, v[104:105], v[106:107] offset1:1
	v_add_u32_e32 v104, v109, v107
	s_waitcnt lgkmcnt(2)
	v_add_u32_e32 v105, v110, v104
	v_add_u32_e32 v106, v111, v105
	s_waitcnt lgkmcnt(1)
	v_add_u32_e32 v107, v108, v106
	s_mov_b32 s34, s22
	ds_write2_b64 v1, v[104:105], v[106:107] offset0:2 offset1:3
	s_waitcnt lgkmcnt(0)
	s_barrier
	s_cbranch_scc0 .LBB27_1
.LBB27_4:                               ;   Parent Loop BB27_2 Depth=1
                                        ; =>  This Loop Header: Depth=2
                                        ;       Child Loop BB27_5 Depth 3
	s_mov_b64 s[24:25], 0
	v_mov_b32_e32 v2, v53
	v_mov_b32_e32 v3, v8
.LBB27_5:                               ;   Parent Loop BB27_2 Depth=1
                                        ;     Parent Loop BB27_4 Depth=2
                                        ; =>    This Inner Loop Header: Depth=3
	v_add_u32_e32 v2, 0x100, v2
	v_cmp_lt_u32_e64 s[22:23], s30, v2
	ds_write_b32 v3, v5
	s_or_b64 s[24:25], s[22:23], s[24:25]
	v_add_u32_e32 v3, 0x400, v3
	s_andn2_b64 exec, exec, s[24:25]
	s_cbranch_execnz .LBB27_5
; %bb.6:                                ;   in Loop: Header=BB27_4 Depth=2
	s_or_b64 exec, exec, s[24:25]
	s_sub_i32 s22, 28, s34
	v_lshlrev_b32_e32 v2, s22, v16
	v_lshrrev_b32_e32 v3, 20, v2
	v_and_or_b32 v3, v3, s33, v0
	v_alignbit_b32 v2, v3, v2, 31
	v_lshlrev_b32_e32 v3, 1, v2
	ds_read_u16 v2, v3
	v_lshlrev_b32_e32 v4, s22, v17
	v_lshrrev_b32_e32 v6, 20, v4
	v_and_or_b32 v6, v6, s33, v0
	v_alignbit_b32 v4, v6, v4, 31
	s_waitcnt lgkmcnt(0)
	v_add_u16_e32 v6, 1, v2
	ds_write_b16 v3, v6
	v_lshlrev_b32_e32 v6, 1, v4
	ds_read_u16 v4, v6
	v_lshlrev_b32_e32 v7, s22, v18
	v_lshrrev_b32_e32 v9, 20, v7
	v_and_or_b32 v9, v9, s33, v0
	v_alignbit_b32 v7, v9, v7, 31
	s_waitcnt lgkmcnt(0)
	v_add_u16_e32 v11, 1, v4
	ds_write_b16 v6, v11
	;; [unrolled: 9-line block ×3, first 2 shown]
	v_lshlrev_b32_e32 v13, 1, v11
	ds_read_u16 v11, v13
	v_lshlrev_b32_e32 v15, s22, v20
	s_waitcnt lgkmcnt(0)
	v_add_u16_e32 v24, 1, v11
	ds_write_b16 v13, v24
	v_lshrrev_b32_e32 v24, 20, v15
	v_and_or_b32 v24, v24, s33, v0
	v_alignbit_b32 v15, v24, v15, 31
	v_lshlrev_b32_e32 v24, 1, v15
	ds_read_u16 v15, v24
	s_waitcnt lgkmcnt(0)
	v_add_u16_e32 v33, 1, v15
	ds_write_b16 v24, v33
	v_lshlrev_b32_e32 v33, s22, v21
	v_lshrrev_b32_e32 v38, 20, v33
	v_and_or_b32 v38, v38, s33, v0
	v_alignbit_b32 v33, v38, v33, 31
	v_lshlrev_b32_e32 v38, 1, v33
	ds_read_u16 v33, v38
	s_waitcnt lgkmcnt(0)
	v_add_u16_e32 v45, 1, v33
	ds_write_b16 v38, v45
	v_lshlrev_b32_e32 v45, s22, v22
	v_lshrrev_b32_e32 v50, 20, v45
	v_and_or_b32 v50, v50, s33, v0
	v_alignbit_b32 v45, v50, v45, 31
	v_lshlrev_b32_e32 v50, 1, v45
	ds_read_u16 v45, v50
	s_waitcnt lgkmcnt(0)
	v_add_u16_e32 v54, 1, v45
	ds_write_b16 v50, v54
	v_lshlrev_b32_e32 v54, s22, v23
	v_lshrrev_b32_e32 v55, 20, v54
	v_and_or_b32 v55, v55, s33, v0
	v_alignbit_b32 v54, v55, v54, 31
	v_lshlrev_b32_e32 v55, 1, v54
	ds_read_u16 v54, v55
	s_waitcnt lgkmcnt(0)
	v_add_u16_e32 v56, 1, v54
	ds_write_b16 v55, v56
	v_lshlrev_b32_e32 v56, s22, v25
	v_lshrrev_b32_e32 v57, 20, v56
	v_and_or_b32 v57, v57, s33, v0
	v_alignbit_b32 v56, v57, v56, 31
	v_lshlrev_b32_e32 v57, 1, v56
	ds_read_u16 v56, v57
	s_waitcnt lgkmcnt(0)
	v_add_u16_e32 v58, 1, v56
	ds_write_b16 v57, v58
	v_lshlrev_b32_e32 v58, s22, v26
	v_lshrrev_b32_e32 v59, 20, v58
	v_and_or_b32 v59, v59, s33, v0
	v_alignbit_b32 v58, v59, v58, 31
	v_lshlrev_b32_e32 v59, 1, v58
	ds_read_u16 v58, v59
	s_waitcnt lgkmcnt(0)
	v_add_u16_e32 v60, 1, v58
	ds_write_b16 v59, v60
	v_lshlrev_b32_e32 v60, s22, v27
	v_lshrrev_b32_e32 v61, 20, v60
	v_and_or_b32 v61, v61, s33, v0
	v_alignbit_b32 v60, v61, v60, 31
	v_lshlrev_b32_e32 v61, 1, v60
	ds_read_u16 v60, v61
	s_waitcnt lgkmcnt(0)
	v_add_u16_e32 v62, 1, v60
	ds_write_b16 v61, v62
	v_lshlrev_b32_e32 v62, s22, v28
	v_lshrrev_b32_e32 v63, 20, v62
	v_and_or_b32 v63, v63, s33, v0
	v_alignbit_b32 v62, v63, v62, 31
	v_lshlrev_b32_e32 v63, 1, v62
	ds_read_u16 v62, v63
	s_waitcnt lgkmcnt(0)
	v_add_u16_e32 v64, 1, v62
	ds_write_b16 v63, v64
	v_lshlrev_b32_e32 v64, s22, v29
	v_lshrrev_b32_e32 v65, 20, v64
	v_and_or_b32 v65, v65, s33, v0
	v_alignbit_b32 v64, v65, v64, 31
	v_lshlrev_b32_e32 v65, 1, v64
	ds_read_u16 v64, v65
	s_waitcnt lgkmcnt(0)
	v_add_u16_e32 v66, 1, v64
	ds_write_b16 v65, v66
	v_lshlrev_b32_e32 v66, s22, v30
	v_lshrrev_b32_e32 v67, 20, v66
	v_and_or_b32 v67, v67, s33, v0
	v_alignbit_b32 v66, v67, v66, 31
	v_lshlrev_b32_e32 v67, 1, v66
	ds_read_u16 v66, v67
	s_waitcnt lgkmcnt(0)
	v_add_u16_e32 v68, 1, v66
	ds_write_b16 v67, v68
	v_lshlrev_b32_e32 v68, s22, v31
	v_lshrrev_b32_e32 v69, 20, v68
	v_and_or_b32 v69, v69, s33, v0
	v_alignbit_b32 v68, v69, v68, 31
	v_lshlrev_b32_e32 v69, 1, v68
	ds_read_u16 v68, v69
	s_waitcnt lgkmcnt(0)
	v_add_u16_e32 v70, 1, v68
	ds_write_b16 v69, v70
	v_lshlrev_b32_e32 v70, s22, v32
	v_lshrrev_b32_e32 v71, 20, v70
	v_and_or_b32 v71, v71, s33, v0
	v_alignbit_b32 v70, v71, v70, 31
	v_lshlrev_b32_e32 v71, 1, v70
	ds_read_u16 v70, v71
	s_waitcnt lgkmcnt(0)
	v_add_u16_e32 v72, 1, v70
	ds_write_b16 v71, v72
	v_lshlrev_b32_e32 v72, s22, v34
	v_lshrrev_b32_e32 v73, 20, v72
	v_and_or_b32 v73, v73, s33, v0
	v_alignbit_b32 v72, v73, v72, 31
	v_lshlrev_b32_e32 v73, 1, v72
	ds_read_u16 v72, v73
	s_waitcnt lgkmcnt(0)
	v_add_u16_e32 v74, 1, v72
	ds_write_b16 v73, v74
	v_lshlrev_b32_e32 v74, s22, v35
	v_lshrrev_b32_e32 v75, 20, v74
	v_and_or_b32 v75, v75, s33, v0
	v_alignbit_b32 v74, v75, v74, 31
	v_lshlrev_b32_e32 v75, 1, v74
	ds_read_u16 v74, v75
	s_waitcnt lgkmcnt(0)
	v_add_u16_e32 v76, 1, v74
	ds_write_b16 v75, v76
	v_lshlrev_b32_e32 v76, s22, v36
	v_lshrrev_b32_e32 v77, 20, v76
	v_and_or_b32 v77, v77, s33, v0
	v_alignbit_b32 v76, v77, v76, 31
	v_lshlrev_b32_e32 v77, 1, v76
	ds_read_u16 v76, v77
	s_waitcnt lgkmcnt(0)
	v_add_u16_e32 v78, 1, v76
	ds_write_b16 v77, v78
	v_lshlrev_b32_e32 v78, s22, v37
	v_lshrrev_b32_e32 v79, 20, v78
	v_and_or_b32 v79, v79, s33, v0
	v_alignbit_b32 v78, v79, v78, 31
	v_lshlrev_b32_e32 v79, 1, v78
	ds_read_u16 v78, v79
	s_waitcnt lgkmcnt(0)
	v_add_u16_e32 v80, 1, v78
	ds_write_b16 v79, v80
	v_lshlrev_b32_e32 v80, s22, v39
	v_lshrrev_b32_e32 v81, 20, v80
	v_and_or_b32 v81, v81, s33, v0
	v_alignbit_b32 v80, v81, v80, 31
	v_lshlrev_b32_e32 v81, 1, v80
	ds_read_u16 v80, v81
	s_waitcnt lgkmcnt(0)
	v_add_u16_e32 v82, 1, v80
	ds_write_b16 v81, v82
	v_lshlrev_b32_e32 v82, s22, v40
	v_lshrrev_b32_e32 v83, 20, v82
	v_and_or_b32 v83, v83, s33, v0
	v_alignbit_b32 v82, v83, v82, 31
	v_lshlrev_b32_e32 v83, 1, v82
	ds_read_u16 v82, v83
	s_waitcnt lgkmcnt(0)
	v_add_u16_e32 v84, 1, v82
	ds_write_b16 v83, v84
	v_lshlrev_b32_e32 v84, s22, v41
	v_lshrrev_b32_e32 v85, 20, v84
	v_and_or_b32 v85, v85, s33, v0
	v_alignbit_b32 v84, v85, v84, 31
	v_lshlrev_b32_e32 v85, 1, v84
	ds_read_u16 v84, v85
	s_waitcnt lgkmcnt(0)
	v_add_u16_e32 v86, 1, v84
	ds_write_b16 v85, v86
	v_lshlrev_b32_e32 v86, s22, v42
	v_lshrrev_b32_e32 v87, 20, v86
	v_and_or_b32 v87, v87, s33, v0
	v_alignbit_b32 v86, v87, v86, 31
	v_lshlrev_b32_e32 v87, 1, v86
	ds_read_u16 v86, v87
	s_waitcnt lgkmcnt(0)
	v_add_u16_e32 v88, 1, v86
	ds_write_b16 v87, v88
	v_lshlrev_b32_e32 v88, s22, v43
	v_lshrrev_b32_e32 v89, 20, v88
	v_and_or_b32 v89, v89, s33, v0
	v_alignbit_b32 v88, v89, v88, 31
	v_lshlrev_b32_e32 v89, 1, v88
	ds_read_u16 v88, v89
	s_waitcnt lgkmcnt(0)
	v_add_u16_e32 v90, 1, v88
	ds_write_b16 v89, v90
	v_lshlrev_b32_e32 v90, s22, v44
	v_lshrrev_b32_e32 v91, 20, v90
	v_and_or_b32 v91, v91, s33, v0
	v_alignbit_b32 v90, v91, v90, 31
	v_lshlrev_b32_e32 v91, 1, v90
	ds_read_u16 v90, v91
	s_waitcnt lgkmcnt(0)
	v_add_u16_e32 v92, 1, v90
	ds_write_b16 v91, v92
	v_lshlrev_b32_e32 v92, s22, v46
	v_lshrrev_b32_e32 v93, 20, v92
	v_and_or_b32 v93, v93, s33, v0
	v_alignbit_b32 v92, v93, v92, 31
	v_lshlrev_b32_e32 v93, 1, v92
	ds_read_u16 v92, v93
	s_waitcnt lgkmcnt(0)
	v_add_u16_e32 v94, 1, v92
	ds_write_b16 v93, v94
	v_lshlrev_b32_e32 v94, s22, v47
	v_lshrrev_b32_e32 v95, 20, v94
	v_and_or_b32 v95, v95, s33, v0
	v_alignbit_b32 v94, v95, v94, 31
	v_lshlrev_b32_e32 v95, 1, v94
	ds_read_u16 v94, v95
	s_waitcnt lgkmcnt(0)
	v_add_u16_e32 v96, 1, v94
	ds_write_b16 v95, v96
	v_lshlrev_b32_e32 v96, s22, v48
	v_lshrrev_b32_e32 v97, 20, v96
	v_and_or_b32 v97, v97, s33, v0
	v_alignbit_b32 v96, v97, v96, 31
	v_lshlrev_b32_e32 v97, 1, v96
	ds_read_u16 v96, v97
	s_waitcnt lgkmcnt(0)
	v_add_u16_e32 v98, 1, v96
	ds_write_b16 v97, v98
	v_lshlrev_b32_e32 v98, s22, v49
	v_lshrrev_b32_e32 v99, 20, v98
	v_and_or_b32 v99, v99, s33, v0
	v_alignbit_b32 v98, v99, v98, 31
	v_lshlrev_b32_e32 v101, 1, v98
	ds_read_u16 v98, v101
	s_waitcnt lgkmcnt(0)
	v_add_u16_e32 v99, 1, v98
	ds_write_b16 v101, v99
	v_lshlrev_b32_e32 v99, s22, v51
	v_lshrrev_b32_e32 v100, 20, v99
	v_and_or_b32 v100, v100, s33, v0
	v_alignbit_b32 v99, v100, v99, 31
	v_lshlrev_b32_e32 v102, 1, v99
	ds_read_u16 v99, v102
	s_waitcnt lgkmcnt(0)
	v_add_u16_e32 v100, 1, v99
	ds_write_b16 v102, v100
	v_lshlrev_b32_e32 v100, s22, v52
	v_lshrrev_b32_e32 v103, 20, v100
	v_and_or_b32 v103, v103, s33, v0
	v_alignbit_b32 v100, v103, v100, 31
	v_lshlrev_b32_e32 v103, 1, v100
	ds_read_u16 v100, v103
	s_waitcnt lgkmcnt(0)
	v_add_u16_e32 v104, 1, v100
	ds_write_b16 v103, v104
	s_waitcnt lgkmcnt(0)
	s_barrier
	ds_read2_b64 v[104:107], v1 offset1:1
	ds_read2_b64 v[108:111], v1 offset0:2 offset1:3
	s_waitcnt lgkmcnt(1)
	v_add_u32_e32 v104, v105, v104
	v_add3_u32 v104, v104, v106, v107
	s_waitcnt lgkmcnt(0)
	v_add3_u32 v104, v104, v108, v109
	v_add3_u32 v104, v104, v110, v111
	s_nop 1
	v_mov_b32_dpp v105, v104 row_shr:1 row_mask:0xf bank_mask:0xf
	v_cndmask_b32_e64 v105, v105, 0, s[8:9]
	v_add_u32_e32 v104, v105, v104
	s_nop 1
	v_mov_b32_dpp v105, v104 row_shr:2 row_mask:0xf bank_mask:0xf
	v_cndmask_b32_e64 v105, 0, v105, s[10:11]
	v_add_u32_e32 v104, v104, v105
	;; [unrolled: 4-line block ×4, first 2 shown]
	s_nop 1
	v_mov_b32_dpp v105, v104 row_bcast:15 row_mask:0xf bank_mask:0xf
	v_cndmask_b32_e64 v105, v105, 0, s[16:17]
	v_add_u32_e32 v104, v104, v105
	s_nop 1
	v_mov_b32_dpp v105, v104 row_bcast:31 row_mask:0xf bank_mask:0xf
	v_cndmask_b32_e64 v105, 0, v105, s[6:7]
	v_add_u32_e32 v104, v104, v105
	s_and_saveexec_b64 s[22:23], s[2:3]
; %bb.7:                                ;   in Loop: Header=BB27_4 Depth=2
	ds_write_b32 v10, v104 offset:8192
; %bb.8:                                ;   in Loop: Header=BB27_4 Depth=2
	s_or_b64 exec, exec, s[22:23]
	s_waitcnt lgkmcnt(0)
	s_barrier
	s_and_saveexec_b64 s[22:23], vcc
	s_cbranch_execz .LBB27_10
; %bb.9:                                ;   in Loop: Header=BB27_4 Depth=2
	ds_read_b32 v105, v12 offset:8192
	s_waitcnt lgkmcnt(0)
	s_nop 0
	v_mov_b32_dpp v106, v105 row_shr:1 row_mask:0xf bank_mask:0xf
	v_cndmask_b32_e64 v106, v106, 0, s[18:19]
	v_add_u32_e32 v105, v106, v105
	s_nop 1
	v_mov_b32_dpp v106, v105 row_shr:2 row_mask:0xf bank_mask:0xf
	v_cndmask_b32_e64 v106, 0, v106, s[20:21]
	v_add_u32_e32 v105, v105, v106
	ds_write_b32 v12, v105 offset:8192
.LBB27_10:                              ;   in Loop: Header=BB27_4 Depth=2
	s_or_b64 exec, exec, s[22:23]
	v_mov_b32_e32 v105, 0
	s_waitcnt lgkmcnt(0)
	s_barrier
	s_and_saveexec_b64 s[22:23], s[0:1]
	s_cbranch_execz .LBB27_3
; %bb.11:                               ;   in Loop: Header=BB27_4 Depth=2
	ds_read_b32 v105, v10 offset:8188
	s_branch .LBB27_3
.LBB27_12:
	ds_read_u16 v0, v103
	ds_read_u16 v5, v102
	;; [unrolled: 1-line block ×3, first 2 shown]
	s_add_u32 s0, s26, s28
	s_addc_u32 s1, s27, s29
	s_waitcnt lgkmcnt(2)
	v_add_u32_sdwa v19, v0, v100 dst_sel:DWORD dst_unused:UNUSED_PAD src0_sel:DWORD src1_sel:WORD_0
	s_waitcnt lgkmcnt(1)
	v_add_u32_sdwa v18, v5, v99 dst_sel:DWORD dst_unused:UNUSED_PAD src0_sel:DWORD src1_sel:WORD_0
	ds_read_u16 v0, v97
	ds_read_u16 v5, v95
	s_waitcnt lgkmcnt(2)
	v_add_u32_sdwa v17, v8, v98 dst_sel:DWORD dst_unused:UNUSED_PAD src0_sel:DWORD src1_sel:WORD_0
	ds_read_u16 v8, v93
	ds_read_u16 v10, v91
	s_waitcnt lgkmcnt(3)
	v_add_u32_sdwa v16, v0, v96 dst_sel:DWORD dst_unused:UNUSED_PAD src0_sel:DWORD src1_sel:WORD_0
	ds_read_u16 v0, v89
	s_waitcnt lgkmcnt(3)
	v_add_u32_sdwa v23, v5, v94 dst_sel:DWORD dst_unused:UNUSED_PAD src0_sel:DWORD src1_sel:WORD_0
	s_waitcnt lgkmcnt(2)
	v_add_u32_sdwa v22, v8, v92 dst_sel:DWORD dst_unused:UNUSED_PAD src0_sel:DWORD src1_sel:WORD_0
	ds_read_u16 v5, v87
	ds_read_u16 v8, v85
	s_waitcnt lgkmcnt(3)
	v_add_u32_sdwa v21, v10, v90 dst_sel:DWORD dst_unused:UNUSED_PAD src0_sel:DWORD src1_sel:WORD_0
	s_waitcnt lgkmcnt(2)
	v_add_u32_sdwa v20, v0, v88 dst_sel:DWORD dst_unused:UNUSED_PAD src0_sel:DWORD src1_sel:WORD_0
	ds_read_u16 v0, v83
	ds_read_u16 v10, v81
	s_waitcnt lgkmcnt(3)
	v_add_u32_sdwa v28, v5, v86 dst_sel:DWORD dst_unused:UNUSED_PAD src0_sel:DWORD src1_sel:WORD_0
	ds_read_u16 v5, v79
	s_waitcnt lgkmcnt(3)
	v_add_u32_sdwa v27, v8, v84 dst_sel:DWORD dst_unused:UNUSED_PAD src0_sel:DWORD src1_sel:WORD_0
	s_waitcnt lgkmcnt(2)
	v_add_u32_sdwa v26, v0, v82 dst_sel:DWORD dst_unused:UNUSED_PAD src0_sel:DWORD src1_sel:WORD_0
	ds_read_u16 v0, v77
	ds_read_u16 v8, v75
	s_waitcnt lgkmcnt(3)
	v_add_u32_sdwa v25, v10, v80 dst_sel:DWORD dst_unused:UNUSED_PAD src0_sel:DWORD src1_sel:WORD_0
	;; [unrolled: 15-line block ×3, first 2 shown]
	s_waitcnt lgkmcnt(2)
	v_add_u32_sdwa v36, v0, v68 dst_sel:DWORD dst_unused:UNUSED_PAD src0_sel:DWORD src1_sel:WORD_0
	ds_read_u16 v0, v63
	ds_read_u16 v10, v61
	s_waitcnt lgkmcnt(3)
	v_add_u32_sdwa v35, v5, v66 dst_sel:DWORD dst_unused:UNUSED_PAD src0_sel:DWORD src1_sel:WORD_0
	ds_read_u16 v5, v59
	s_waitcnt lgkmcnt(3)
	v_add_u32_sdwa v34, v8, v64 dst_sel:DWORD dst_unused:UNUSED_PAD src0_sel:DWORD src1_sel:WORD_0
	s_waitcnt lgkmcnt(2)
	v_add_u32_sdwa v41, v0, v62 dst_sel:DWORD dst_unused:UNUSED_PAD src0_sel:DWORD src1_sel:WORD_0
	;; [unrolled: 2-line block ×3, first 2 shown]
	ds_read_u16 v0, v57
	ds_read_u16 v8, v55
	ds_read_u16 v10, v50
	s_waitcnt lgkmcnt(3)
	v_add_u32_sdwa v39, v5, v58 dst_sel:DWORD dst_unused:UNUSED_PAD src0_sel:DWORD src1_sel:WORD_0
	ds_read_u16 v5, v38
	s_waitcnt lgkmcnt(3)
	v_add_u32_sdwa v38, v0, v56 dst_sel:DWORD dst_unused:UNUSED_PAD src0_sel:DWORD src1_sel:WORD_0
	s_waitcnt lgkmcnt(2)
	v_add_u32_sdwa v46, v8, v54 dst_sel:DWORD dst_unused:UNUSED_PAD src0_sel:DWORD src1_sel:WORD_0
	ds_read_u16 v0, v24
	s_waitcnt lgkmcnt(2)
	v_add_u32_sdwa v45, v10, v45 dst_sel:DWORD dst_unused:UNUSED_PAD src0_sel:DWORD src1_sel:WORD_0
	s_waitcnt lgkmcnt(1)
	v_add_u32_sdwa v44, v5, v33 dst_sel:DWORD dst_unused:UNUSED_PAD src0_sel:DWORD src1_sel:WORD_0
	ds_read_u16 v5, v13
	ds_read_u16 v8, v9
	ds_read_u16 v9, v6
	ds_read_u16 v3, v3
	s_waitcnt lgkmcnt(4)
	v_add_u32_sdwa v43, v0, v15 dst_sel:DWORD dst_unused:UNUSED_PAD src0_sel:DWORD src1_sel:WORD_0
	s_waitcnt lgkmcnt(3)
	v_add_u32_sdwa v6, v5, v11 dst_sel:DWORD dst_unused:UNUSED_PAD src0_sel:DWORD src1_sel:WORD_0
	;; [unrolled: 2-line block ×5, first 2 shown]
	v_lshlrev_b32_e32 v0, 2, v1
	global_store_dwordx4 v0, v[3:6], s[0:1]
	global_store_dwordx4 v0, v[43:46], s[0:1] offset:16
	global_store_dwordx4 v0, v[38:41], s[0:1] offset:32
	global_store_dwordx4 v0, v[34:37], s[0:1] offset:48
	global_store_dwordx4 v0, v[29:32], s[0:1] offset:64
	global_store_dwordx4 v0, v[25:28], s[0:1] offset:80
	global_store_dwordx4 v0, v[20:23], s[0:1] offset:96
	global_store_dwordx4 v0, v[16:19], s[0:1] offset:112
	s_endpgm
	.section	.rodata,"a",@progbits
	.p2align	6, 0x0
	.amdhsa_kernel _Z11rank_kernelIiLj4ELb0EL18RadixRankAlgorithm0ELj256ELj32ELj10EEvPKT_Pi
		.amdhsa_group_segment_fixed_size 8208
		.amdhsa_private_segment_fixed_size 0
		.amdhsa_kernarg_size 16
		.amdhsa_user_sgpr_count 6
		.amdhsa_user_sgpr_private_segment_buffer 1
		.amdhsa_user_sgpr_dispatch_ptr 0
		.amdhsa_user_sgpr_queue_ptr 0
		.amdhsa_user_sgpr_kernarg_segment_ptr 1
		.amdhsa_user_sgpr_dispatch_id 0
		.amdhsa_user_sgpr_flat_scratch_init 0
		.amdhsa_user_sgpr_private_segment_size 0
		.amdhsa_uses_dynamic_stack 0
		.amdhsa_system_sgpr_private_segment_wavefront_offset 0
		.amdhsa_system_sgpr_workgroup_id_x 1
		.amdhsa_system_sgpr_workgroup_id_y 0
		.amdhsa_system_sgpr_workgroup_id_z 0
		.amdhsa_system_sgpr_workgroup_info 0
		.amdhsa_system_vgpr_workitem_id 0
		.amdhsa_next_free_vgpr 113
		.amdhsa_next_free_sgpr 77
		.amdhsa_reserve_vcc 1
		.amdhsa_reserve_flat_scratch 0
		.amdhsa_float_round_mode_32 0
		.amdhsa_float_round_mode_16_64 0
		.amdhsa_float_denorm_mode_32 3
		.amdhsa_float_denorm_mode_16_64 3
		.amdhsa_dx10_clamp 1
		.amdhsa_ieee_mode 1
		.amdhsa_fp16_overflow 0
		.amdhsa_exception_fp_ieee_invalid_op 0
		.amdhsa_exception_fp_denorm_src 0
		.amdhsa_exception_fp_ieee_div_zero 0
		.amdhsa_exception_fp_ieee_overflow 0
		.amdhsa_exception_fp_ieee_underflow 0
		.amdhsa_exception_fp_ieee_inexact 0
		.amdhsa_exception_int_div_zero 0
	.end_amdhsa_kernel
	.section	.text._Z11rank_kernelIiLj4ELb0EL18RadixRankAlgorithm0ELj256ELj32ELj10EEvPKT_Pi,"axG",@progbits,_Z11rank_kernelIiLj4ELb0EL18RadixRankAlgorithm0ELj256ELj32ELj10EEvPKT_Pi,comdat
.Lfunc_end27:
	.size	_Z11rank_kernelIiLj4ELb0EL18RadixRankAlgorithm0ELj256ELj32ELj10EEvPKT_Pi, .Lfunc_end27-_Z11rank_kernelIiLj4ELb0EL18RadixRankAlgorithm0ELj256ELj32ELj10EEvPKT_Pi
                                        ; -- End function
	.set _Z11rank_kernelIiLj4ELb0EL18RadixRankAlgorithm0ELj256ELj32ELj10EEvPKT_Pi.num_vgpr, 113
	.set _Z11rank_kernelIiLj4ELb0EL18RadixRankAlgorithm0ELj256ELj32ELj10EEvPKT_Pi.num_agpr, 0
	.set _Z11rank_kernelIiLj4ELb0EL18RadixRankAlgorithm0ELj256ELj32ELj10EEvPKT_Pi.numbered_sgpr, 35
	.set _Z11rank_kernelIiLj4ELb0EL18RadixRankAlgorithm0ELj256ELj32ELj10EEvPKT_Pi.num_named_barrier, 0
	.set _Z11rank_kernelIiLj4ELb0EL18RadixRankAlgorithm0ELj256ELj32ELj10EEvPKT_Pi.private_seg_size, 0
	.set _Z11rank_kernelIiLj4ELb0EL18RadixRankAlgorithm0ELj256ELj32ELj10EEvPKT_Pi.uses_vcc, 1
	.set _Z11rank_kernelIiLj4ELb0EL18RadixRankAlgorithm0ELj256ELj32ELj10EEvPKT_Pi.uses_flat_scratch, 0
	.set _Z11rank_kernelIiLj4ELb0EL18RadixRankAlgorithm0ELj256ELj32ELj10EEvPKT_Pi.has_dyn_sized_stack, 0
	.set _Z11rank_kernelIiLj4ELb0EL18RadixRankAlgorithm0ELj256ELj32ELj10EEvPKT_Pi.has_recursion, 0
	.set _Z11rank_kernelIiLj4ELb0EL18RadixRankAlgorithm0ELj256ELj32ELj10EEvPKT_Pi.has_indirect_call, 0
	.section	.AMDGPU.csdata,"",@progbits
; Kernel info:
; codeLenInByte = 3552
; TotalNumSgprs: 39
; NumVgprs: 113
; ScratchSize: 0
; MemoryBound: 0
; FloatMode: 240
; IeeeMode: 1
; LDSByteSize: 8208 bytes/workgroup (compile time only)
; SGPRBlocks: 10
; VGPRBlocks: 28
; NumSGPRsForWavesPerEU: 81
; NumVGPRsForWavesPerEU: 113
; Occupancy: 2
; WaveLimiterHint : 0
; COMPUTE_PGM_RSRC2:SCRATCH_EN: 0
; COMPUTE_PGM_RSRC2:USER_SGPR: 6
; COMPUTE_PGM_RSRC2:TRAP_HANDLER: 0
; COMPUTE_PGM_RSRC2:TGID_X_EN: 1
; COMPUTE_PGM_RSRC2:TGID_Y_EN: 0
; COMPUTE_PGM_RSRC2:TGID_Z_EN: 0
; COMPUTE_PGM_RSRC2:TIDIG_COMP_CNT: 0
	.section	.text._Z11rank_kernelIiLj4ELb0EL18RadixRankAlgorithm1ELj256ELj32ELj10EEvPKT_Pi,"axG",@progbits,_Z11rank_kernelIiLj4ELb0EL18RadixRankAlgorithm1ELj256ELj32ELj10EEvPKT_Pi,comdat
	.protected	_Z11rank_kernelIiLj4ELb0EL18RadixRankAlgorithm1ELj256ELj32ELj10EEvPKT_Pi ; -- Begin function _Z11rank_kernelIiLj4ELb0EL18RadixRankAlgorithm1ELj256ELj32ELj10EEvPKT_Pi
	.globl	_Z11rank_kernelIiLj4ELb0EL18RadixRankAlgorithm1ELj256ELj32ELj10EEvPKT_Pi
	.p2align	8
	.type	_Z11rank_kernelIiLj4ELb0EL18RadixRankAlgorithm1ELj256ELj32ELj10EEvPKT_Pi,@function
_Z11rank_kernelIiLj4ELb0EL18RadixRankAlgorithm1ELj256ELj32ELj10EEvPKT_Pi: ; @_Z11rank_kernelIiLj4ELb0EL18RadixRankAlgorithm1ELj256ELj32ELj10EEvPKT_Pi
; %bb.0:
	s_load_dwordx4 s[24:27], s[4:5], 0x0
	s_lshl_b32 s30, s6, 13
	s_mov_b32 s31, 0
	s_lshl_b64 s[28:29], s[30:31], 2
	v_lshlrev_b32_e32 v9, 7, v0
	s_waitcnt lgkmcnt(0)
	s_add_u32 s0, s24, s28
	s_addc_u32 s1, s25, s29
	global_load_dwordx4 v[1:4], v9, s[0:1]
	global_load_dwordx4 v[5:8], v9, s[0:1] offset:16
	global_load_dwordx4 v[33:36], v9, s[0:1] offset:32
	;; [unrolled: 1-line block ×7, first 2 shown]
	v_mbcnt_lo_u32_b32 v9, -1, 0
	v_mbcnt_hi_u32_b32 v11, -1, v9
	v_or_b32_e32 v10, 63, v0
	v_subrev_co_u32_e64 v17, s[4:5], 1, v11
	v_and_b32_e32 v19, 64, v11
	v_cmp_eq_u32_e64 s[2:3], v0, v10
	v_and_b32_e32 v10, 15, v11
	v_cmp_lt_i32_e64 s[18:19], v17, v19
	v_lshrrev_b32_e32 v12, 4, v0
	v_lshlrev_b32_e32 v9, 5, v0
	v_mul_i32_i24_e32 v14, 0xffffffe4, v0
	v_and_b32_e32 v15, 16, v11
	v_and_b32_e32 v21, 3, v11
	v_cmp_eq_u32_e64 s[8:9], 0, v10
	v_cmp_lt_u32_e64 s[10:11], 1, v10
	v_cmp_lt_u32_e64 s[12:13], 3, v10
	;; [unrolled: 1-line block ×3, first 2 shown]
	v_cndmask_b32_e64 v10, v17, v11, s[18:19]
	s_movk_i32 s30, 0x6ff
	s_movk_i32 s33, 0x700
	v_mov_b32_e32 v13, 0
	v_cmp_gt_u32_e32 vcc, 4, v0
	v_cmp_lt_u32_e64 s[0:1], 63, v0
	v_lshlrev_b32_e32 v16, 2, v0
	v_cmp_lt_u32_e64 s[6:7], 31, v11
	v_and_b32_e32 v18, 12, v12
	v_add_u32_e32 v20, v9, v14
	v_cmp_eq_u32_e64 s[16:17], 0, v15
	v_cmp_eq_u32_e64 s[18:19], 0, v21
	v_cmp_lt_u32_e64 s[20:21], 1, v21
	v_lshlrev_b32_e32 v22, 2, v10
	v_or_b32_e32 v61, 0xffffff00, v0
	s_waitcnt vmcnt(7)
	v_xor_b32_e32 v24, 0x80000000, v1
	v_xor_b32_e32 v25, 0x80000000, v2
	v_xor_b32_e32 v26, 0x80000000, v3
	v_xor_b32_e32 v27, 0x80000000, v4
	s_waitcnt vmcnt(6)
	v_xor_b32_e32 v28, 0x80000000, v5
	v_xor_b32_e32 v29, 0x80000000, v6
	v_xor_b32_e32 v30, 0x80000000, v7
	v_xor_b32_e32 v31, 0x80000000, v8
	;; [unrolled: 5-line block ×8, first 2 shown]
	s_branch .LBB28_2
.LBB28_1:                               ;   in Loop: Header=BB28_2 Depth=1
	s_add_i32 s31, s31, 1
	s_cmp_eq_u32 s31, 10
	s_cbranch_scc1 .LBB28_12
.LBB28_2:                               ; =>This Loop Header: Depth=1
                                        ;     Child Loop BB28_4 Depth 2
                                        ;       Child Loop BB28_5 Depth 3
	s_mov_b32 s34, 0
	s_branch .LBB28_4
.LBB28_3:                               ;   in Loop: Header=BB28_4 Depth=2
	s_or_b64 exec, exec, s[22:23]
	s_waitcnt lgkmcnt(0)
	v_add_u32_e32 v4, v112, v4
	ds_bpermute_b32 v4, v22, v4
	ds_read_b32 v113, v13 offset:8204
	s_add_i32 s22, s34, 4
	s_cmp_lt_u32 s34, 28
	s_mov_b32 s34, s22
	s_waitcnt lgkmcnt(1)
	v_cndmask_b32_e64 v4, v4, v112, s[4:5]
	s_waitcnt lgkmcnt(0)
	v_lshl_add_u32 v4, v113, 16, v4
	v_add_u32_e32 v5, v4, v5
	v_add_u32_e32 v6, v5, v6
	;; [unrolled: 1-line block ×7, first 2 shown]
	ds_write2_b64 v9, v[4:5], v[6:7] offset1:1
	ds_write2_b64 v9, v[112:113], v[1:2] offset0:2 offset1:3
	s_waitcnt lgkmcnt(0)
	s_barrier
	s_cbranch_scc0 .LBB28_1
.LBB28_4:                               ;   Parent Loop BB28_2 Depth=1
                                        ; =>  This Loop Header: Depth=2
                                        ;       Child Loop BB28_5 Depth 3
	s_mov_b64 s[24:25], 0
	v_mov_b32_e32 v1, v61
	v_mov_b32_e32 v2, v16
.LBB28_5:                               ;   Parent Loop BB28_2 Depth=1
                                        ;     Parent Loop BB28_4 Depth=2
                                        ; =>    This Inner Loop Header: Depth=3
	v_add_u32_e32 v1, 0x100, v1
	v_cmp_lt_u32_e64 s[22:23], s30, v1
	ds_write_b32 v2, v13
	s_or_b64 s[24:25], s[22:23], s[24:25]
	v_add_u32_e32 v2, 0x400, v2
	s_andn2_b64 exec, exec, s[24:25]
	s_cbranch_execnz .LBB28_5
; %bb.6:                                ;   in Loop: Header=BB28_4 Depth=2
	s_or_b64 exec, exec, s[24:25]
	s_sub_i32 s22, 28, s34
	v_lshlrev_b32_e32 v1, s22, v24
	v_lshrrev_b32_e32 v2, 20, v1
	v_and_or_b32 v2, v2, s33, v0
	v_alignbit_b32 v1, v2, v1, 31
	v_lshlrev_b32_e32 v11, 1, v1
	ds_read_u16 v10, v11
	v_lshlrev_b32_e32 v1, s22, v25
	v_lshrrev_b32_e32 v2, 20, v1
	v_and_or_b32 v2, v2, s33, v0
	v_alignbit_b32 v1, v2, v1, 31
	s_waitcnt lgkmcnt(0)
	v_add_u16_e32 v2, 1, v10
	ds_write_b16 v11, v2
	v_lshlrev_b32_e32 v14, 1, v1
	ds_read_u16 v12, v14
	v_lshlrev_b32_e32 v1, s22, v26
	v_lshrrev_b32_e32 v2, 20, v1
	v_and_or_b32 v2, v2, s33, v0
	v_alignbit_b32 v1, v2, v1, 31
	s_waitcnt lgkmcnt(0)
	v_add_u16_e32 v3, 1, v12
	ds_write_b16 v14, v3
	;; [unrolled: 9-line block ×3, first 2 shown]
	v_lshlrev_b32_e32 v21, 1, v1
	ds_read_u16 v19, v21
	v_lshlrev_b32_e32 v1, s22, v28
	s_waitcnt lgkmcnt(0)
	v_add_u16_e32 v2, 1, v19
	ds_write_b16 v21, v2
	v_lshrrev_b32_e32 v2, 20, v1
	v_and_or_b32 v2, v2, s33, v0
	v_alignbit_b32 v1, v2, v1, 31
	v_lshlrev_b32_e32 v32, 1, v1
	ds_read_u16 v23, v32
	s_waitcnt lgkmcnt(0)
	v_add_u16_e32 v1, 1, v23
	ds_write_b16 v32, v1
	v_lshlrev_b32_e32 v1, s22, v29
	v_lshrrev_b32_e32 v2, 20, v1
	v_and_or_b32 v2, v2, s33, v0
	v_alignbit_b32 v1, v2, v1, 31
	v_lshlrev_b32_e32 v46, 1, v1
	ds_read_u16 v41, v46
	s_waitcnt lgkmcnt(0)
	v_add_u16_e32 v1, 1, v41
	ds_write_b16 v46, v1
	v_lshlrev_b32_e32 v1, s22, v30
	;; [unrolled: 9-line block ×27, first 2 shown]
	v_lshrrev_b32_e32 v2, 20, v1
	v_and_or_b32 v2, v2, s33, v0
	v_alignbit_b32 v1, v2, v1, 31
	v_lshlrev_b32_e32 v111, 1, v1
	ds_read_u16 v108, v111
	s_waitcnt lgkmcnt(0)
	v_add_u16_e32 v1, 1, v108
	ds_write_b16 v111, v1
	s_waitcnt lgkmcnt(0)
	s_barrier
	ds_read2_b64 v[5:8], v9 offset1:1
	ds_read2_b64 v[1:4], v9 offset0:2 offset1:3
	s_waitcnt lgkmcnt(1)
	v_add_u32_e32 v112, v6, v5
	v_add3_u32 v112, v112, v7, v8
	s_waitcnt lgkmcnt(0)
	v_add3_u32 v112, v112, v1, v2
	v_add3_u32 v4, v112, v3, v4
	s_nop 1
	v_mov_b32_dpp v112, v4 row_shr:1 row_mask:0xf bank_mask:0xf
	v_cndmask_b32_e64 v112, v112, 0, s[8:9]
	v_add_u32_e32 v4, v112, v4
	s_nop 1
	v_mov_b32_dpp v112, v4 row_shr:2 row_mask:0xf bank_mask:0xf
	v_cndmask_b32_e64 v112, 0, v112, s[10:11]
	v_add_u32_e32 v4, v4, v112
	;; [unrolled: 4-line block ×4, first 2 shown]
	s_nop 1
	v_mov_b32_dpp v112, v4 row_bcast:15 row_mask:0xf bank_mask:0xf
	v_cndmask_b32_e64 v112, v112, 0, s[16:17]
	v_add_u32_e32 v4, v4, v112
	s_nop 1
	v_mov_b32_dpp v112, v4 row_bcast:31 row_mask:0xf bank_mask:0xf
	v_cndmask_b32_e64 v112, 0, v112, s[6:7]
	v_add_u32_e32 v4, v4, v112
	s_and_saveexec_b64 s[22:23], s[2:3]
; %bb.7:                                ;   in Loop: Header=BB28_4 Depth=2
	ds_write_b32 v18, v4 offset:8192
; %bb.8:                                ;   in Loop: Header=BB28_4 Depth=2
	s_or_b64 exec, exec, s[22:23]
	s_waitcnt lgkmcnt(0)
	s_barrier
	s_and_saveexec_b64 s[22:23], vcc
	s_cbranch_execz .LBB28_10
; %bb.9:                                ;   in Loop: Header=BB28_4 Depth=2
	ds_read_b32 v112, v20 offset:8192
	s_waitcnt lgkmcnt(0)
	s_nop 0
	v_mov_b32_dpp v113, v112 row_shr:1 row_mask:0xf bank_mask:0xf
	v_cndmask_b32_e64 v113, v113, 0, s[18:19]
	v_add_u32_e32 v112, v113, v112
	s_nop 1
	v_mov_b32_dpp v113, v112 row_shr:2 row_mask:0xf bank_mask:0xf
	v_cndmask_b32_e64 v113, 0, v113, s[20:21]
	v_add_u32_e32 v112, v112, v113
	ds_write_b32 v20, v112 offset:8192
.LBB28_10:                              ;   in Loop: Header=BB28_4 Depth=2
	s_or_b64 exec, exec, s[22:23]
	v_mov_b32_e32 v112, 0
	s_waitcnt lgkmcnt(0)
	s_barrier
	s_and_saveexec_b64 s[22:23], s[0:1]
	s_cbranch_execz .LBB28_3
; %bb.11:                               ;   in Loop: Header=BB28_4 Depth=2
	ds_read_b32 v112, v18 offset:8188
	s_branch .LBB28_3
.LBB28_12:
	ds_read_u16 v0, v111
	ds_read_u16 v1, v110
	;; [unrolled: 1-line block ×3, first 2 shown]
	s_add_u32 s0, s26, s28
	s_addc_u32 s1, s27, s29
	s_waitcnt lgkmcnt(2)
	v_add_u32_sdwa v3, v0, v108 dst_sel:DWORD dst_unused:UNUSED_PAD src0_sel:DWORD src1_sel:WORD_0
	s_waitcnt lgkmcnt(1)
	v_add_u32_sdwa v2, v1, v107 dst_sel:DWORD dst_unused:UNUSED_PAD src0_sel:DWORD src1_sel:WORD_0
	ds_read_u16 v0, v105
	ds_read_u16 v5, v103
	s_waitcnt lgkmcnt(2)
	v_add_u32_sdwa v1, v4, v106 dst_sel:DWORD dst_unused:UNUSED_PAD src0_sel:DWORD src1_sel:WORD_0
	ds_read_u16 v4, v101
	ds_read_u16 v8, v99
	ds_read_u16 v13, v97
	s_waitcnt lgkmcnt(4)
	v_add_u32_sdwa v0, v0, v104 dst_sel:DWORD dst_unused:UNUSED_PAD src0_sel:DWORD src1_sel:WORD_0
	s_waitcnt lgkmcnt(3)
	v_add_u32_sdwa v7, v5, v102 dst_sel:DWORD dst_unused:UNUSED_PAD src0_sel:DWORD src1_sel:WORD_0
	s_waitcnt lgkmcnt(2)
	v_add_u32_sdwa v6, v4, v100 dst_sel:DWORD dst_unused:UNUSED_PAD src0_sel:DWORD src1_sel:WORD_0
	s_waitcnt lgkmcnt(1)
	v_add_u32_sdwa v5, v8, v98 dst_sel:DWORD dst_unused:UNUSED_PAD src0_sel:DWORD src1_sel:WORD_0
	ds_read_u16 v8, v95
	ds_read_u16 v16, v93
	s_waitcnt lgkmcnt(2)
	v_add_u32_sdwa v4, v13, v96 dst_sel:DWORD dst_unused:UNUSED_PAD src0_sel:DWORD src1_sel:WORD_0
	ds_read_u16 v13, v91
	ds_read_u16 v18, v89
	s_waitcnt lgkmcnt(3)
	v_add_u32_sdwa v27, v8, v94 dst_sel:DWORD dst_unused:UNUSED_PAD src0_sel:DWORD src1_sel:WORD_0
	ds_read_u16 v8, v87
	s_waitcnt lgkmcnt(3)
	v_add_u32_sdwa v26, v16, v92 dst_sel:DWORD dst_unused:UNUSED_PAD src0_sel:DWORD src1_sel:WORD_0
	s_waitcnt lgkmcnt(2)
	v_add_u32_sdwa v25, v13, v90 dst_sel:DWORD dst_unused:UNUSED_PAD src0_sel:DWORD src1_sel:WORD_0
	ds_read_u16 v13, v85
	ds_read_u16 v16, v83
	s_waitcnt lgkmcnt(3)
	v_add_u32_sdwa v24, v18, v88 dst_sel:DWORD dst_unused:UNUSED_PAD src0_sel:DWORD src1_sel:WORD_0
	s_waitcnt lgkmcnt(2)
	v_add_u32_sdwa v31, v8, v86 dst_sel:DWORD dst_unused:UNUSED_PAD src0_sel:DWORD src1_sel:WORD_0
	ds_read_u16 v8, v81
	ds_read_u16 v18, v79
	s_waitcnt lgkmcnt(3)
	v_add_u32_sdwa v30, v13, v84 dst_sel:DWORD dst_unused:UNUSED_PAD src0_sel:DWORD src1_sel:WORD_0
	ds_read_u16 v13, v77
	s_waitcnt lgkmcnt(3)
	v_add_u32_sdwa v29, v16, v82 dst_sel:DWORD dst_unused:UNUSED_PAD src0_sel:DWORD src1_sel:WORD_0
	s_waitcnt lgkmcnt(2)
	v_add_u32_sdwa v28, v8, v80 dst_sel:DWORD dst_unused:UNUSED_PAD src0_sel:DWORD src1_sel:WORD_0
	ds_read_u16 v8, v75
	ds_read_u16 v16, v73
	s_waitcnt lgkmcnt(3)
	v_add_u32_sdwa v36, v18, v78 dst_sel:DWORD dst_unused:UNUSED_PAD src0_sel:DWORD src1_sel:WORD_0
	s_waitcnt lgkmcnt(2)
	v_add_u32_sdwa v35, v13, v76 dst_sel:DWORD dst_unused:UNUSED_PAD src0_sel:DWORD src1_sel:WORD_0
	ds_read_u16 v13, v71
	ds_read_u16 v18, v69
	s_waitcnt lgkmcnt(3)
	v_add_u32_sdwa v34, v8, v74 dst_sel:DWORD dst_unused:UNUSED_PAD src0_sel:DWORD src1_sel:WORD_0
	ds_read_u16 v8, v67
	s_waitcnt lgkmcnt(3)
	v_add_u32_sdwa v33, v16, v72 dst_sel:DWORD dst_unused:UNUSED_PAD src0_sel:DWORD src1_sel:WORD_0
	s_waitcnt lgkmcnt(2)
	v_add_u32_sdwa v40, v13, v70 dst_sel:DWORD dst_unused:UNUSED_PAD src0_sel:DWORD src1_sel:WORD_0
	s_waitcnt lgkmcnt(1)
	v_add_u32_sdwa v39, v18, v68 dst_sel:DWORD dst_unused:UNUSED_PAD src0_sel:DWORD src1_sel:WORD_0
	ds_read_u16 v13, v65
	ds_read_u16 v16, v63
	ds_read_u16 v18, v58
	s_waitcnt lgkmcnt(3)
	v_add_u32_sdwa v38, v8, v66 dst_sel:DWORD dst_unused:UNUSED_PAD src0_sel:DWORD src1_sel:WORD_0
	ds_read_u16 v8, v46
	s_waitcnt lgkmcnt(3)
	v_add_u32_sdwa v37, v13, v64 dst_sel:DWORD dst_unused:UNUSED_PAD src0_sel:DWORD src1_sel:WORD_0
	s_waitcnt lgkmcnt(2)
	v_add_u32_sdwa v44, v16, v62 dst_sel:DWORD dst_unused:UNUSED_PAD src0_sel:DWORD src1_sel:WORD_0
	ds_read_u16 v13, v32
	s_waitcnt lgkmcnt(2)
	v_add_u32_sdwa v43, v18, v53 dst_sel:DWORD dst_unused:UNUSED_PAD src0_sel:DWORD src1_sel:WORD_0
	s_waitcnt lgkmcnt(1)
	v_add_u32_sdwa v42, v8, v41 dst_sel:DWORD dst_unused:UNUSED_PAD src0_sel:DWORD src1_sel:WORD_0
	ds_read_u16 v8, v21
	ds_read_u16 v16, v17
	;; [unrolled: 1-line block ×4, first 2 shown]
	s_waitcnt lgkmcnt(4)
	v_add_u32_sdwa v41, v13, v23 dst_sel:DWORD dst_unused:UNUSED_PAD src0_sel:DWORD src1_sel:WORD_0
	s_waitcnt lgkmcnt(3)
	v_add_u32_sdwa v14, v8, v19 dst_sel:DWORD dst_unused:UNUSED_PAD src0_sel:DWORD src1_sel:WORD_0
	;; [unrolled: 2-line block ×5, first 2 shown]
	v_lshlrev_b32_e32 v8, 2, v9
	global_store_dwordx4 v8, v[11:14], s[0:1]
	global_store_dwordx4 v8, v[41:44], s[0:1] offset:16
	global_store_dwordx4 v8, v[37:40], s[0:1] offset:32
	;; [unrolled: 1-line block ×7, first 2 shown]
	s_endpgm
	.section	.rodata,"a",@progbits
	.p2align	6, 0x0
	.amdhsa_kernel _Z11rank_kernelIiLj4ELb0EL18RadixRankAlgorithm1ELj256ELj32ELj10EEvPKT_Pi
		.amdhsa_group_segment_fixed_size 8208
		.amdhsa_private_segment_fixed_size 0
		.amdhsa_kernarg_size 16
		.amdhsa_user_sgpr_count 6
		.amdhsa_user_sgpr_private_segment_buffer 1
		.amdhsa_user_sgpr_dispatch_ptr 0
		.amdhsa_user_sgpr_queue_ptr 0
		.amdhsa_user_sgpr_kernarg_segment_ptr 1
		.amdhsa_user_sgpr_dispatch_id 0
		.amdhsa_user_sgpr_flat_scratch_init 0
		.amdhsa_user_sgpr_private_segment_size 0
		.amdhsa_uses_dynamic_stack 0
		.amdhsa_system_sgpr_private_segment_wavefront_offset 0
		.amdhsa_system_sgpr_workgroup_id_x 1
		.amdhsa_system_sgpr_workgroup_id_y 0
		.amdhsa_system_sgpr_workgroup_id_z 0
		.amdhsa_system_sgpr_workgroup_info 0
		.amdhsa_system_vgpr_workitem_id 0
		.amdhsa_next_free_vgpr 114
		.amdhsa_next_free_sgpr 77
		.amdhsa_reserve_vcc 1
		.amdhsa_reserve_flat_scratch 0
		.amdhsa_float_round_mode_32 0
		.amdhsa_float_round_mode_16_64 0
		.amdhsa_float_denorm_mode_32 3
		.amdhsa_float_denorm_mode_16_64 3
		.amdhsa_dx10_clamp 1
		.amdhsa_ieee_mode 1
		.amdhsa_fp16_overflow 0
		.amdhsa_exception_fp_ieee_invalid_op 0
		.amdhsa_exception_fp_denorm_src 0
		.amdhsa_exception_fp_ieee_div_zero 0
		.amdhsa_exception_fp_ieee_overflow 0
		.amdhsa_exception_fp_ieee_underflow 0
		.amdhsa_exception_fp_ieee_inexact 0
		.amdhsa_exception_int_div_zero 0
	.end_amdhsa_kernel
	.section	.text._Z11rank_kernelIiLj4ELb0EL18RadixRankAlgorithm1ELj256ELj32ELj10EEvPKT_Pi,"axG",@progbits,_Z11rank_kernelIiLj4ELb0EL18RadixRankAlgorithm1ELj256ELj32ELj10EEvPKT_Pi,comdat
.Lfunc_end28:
	.size	_Z11rank_kernelIiLj4ELb0EL18RadixRankAlgorithm1ELj256ELj32ELj10EEvPKT_Pi, .Lfunc_end28-_Z11rank_kernelIiLj4ELb0EL18RadixRankAlgorithm1ELj256ELj32ELj10EEvPKT_Pi
                                        ; -- End function
	.set _Z11rank_kernelIiLj4ELb0EL18RadixRankAlgorithm1ELj256ELj32ELj10EEvPKT_Pi.num_vgpr, 114
	.set _Z11rank_kernelIiLj4ELb0EL18RadixRankAlgorithm1ELj256ELj32ELj10EEvPKT_Pi.num_agpr, 0
	.set _Z11rank_kernelIiLj4ELb0EL18RadixRankAlgorithm1ELj256ELj32ELj10EEvPKT_Pi.numbered_sgpr, 35
	.set _Z11rank_kernelIiLj4ELb0EL18RadixRankAlgorithm1ELj256ELj32ELj10EEvPKT_Pi.num_named_barrier, 0
	.set _Z11rank_kernelIiLj4ELb0EL18RadixRankAlgorithm1ELj256ELj32ELj10EEvPKT_Pi.private_seg_size, 0
	.set _Z11rank_kernelIiLj4ELb0EL18RadixRankAlgorithm1ELj256ELj32ELj10EEvPKT_Pi.uses_vcc, 1
	.set _Z11rank_kernelIiLj4ELb0EL18RadixRankAlgorithm1ELj256ELj32ELj10EEvPKT_Pi.uses_flat_scratch, 0
	.set _Z11rank_kernelIiLj4ELb0EL18RadixRankAlgorithm1ELj256ELj32ELj10EEvPKT_Pi.has_dyn_sized_stack, 0
	.set _Z11rank_kernelIiLj4ELb0EL18RadixRankAlgorithm1ELj256ELj32ELj10EEvPKT_Pi.has_recursion, 0
	.set _Z11rank_kernelIiLj4ELb0EL18RadixRankAlgorithm1ELj256ELj32ELj10EEvPKT_Pi.has_indirect_call, 0
	.section	.AMDGPU.csdata,"",@progbits
; Kernel info:
; codeLenInByte = 3516
; TotalNumSgprs: 39
; NumVgprs: 114
; ScratchSize: 0
; MemoryBound: 0
; FloatMode: 240
; IeeeMode: 1
; LDSByteSize: 8208 bytes/workgroup (compile time only)
; SGPRBlocks: 10
; VGPRBlocks: 28
; NumSGPRsForWavesPerEU: 81
; NumVGPRsForWavesPerEU: 114
; Occupancy: 2
; WaveLimiterHint : 0
; COMPUTE_PGM_RSRC2:SCRATCH_EN: 0
; COMPUTE_PGM_RSRC2:USER_SGPR: 6
; COMPUTE_PGM_RSRC2:TRAP_HANDLER: 0
; COMPUTE_PGM_RSRC2:TGID_X_EN: 1
; COMPUTE_PGM_RSRC2:TGID_Y_EN: 0
; COMPUTE_PGM_RSRC2:TGID_Z_EN: 0
; COMPUTE_PGM_RSRC2:TIDIG_COMP_CNT: 0
	.section	.text._Z11rank_kernelIiLj4ELb0EL18RadixRankAlgorithm2ELj256ELj32ELj10EEvPKT_Pi,"axG",@progbits,_Z11rank_kernelIiLj4ELb0EL18RadixRankAlgorithm2ELj256ELj32ELj10EEvPKT_Pi,comdat
	.protected	_Z11rank_kernelIiLj4ELb0EL18RadixRankAlgorithm2ELj256ELj32ELj10EEvPKT_Pi ; -- Begin function _Z11rank_kernelIiLj4ELb0EL18RadixRankAlgorithm2ELj256ELj32ELj10EEvPKT_Pi
	.globl	_Z11rank_kernelIiLj4ELb0EL18RadixRankAlgorithm2ELj256ELj32ELj10EEvPKT_Pi
	.p2align	8
	.type	_Z11rank_kernelIiLj4ELb0EL18RadixRankAlgorithm2ELj256ELj32ELj10EEvPKT_Pi,@function
_Z11rank_kernelIiLj4ELb0EL18RadixRankAlgorithm2ELj256ELj32ELj10EEvPKT_Pi: ; @_Z11rank_kernelIiLj4ELb0EL18RadixRankAlgorithm2ELj256ELj32ELj10EEvPKT_Pi
; %bb.0:
	s_load_dwordx4 s[24:27], s[4:5], 0x0
	s_load_dword s20, s[4:5], 0x1c
	s_lshl_b32 s30, s6, 13
	s_mov_b32 s31, 0
	s_lshl_b64 s[28:29], s[30:31], 2
	s_waitcnt lgkmcnt(0)
	s_add_u32 s0, s24, s28
	s_addc_u32 s1, s25, s29
	v_lshlrev_b32_e32 v3, 7, v0
	global_load_dwordx4 v[14:17], v3, s[0:1]
	global_load_dwordx4 v[18:21], v3, s[0:1] offset:16
	global_load_dwordx4 v[22:25], v3, s[0:1] offset:32
	;; [unrolled: 1-line block ×7, first 2 shown]
	s_lshr_b32 s21, s20, 16
	v_or_b32_e32 v7, 63, v0
	s_and_b32 s20, s20, 0xffff
	v_mad_u32_u24 v1, v2, s21, v1
	v_mbcnt_lo_u32_b32 v4, -1, 0
	v_lshlrev_b32_e32 v5, 5, v0
	v_lshlrev_b32_e32 v6, 2, v0
	v_cmp_gt_u32_e32 vcc, 4, v0
	v_cmp_lt_u32_e64 s[0:1], 63, v0
	v_lshrrev_b32_e32 v8, 4, v0
	v_cmp_eq_u32_e64 s[4:5], v0, v7
	v_mad_u64_u32 v[0:1], s[20:21], v1, s20, v[0:1]
	v_mbcnt_hi_u32_b32 v4, -1, v4
	v_subrev_co_u32_e64 v7, s[6:7], 1, v4
	v_and_b32_e32 v12, 64, v4
	v_cmp_lt_i32_e64 s[18:19], v7, v12
	v_and_b32_e32 v9, 15, v4
	v_and_b32_e32 v11, 16, v4
	v_cmp_lt_u32_e64 s[2:3], 31, v4
	v_and_b32_e32 v10, 12, v8
	v_and_b32_e32 v8, 3, v4
	v_cndmask_b32_e64 v4, v7, v4, s[18:19]
	v_lshrrev_b32_e32 v0, 4, v0
	v_mov_b32_e32 v3, 0
	v_cmp_eq_u32_e64 s[8:9], 0, v9
	v_cmp_lt_u32_e64 s[10:11], 1, v9
	v_cmp_lt_u32_e64 s[12:13], 3, v9
	;; [unrolled: 1-line block ×3, first 2 shown]
	v_cmp_eq_u32_e64 s[16:17], 0, v11
	v_cmp_eq_u32_e64 s[18:19], 0, v8
	v_cmp_lt_u32_e64 s[20:21], 1, v8
	v_add_u32_e32 v12, -4, v10
	v_lshlrev_b32_e32 v13, 2, v4
	v_and_b32_e32 v2, 0xffffffc, v0
	s_waitcnt vmcnt(7)
	v_xor_b32_e32 v14, 0x80000000, v14
	v_xor_b32_e32 v15, 0x80000000, v15
	v_xor_b32_e32 v16, 0x80000000, v16
	v_xor_b32_e32 v17, 0x80000000, v17
	s_waitcnt vmcnt(6)
	v_xor_b32_e32 v18, 0x80000000, v18
	v_xor_b32_e32 v19, 0x80000000, v19
	v_xor_b32_e32 v20, 0x80000000, v20
	v_xor_b32_e32 v21, 0x80000000, v21
	;; [unrolled: 5-line block ×8, first 2 shown]
	s_branch .LBB29_2
.LBB29_1:                               ;   in Loop: Header=BB29_2 Depth=1
	s_add_i32 s31, s31, 1
	s_cmp_eq_u32 s31, 10
	s_cbranch_scc1 .LBB29_74
.LBB29_2:                               ; =>This Loop Header: Depth=1
                                        ;     Child Loop BB29_4 Depth 2
	s_mov_b32 s30, -4
	s_mov_b32 s33, 28
	s_branch .LBB29_4
.LBB29_3:                               ;   in Loop: Header=BB29_4 Depth=2
	s_or_b64 exec, exec, s[22:23]
	s_waitcnt lgkmcnt(0)
	v_add_u32_e32 v0, v1, v0
	ds_bpermute_b32 v0, v13, v0
	s_add_i32 s33, s33, -4
	s_add_i32 s30, s30, 4
	s_cmp_lt_u32 s30, 28
	s_waitcnt lgkmcnt(0)
	v_cndmask_b32_e64 v0, v0, v1, s[6:7]
	ds_write_b32 v6, v0 offset:16
	s_waitcnt lgkmcnt(0)
	s_barrier
	s_cbranch_scc0 .LBB29_1
.LBB29_4:                               ;   Parent Loop BB29_2 Depth=1
                                        ; =>  This Inner Loop Header: Depth=2
	v_lshlrev_b32_e32 v0, s33, v14
	v_lshrrev_b32_e32 v0, 28, v0
	v_and_b32_e32 v1, 1, v0
	v_add_co_u32_e64 v4, s[22:23], -1, v1
	v_addc_co_u32_e64 v8, s[22:23], 0, -1, s[22:23]
	v_cmp_ne_u32_e64 s[22:23], 0, v1
	v_xor_b32_e32 v4, s22, v4
	v_xor_b32_e32 v1, s23, v8
	v_and_b32_e32 v8, exec_lo, v4
	v_lshlrev_b32_e32 v4, 30, v0
	v_cmp_gt_i64_e64 s[22:23], 0, v[3:4]
	v_not_b32_e32 v4, v4
	v_ashrrev_i32_e32 v4, 31, v4
	v_xor_b32_e32 v9, s23, v4
	v_xor_b32_e32 v4, s22, v4
	v_and_b32_e32 v8, v8, v4
	v_lshlrev_b32_e32 v4, 29, v0
	v_cmp_gt_i64_e64 s[22:23], 0, v[3:4]
	v_not_b32_e32 v4, v4
	v_and_b32_e32 v1, exec_hi, v1
	v_ashrrev_i32_e32 v4, 31, v4
	v_and_b32_e32 v1, v1, v9
	v_xor_b32_e32 v9, s23, v4
	v_xor_b32_e32 v4, s22, v4
	v_and_b32_e32 v8, v8, v4
	v_lshlrev_b32_e32 v4, 28, v0
	v_mul_u32_u24_e32 v7, 20, v0
	v_cmp_gt_i64_e64 s[22:23], 0, v[3:4]
	v_not_b32_e32 v0, v4
	v_ashrrev_i32_e32 v0, 31, v0
	v_xor_b32_e32 v4, s23, v0
	v_xor_b32_e32 v0, s22, v0
	v_and_b32_e32 v1, v1, v9
	v_and_b32_e32 v0, v8, v0
	;; [unrolled: 1-line block ×3, first 2 shown]
	v_mbcnt_lo_u32_b32 v4, v0, 0
	v_mbcnt_hi_u32_b32 v8, v1, v4
	v_cmp_ne_u64_e64 s[22:23], 0, v[0:1]
	v_cmp_eq_u32_e64 s[24:25], 0, v8
	s_and_b64 s[24:25], s[22:23], s[24:25]
	ds_write_b32 v6, v3 offset:16
	s_waitcnt lgkmcnt(0)
	s_barrier
	; wave barrier
	s_and_saveexec_b64 s[22:23], s[24:25]
; %bb.5:                                ;   in Loop: Header=BB29_4 Depth=2
	v_bcnt_u32_b32 v0, v0, 0
	v_bcnt_u32_b32 v0, v1, v0
	v_add_u32_e32 v1, v2, v7
	ds_write_b32 v1, v0 offset:16
; %bb.6:                                ;   in Loop: Header=BB29_4 Depth=2
	s_or_b64 exec, exec, s[22:23]
	v_lshlrev_b32_e32 v0, s33, v15
	v_lshrrev_b32_e32 v0, 28, v0
	v_mad_u32_u24 v1, v0, 20, v2
	; wave barrier
	ds_read_b32 v9, v1 offset:16
	v_and_b32_e32 v1, 1, v0
	v_add_co_u32_e64 v4, s[22:23], -1, v1
	v_addc_co_u32_e64 v33, s[22:23], 0, -1, s[22:23]
	v_cmp_ne_u32_e64 s[22:23], 0, v1
	v_xor_b32_e32 v4, s22, v4
	v_xor_b32_e32 v1, s23, v33
	v_and_b32_e32 v33, exec_lo, v4
	v_lshlrev_b32_e32 v4, 30, v0
	v_cmp_gt_i64_e64 s[22:23], 0, v[3:4]
	v_not_b32_e32 v4, v4
	v_ashrrev_i32_e32 v4, 31, v4
	v_xor_b32_e32 v47, s23, v4
	v_xor_b32_e32 v4, s22, v4
	v_and_b32_e32 v33, v33, v4
	v_lshlrev_b32_e32 v4, 29, v0
	v_cmp_gt_i64_e64 s[22:23], 0, v[3:4]
	v_not_b32_e32 v4, v4
	v_and_b32_e32 v1, exec_hi, v1
	v_ashrrev_i32_e32 v4, 31, v4
	v_and_b32_e32 v1, v1, v47
	v_xor_b32_e32 v47, s23, v4
	v_xor_b32_e32 v4, s22, v4
	v_and_b32_e32 v33, v33, v4
	v_lshlrev_b32_e32 v4, 28, v0
	v_mul_u32_u24_e32 v11, 20, v0
	v_cmp_gt_i64_e64 s[22:23], 0, v[3:4]
	v_not_b32_e32 v0, v4
	v_ashrrev_i32_e32 v0, 31, v0
	v_xor_b32_e32 v4, s23, v0
	v_xor_b32_e32 v0, s22, v0
	v_and_b32_e32 v1, v1, v47
	v_and_b32_e32 v0, v33, v0
	;; [unrolled: 1-line block ×3, first 2 shown]
	v_mbcnt_lo_u32_b32 v4, v0, 0
	v_mbcnt_hi_u32_b32 v33, v1, v4
	v_cmp_ne_u64_e64 s[22:23], 0, v[0:1]
	v_cmp_eq_u32_e64 s[24:25], 0, v33
	s_and_b64 s[24:25], s[22:23], s[24:25]
	; wave barrier
	s_and_saveexec_b64 s[22:23], s[24:25]
	s_cbranch_execz .LBB29_8
; %bb.7:                                ;   in Loop: Header=BB29_4 Depth=2
	v_bcnt_u32_b32 v0, v0, 0
	v_bcnt_u32_b32 v0, v1, v0
	s_waitcnt lgkmcnt(0)
	v_add_u32_e32 v0, v9, v0
	v_add_u32_e32 v1, v2, v11
	ds_write_b32 v1, v0 offset:16
.LBB29_8:                               ;   in Loop: Header=BB29_4 Depth=2
	s_or_b64 exec, exec, s[22:23]
	v_lshlrev_b32_e32 v0, s33, v16
	v_lshrrev_b32_e32 v0, 28, v0
	v_mad_u32_u24 v1, v0, 20, v2
	; wave barrier
	ds_read_b32 v47, v1 offset:16
	v_and_b32_e32 v1, 1, v0
	v_add_co_u32_e64 v4, s[22:23], -1, v1
	v_addc_co_u32_e64 v49, s[22:23], 0, -1, s[22:23]
	v_cmp_ne_u32_e64 s[22:23], 0, v1
	v_xor_b32_e32 v4, s22, v4
	v_xor_b32_e32 v1, s23, v49
	v_and_b32_e32 v49, exec_lo, v4
	v_lshlrev_b32_e32 v4, 30, v0
	v_cmp_gt_i64_e64 s[22:23], 0, v[3:4]
	v_not_b32_e32 v4, v4
	v_ashrrev_i32_e32 v4, 31, v4
	v_xor_b32_e32 v50, s23, v4
	v_xor_b32_e32 v4, s22, v4
	v_and_b32_e32 v49, v49, v4
	v_lshlrev_b32_e32 v4, 29, v0
	v_cmp_gt_i64_e64 s[22:23], 0, v[3:4]
	v_not_b32_e32 v4, v4
	v_and_b32_e32 v1, exec_hi, v1
	v_ashrrev_i32_e32 v4, 31, v4
	v_and_b32_e32 v1, v1, v50
	v_xor_b32_e32 v50, s23, v4
	v_xor_b32_e32 v4, s22, v4
	v_and_b32_e32 v49, v49, v4
	v_lshlrev_b32_e32 v4, 28, v0
	v_mul_u32_u24_e32 v48, 20, v0
	v_cmp_gt_i64_e64 s[22:23], 0, v[3:4]
	v_not_b32_e32 v0, v4
	v_ashrrev_i32_e32 v0, 31, v0
	v_xor_b32_e32 v4, s23, v0
	v_xor_b32_e32 v0, s22, v0
	v_and_b32_e32 v1, v1, v50
	v_and_b32_e32 v0, v49, v0
	;; [unrolled: 1-line block ×3, first 2 shown]
	v_mbcnt_lo_u32_b32 v4, v0, 0
	v_mbcnt_hi_u32_b32 v49, v1, v4
	v_cmp_ne_u64_e64 s[22:23], 0, v[0:1]
	v_cmp_eq_u32_e64 s[24:25], 0, v49
	s_and_b64 s[24:25], s[22:23], s[24:25]
	; wave barrier
	s_and_saveexec_b64 s[22:23], s[24:25]
	s_cbranch_execz .LBB29_10
; %bb.9:                                ;   in Loop: Header=BB29_4 Depth=2
	v_bcnt_u32_b32 v0, v0, 0
	v_bcnt_u32_b32 v0, v1, v0
	s_waitcnt lgkmcnt(0)
	v_add_u32_e32 v0, v47, v0
	v_add_u32_e32 v1, v2, v48
	ds_write_b32 v1, v0 offset:16
.LBB29_10:                              ;   in Loop: Header=BB29_4 Depth=2
	s_or_b64 exec, exec, s[22:23]
	v_lshlrev_b32_e32 v0, s33, v17
	v_lshrrev_b32_e32 v0, 28, v0
	v_mad_u32_u24 v1, v0, 20, v2
	; wave barrier
	ds_read_b32 v50, v1 offset:16
	v_and_b32_e32 v1, 1, v0
	v_add_co_u32_e64 v4, s[22:23], -1, v1
	v_addc_co_u32_e64 v52, s[22:23], 0, -1, s[22:23]
	v_cmp_ne_u32_e64 s[22:23], 0, v1
	v_xor_b32_e32 v4, s22, v4
	v_xor_b32_e32 v1, s23, v52
	v_and_b32_e32 v52, exec_lo, v4
	v_lshlrev_b32_e32 v4, 30, v0
	v_cmp_gt_i64_e64 s[22:23], 0, v[3:4]
	v_not_b32_e32 v4, v4
	v_ashrrev_i32_e32 v4, 31, v4
	v_xor_b32_e32 v53, s23, v4
	v_xor_b32_e32 v4, s22, v4
	v_and_b32_e32 v52, v52, v4
	v_lshlrev_b32_e32 v4, 29, v0
	v_cmp_gt_i64_e64 s[22:23], 0, v[3:4]
	v_not_b32_e32 v4, v4
	v_and_b32_e32 v1, exec_hi, v1
	v_ashrrev_i32_e32 v4, 31, v4
	v_and_b32_e32 v1, v1, v53
	v_xor_b32_e32 v53, s23, v4
	v_xor_b32_e32 v4, s22, v4
	v_and_b32_e32 v52, v52, v4
	v_lshlrev_b32_e32 v4, 28, v0
	v_mul_u32_u24_e32 v51, 20, v0
	v_cmp_gt_i64_e64 s[22:23], 0, v[3:4]
	v_not_b32_e32 v0, v4
	v_ashrrev_i32_e32 v0, 31, v0
	v_xor_b32_e32 v4, s23, v0
	v_xor_b32_e32 v0, s22, v0
	v_and_b32_e32 v1, v1, v53
	v_and_b32_e32 v0, v52, v0
	v_and_b32_e32 v1, v1, v4
	v_mbcnt_lo_u32_b32 v4, v0, 0
	v_mbcnt_hi_u32_b32 v52, v1, v4
	v_cmp_ne_u64_e64 s[22:23], 0, v[0:1]
	v_cmp_eq_u32_e64 s[24:25], 0, v52
	s_and_b64 s[24:25], s[22:23], s[24:25]
	; wave barrier
	s_and_saveexec_b64 s[22:23], s[24:25]
	s_cbranch_execz .LBB29_12
; %bb.11:                               ;   in Loop: Header=BB29_4 Depth=2
	v_bcnt_u32_b32 v0, v0, 0
	v_bcnt_u32_b32 v0, v1, v0
	s_waitcnt lgkmcnt(0)
	v_add_u32_e32 v0, v50, v0
	v_add_u32_e32 v1, v2, v51
	ds_write_b32 v1, v0 offset:16
.LBB29_12:                              ;   in Loop: Header=BB29_4 Depth=2
	s_or_b64 exec, exec, s[22:23]
	v_lshlrev_b32_e32 v0, s33, v18
	v_lshrrev_b32_e32 v0, 28, v0
	v_mad_u32_u24 v1, v0, 20, v2
	; wave barrier
	ds_read_b32 v53, v1 offset:16
	v_and_b32_e32 v1, 1, v0
	v_add_co_u32_e64 v4, s[22:23], -1, v1
	v_addc_co_u32_e64 v55, s[22:23], 0, -1, s[22:23]
	v_cmp_ne_u32_e64 s[22:23], 0, v1
	v_xor_b32_e32 v4, s22, v4
	v_xor_b32_e32 v1, s23, v55
	v_and_b32_e32 v55, exec_lo, v4
	v_lshlrev_b32_e32 v4, 30, v0
	v_cmp_gt_i64_e64 s[22:23], 0, v[3:4]
	v_not_b32_e32 v4, v4
	v_ashrrev_i32_e32 v4, 31, v4
	v_xor_b32_e32 v56, s23, v4
	v_xor_b32_e32 v4, s22, v4
	v_and_b32_e32 v55, v55, v4
	v_lshlrev_b32_e32 v4, 29, v0
	v_cmp_gt_i64_e64 s[22:23], 0, v[3:4]
	v_not_b32_e32 v4, v4
	v_and_b32_e32 v1, exec_hi, v1
	v_ashrrev_i32_e32 v4, 31, v4
	v_and_b32_e32 v1, v1, v56
	v_xor_b32_e32 v56, s23, v4
	v_xor_b32_e32 v4, s22, v4
	v_and_b32_e32 v55, v55, v4
	v_lshlrev_b32_e32 v4, 28, v0
	v_mul_u32_u24_e32 v54, 20, v0
	v_cmp_gt_i64_e64 s[22:23], 0, v[3:4]
	v_not_b32_e32 v0, v4
	v_ashrrev_i32_e32 v0, 31, v0
	v_xor_b32_e32 v4, s23, v0
	v_xor_b32_e32 v0, s22, v0
	v_and_b32_e32 v1, v1, v56
	v_and_b32_e32 v0, v55, v0
	v_and_b32_e32 v1, v1, v4
	v_mbcnt_lo_u32_b32 v4, v0, 0
	v_mbcnt_hi_u32_b32 v55, v1, v4
	v_cmp_ne_u64_e64 s[22:23], 0, v[0:1]
	v_cmp_eq_u32_e64 s[24:25], 0, v55
	s_and_b64 s[24:25], s[22:23], s[24:25]
	; wave barrier
	s_and_saveexec_b64 s[22:23], s[24:25]
	s_cbranch_execz .LBB29_14
; %bb.13:                               ;   in Loop: Header=BB29_4 Depth=2
	v_bcnt_u32_b32 v0, v0, 0
	v_bcnt_u32_b32 v0, v1, v0
	s_waitcnt lgkmcnt(0)
	v_add_u32_e32 v0, v53, v0
	v_add_u32_e32 v1, v2, v54
	ds_write_b32 v1, v0 offset:16
.LBB29_14:                              ;   in Loop: Header=BB29_4 Depth=2
	s_or_b64 exec, exec, s[22:23]
	v_lshlrev_b32_e32 v0, s33, v19
	v_lshrrev_b32_e32 v0, 28, v0
	v_mad_u32_u24 v1, v0, 20, v2
	; wave barrier
	ds_read_b32 v56, v1 offset:16
	v_and_b32_e32 v1, 1, v0
	v_add_co_u32_e64 v4, s[22:23], -1, v1
	v_addc_co_u32_e64 v58, s[22:23], 0, -1, s[22:23]
	v_cmp_ne_u32_e64 s[22:23], 0, v1
	v_xor_b32_e32 v4, s22, v4
	v_xor_b32_e32 v1, s23, v58
	v_and_b32_e32 v58, exec_lo, v4
	v_lshlrev_b32_e32 v4, 30, v0
	v_cmp_gt_i64_e64 s[22:23], 0, v[3:4]
	v_not_b32_e32 v4, v4
	v_ashrrev_i32_e32 v4, 31, v4
	v_xor_b32_e32 v59, s23, v4
	v_xor_b32_e32 v4, s22, v4
	v_and_b32_e32 v58, v58, v4
	v_lshlrev_b32_e32 v4, 29, v0
	v_cmp_gt_i64_e64 s[22:23], 0, v[3:4]
	v_not_b32_e32 v4, v4
	v_and_b32_e32 v1, exec_hi, v1
	v_ashrrev_i32_e32 v4, 31, v4
	v_and_b32_e32 v1, v1, v59
	v_xor_b32_e32 v59, s23, v4
	v_xor_b32_e32 v4, s22, v4
	v_and_b32_e32 v58, v58, v4
	v_lshlrev_b32_e32 v4, 28, v0
	v_mul_u32_u24_e32 v57, 20, v0
	v_cmp_gt_i64_e64 s[22:23], 0, v[3:4]
	v_not_b32_e32 v0, v4
	v_ashrrev_i32_e32 v0, 31, v0
	v_xor_b32_e32 v4, s23, v0
	v_xor_b32_e32 v0, s22, v0
	v_and_b32_e32 v1, v1, v59
	v_and_b32_e32 v0, v58, v0
	v_and_b32_e32 v1, v1, v4
	v_mbcnt_lo_u32_b32 v4, v0, 0
	v_mbcnt_hi_u32_b32 v58, v1, v4
	v_cmp_ne_u64_e64 s[22:23], 0, v[0:1]
	v_cmp_eq_u32_e64 s[24:25], 0, v58
	s_and_b64 s[24:25], s[22:23], s[24:25]
	; wave barrier
	s_and_saveexec_b64 s[22:23], s[24:25]
	s_cbranch_execz .LBB29_16
; %bb.15:                               ;   in Loop: Header=BB29_4 Depth=2
	v_bcnt_u32_b32 v0, v0, 0
	v_bcnt_u32_b32 v0, v1, v0
	s_waitcnt lgkmcnt(0)
	v_add_u32_e32 v0, v56, v0
	v_add_u32_e32 v1, v2, v57
	ds_write_b32 v1, v0 offset:16
.LBB29_16:                              ;   in Loop: Header=BB29_4 Depth=2
	s_or_b64 exec, exec, s[22:23]
	v_lshlrev_b32_e32 v0, s33, v20
	v_lshrrev_b32_e32 v0, 28, v0
	v_mad_u32_u24 v1, v0, 20, v2
	; wave barrier
	ds_read_b32 v59, v1 offset:16
	v_and_b32_e32 v1, 1, v0
	v_add_co_u32_e64 v4, s[22:23], -1, v1
	v_addc_co_u32_e64 v61, s[22:23], 0, -1, s[22:23]
	v_cmp_ne_u32_e64 s[22:23], 0, v1
	v_xor_b32_e32 v4, s22, v4
	v_xor_b32_e32 v1, s23, v61
	v_and_b32_e32 v61, exec_lo, v4
	v_lshlrev_b32_e32 v4, 30, v0
	v_cmp_gt_i64_e64 s[22:23], 0, v[3:4]
	v_not_b32_e32 v4, v4
	v_ashrrev_i32_e32 v4, 31, v4
	v_xor_b32_e32 v62, s23, v4
	v_xor_b32_e32 v4, s22, v4
	v_and_b32_e32 v61, v61, v4
	v_lshlrev_b32_e32 v4, 29, v0
	v_cmp_gt_i64_e64 s[22:23], 0, v[3:4]
	v_not_b32_e32 v4, v4
	v_and_b32_e32 v1, exec_hi, v1
	v_ashrrev_i32_e32 v4, 31, v4
	v_and_b32_e32 v1, v1, v62
	v_xor_b32_e32 v62, s23, v4
	v_xor_b32_e32 v4, s22, v4
	v_and_b32_e32 v61, v61, v4
	v_lshlrev_b32_e32 v4, 28, v0
	v_mul_u32_u24_e32 v60, 20, v0
	v_cmp_gt_i64_e64 s[22:23], 0, v[3:4]
	v_not_b32_e32 v0, v4
	v_ashrrev_i32_e32 v0, 31, v0
	v_xor_b32_e32 v4, s23, v0
	v_xor_b32_e32 v0, s22, v0
	v_and_b32_e32 v1, v1, v62
	v_and_b32_e32 v0, v61, v0
	v_and_b32_e32 v1, v1, v4
	v_mbcnt_lo_u32_b32 v4, v0, 0
	v_mbcnt_hi_u32_b32 v61, v1, v4
	v_cmp_ne_u64_e64 s[22:23], 0, v[0:1]
	v_cmp_eq_u32_e64 s[24:25], 0, v61
	s_and_b64 s[24:25], s[22:23], s[24:25]
	; wave barrier
	s_and_saveexec_b64 s[22:23], s[24:25]
	s_cbranch_execz .LBB29_18
; %bb.17:                               ;   in Loop: Header=BB29_4 Depth=2
	v_bcnt_u32_b32 v0, v0, 0
	v_bcnt_u32_b32 v0, v1, v0
	s_waitcnt lgkmcnt(0)
	v_add_u32_e32 v0, v59, v0
	v_add_u32_e32 v1, v2, v60
	ds_write_b32 v1, v0 offset:16
.LBB29_18:                              ;   in Loop: Header=BB29_4 Depth=2
	s_or_b64 exec, exec, s[22:23]
	v_lshlrev_b32_e32 v0, s33, v21
	v_lshrrev_b32_e32 v0, 28, v0
	v_mad_u32_u24 v1, v0, 20, v2
	; wave barrier
	ds_read_b32 v62, v1 offset:16
	v_and_b32_e32 v1, 1, v0
	v_add_co_u32_e64 v4, s[22:23], -1, v1
	v_addc_co_u32_e64 v64, s[22:23], 0, -1, s[22:23]
	v_cmp_ne_u32_e64 s[22:23], 0, v1
	v_xor_b32_e32 v4, s22, v4
	v_xor_b32_e32 v1, s23, v64
	v_and_b32_e32 v64, exec_lo, v4
	v_lshlrev_b32_e32 v4, 30, v0
	v_cmp_gt_i64_e64 s[22:23], 0, v[3:4]
	v_not_b32_e32 v4, v4
	v_ashrrev_i32_e32 v4, 31, v4
	v_xor_b32_e32 v65, s23, v4
	v_xor_b32_e32 v4, s22, v4
	v_and_b32_e32 v64, v64, v4
	v_lshlrev_b32_e32 v4, 29, v0
	v_cmp_gt_i64_e64 s[22:23], 0, v[3:4]
	v_not_b32_e32 v4, v4
	v_and_b32_e32 v1, exec_hi, v1
	v_ashrrev_i32_e32 v4, 31, v4
	v_and_b32_e32 v1, v1, v65
	v_xor_b32_e32 v65, s23, v4
	v_xor_b32_e32 v4, s22, v4
	v_and_b32_e32 v64, v64, v4
	v_lshlrev_b32_e32 v4, 28, v0
	v_mul_u32_u24_e32 v63, 20, v0
	v_cmp_gt_i64_e64 s[22:23], 0, v[3:4]
	v_not_b32_e32 v0, v4
	v_ashrrev_i32_e32 v0, 31, v0
	v_xor_b32_e32 v4, s23, v0
	v_xor_b32_e32 v0, s22, v0
	v_and_b32_e32 v1, v1, v65
	v_and_b32_e32 v0, v64, v0
	v_and_b32_e32 v1, v1, v4
	v_mbcnt_lo_u32_b32 v4, v0, 0
	v_mbcnt_hi_u32_b32 v64, v1, v4
	v_cmp_ne_u64_e64 s[22:23], 0, v[0:1]
	v_cmp_eq_u32_e64 s[24:25], 0, v64
	s_and_b64 s[24:25], s[22:23], s[24:25]
	; wave barrier
	s_and_saveexec_b64 s[22:23], s[24:25]
	s_cbranch_execz .LBB29_20
; %bb.19:                               ;   in Loop: Header=BB29_4 Depth=2
	v_bcnt_u32_b32 v0, v0, 0
	v_bcnt_u32_b32 v0, v1, v0
	s_waitcnt lgkmcnt(0)
	v_add_u32_e32 v0, v62, v0
	v_add_u32_e32 v1, v2, v63
	ds_write_b32 v1, v0 offset:16
.LBB29_20:                              ;   in Loop: Header=BB29_4 Depth=2
	s_or_b64 exec, exec, s[22:23]
	v_lshlrev_b32_e32 v0, s33, v22
	v_lshrrev_b32_e32 v0, 28, v0
	v_mad_u32_u24 v1, v0, 20, v2
	; wave barrier
	ds_read_b32 v65, v1 offset:16
	v_and_b32_e32 v1, 1, v0
	v_add_co_u32_e64 v4, s[22:23], -1, v1
	v_addc_co_u32_e64 v67, s[22:23], 0, -1, s[22:23]
	v_cmp_ne_u32_e64 s[22:23], 0, v1
	v_xor_b32_e32 v4, s22, v4
	v_xor_b32_e32 v1, s23, v67
	v_and_b32_e32 v67, exec_lo, v4
	v_lshlrev_b32_e32 v4, 30, v0
	v_cmp_gt_i64_e64 s[22:23], 0, v[3:4]
	v_not_b32_e32 v4, v4
	v_ashrrev_i32_e32 v4, 31, v4
	v_xor_b32_e32 v68, s23, v4
	v_xor_b32_e32 v4, s22, v4
	v_and_b32_e32 v67, v67, v4
	v_lshlrev_b32_e32 v4, 29, v0
	v_cmp_gt_i64_e64 s[22:23], 0, v[3:4]
	v_not_b32_e32 v4, v4
	v_and_b32_e32 v1, exec_hi, v1
	v_ashrrev_i32_e32 v4, 31, v4
	v_and_b32_e32 v1, v1, v68
	v_xor_b32_e32 v68, s23, v4
	v_xor_b32_e32 v4, s22, v4
	v_and_b32_e32 v67, v67, v4
	v_lshlrev_b32_e32 v4, 28, v0
	v_mul_u32_u24_e32 v66, 20, v0
	v_cmp_gt_i64_e64 s[22:23], 0, v[3:4]
	v_not_b32_e32 v0, v4
	v_ashrrev_i32_e32 v0, 31, v0
	v_xor_b32_e32 v4, s23, v0
	v_xor_b32_e32 v0, s22, v0
	v_and_b32_e32 v1, v1, v68
	v_and_b32_e32 v0, v67, v0
	v_and_b32_e32 v1, v1, v4
	v_mbcnt_lo_u32_b32 v4, v0, 0
	v_mbcnt_hi_u32_b32 v67, v1, v4
	v_cmp_ne_u64_e64 s[22:23], 0, v[0:1]
	v_cmp_eq_u32_e64 s[24:25], 0, v67
	s_and_b64 s[24:25], s[22:23], s[24:25]
	; wave barrier
	s_and_saveexec_b64 s[22:23], s[24:25]
	s_cbranch_execz .LBB29_22
; %bb.21:                               ;   in Loop: Header=BB29_4 Depth=2
	v_bcnt_u32_b32 v0, v0, 0
	v_bcnt_u32_b32 v0, v1, v0
	s_waitcnt lgkmcnt(0)
	v_add_u32_e32 v0, v65, v0
	v_add_u32_e32 v1, v2, v66
	ds_write_b32 v1, v0 offset:16
.LBB29_22:                              ;   in Loop: Header=BB29_4 Depth=2
	s_or_b64 exec, exec, s[22:23]
	v_lshlrev_b32_e32 v0, s33, v23
	v_lshrrev_b32_e32 v0, 28, v0
	v_mad_u32_u24 v1, v0, 20, v2
	; wave barrier
	ds_read_b32 v68, v1 offset:16
	v_and_b32_e32 v1, 1, v0
	v_add_co_u32_e64 v4, s[22:23], -1, v1
	v_addc_co_u32_e64 v70, s[22:23], 0, -1, s[22:23]
	v_cmp_ne_u32_e64 s[22:23], 0, v1
	v_xor_b32_e32 v4, s22, v4
	v_xor_b32_e32 v1, s23, v70
	v_and_b32_e32 v70, exec_lo, v4
	v_lshlrev_b32_e32 v4, 30, v0
	v_cmp_gt_i64_e64 s[22:23], 0, v[3:4]
	v_not_b32_e32 v4, v4
	v_ashrrev_i32_e32 v4, 31, v4
	v_xor_b32_e32 v71, s23, v4
	v_xor_b32_e32 v4, s22, v4
	v_and_b32_e32 v70, v70, v4
	v_lshlrev_b32_e32 v4, 29, v0
	v_cmp_gt_i64_e64 s[22:23], 0, v[3:4]
	v_not_b32_e32 v4, v4
	v_and_b32_e32 v1, exec_hi, v1
	v_ashrrev_i32_e32 v4, 31, v4
	v_and_b32_e32 v1, v1, v71
	v_xor_b32_e32 v71, s23, v4
	v_xor_b32_e32 v4, s22, v4
	v_and_b32_e32 v70, v70, v4
	v_lshlrev_b32_e32 v4, 28, v0
	v_mul_u32_u24_e32 v69, 20, v0
	v_cmp_gt_i64_e64 s[22:23], 0, v[3:4]
	v_not_b32_e32 v0, v4
	v_ashrrev_i32_e32 v0, 31, v0
	v_xor_b32_e32 v4, s23, v0
	v_xor_b32_e32 v0, s22, v0
	v_and_b32_e32 v1, v1, v71
	v_and_b32_e32 v0, v70, v0
	v_and_b32_e32 v1, v1, v4
	v_mbcnt_lo_u32_b32 v4, v0, 0
	v_mbcnt_hi_u32_b32 v70, v1, v4
	v_cmp_ne_u64_e64 s[22:23], 0, v[0:1]
	v_cmp_eq_u32_e64 s[24:25], 0, v70
	s_and_b64 s[24:25], s[22:23], s[24:25]
	; wave barrier
	s_and_saveexec_b64 s[22:23], s[24:25]
	s_cbranch_execz .LBB29_24
; %bb.23:                               ;   in Loop: Header=BB29_4 Depth=2
	v_bcnt_u32_b32 v0, v0, 0
	v_bcnt_u32_b32 v0, v1, v0
	s_waitcnt lgkmcnt(0)
	v_add_u32_e32 v0, v68, v0
	v_add_u32_e32 v1, v2, v69
	ds_write_b32 v1, v0 offset:16
.LBB29_24:                              ;   in Loop: Header=BB29_4 Depth=2
	s_or_b64 exec, exec, s[22:23]
	v_lshlrev_b32_e32 v0, s33, v24
	v_lshrrev_b32_e32 v0, 28, v0
	v_mad_u32_u24 v1, v0, 20, v2
	; wave barrier
	ds_read_b32 v71, v1 offset:16
	v_and_b32_e32 v1, 1, v0
	v_add_co_u32_e64 v4, s[22:23], -1, v1
	v_addc_co_u32_e64 v73, s[22:23], 0, -1, s[22:23]
	v_cmp_ne_u32_e64 s[22:23], 0, v1
	v_xor_b32_e32 v4, s22, v4
	v_xor_b32_e32 v1, s23, v73
	v_and_b32_e32 v73, exec_lo, v4
	v_lshlrev_b32_e32 v4, 30, v0
	v_cmp_gt_i64_e64 s[22:23], 0, v[3:4]
	v_not_b32_e32 v4, v4
	v_ashrrev_i32_e32 v4, 31, v4
	v_xor_b32_e32 v74, s23, v4
	v_xor_b32_e32 v4, s22, v4
	v_and_b32_e32 v73, v73, v4
	v_lshlrev_b32_e32 v4, 29, v0
	v_cmp_gt_i64_e64 s[22:23], 0, v[3:4]
	v_not_b32_e32 v4, v4
	v_and_b32_e32 v1, exec_hi, v1
	v_ashrrev_i32_e32 v4, 31, v4
	v_and_b32_e32 v1, v1, v74
	v_xor_b32_e32 v74, s23, v4
	v_xor_b32_e32 v4, s22, v4
	v_and_b32_e32 v73, v73, v4
	v_lshlrev_b32_e32 v4, 28, v0
	v_mul_u32_u24_e32 v72, 20, v0
	v_cmp_gt_i64_e64 s[22:23], 0, v[3:4]
	v_not_b32_e32 v0, v4
	v_ashrrev_i32_e32 v0, 31, v0
	v_xor_b32_e32 v4, s23, v0
	v_xor_b32_e32 v0, s22, v0
	v_and_b32_e32 v1, v1, v74
	v_and_b32_e32 v0, v73, v0
	v_and_b32_e32 v1, v1, v4
	v_mbcnt_lo_u32_b32 v4, v0, 0
	v_mbcnt_hi_u32_b32 v73, v1, v4
	v_cmp_ne_u64_e64 s[22:23], 0, v[0:1]
	v_cmp_eq_u32_e64 s[24:25], 0, v73
	s_and_b64 s[24:25], s[22:23], s[24:25]
	; wave barrier
	s_and_saveexec_b64 s[22:23], s[24:25]
	s_cbranch_execz .LBB29_26
; %bb.25:                               ;   in Loop: Header=BB29_4 Depth=2
	v_bcnt_u32_b32 v0, v0, 0
	v_bcnt_u32_b32 v0, v1, v0
	s_waitcnt lgkmcnt(0)
	v_add_u32_e32 v0, v71, v0
	v_add_u32_e32 v1, v2, v72
	ds_write_b32 v1, v0 offset:16
.LBB29_26:                              ;   in Loop: Header=BB29_4 Depth=2
	s_or_b64 exec, exec, s[22:23]
	v_lshlrev_b32_e32 v0, s33, v25
	v_lshrrev_b32_e32 v0, 28, v0
	v_mad_u32_u24 v1, v0, 20, v2
	; wave barrier
	ds_read_b32 v74, v1 offset:16
	v_and_b32_e32 v1, 1, v0
	v_add_co_u32_e64 v4, s[22:23], -1, v1
	v_addc_co_u32_e64 v76, s[22:23], 0, -1, s[22:23]
	v_cmp_ne_u32_e64 s[22:23], 0, v1
	v_xor_b32_e32 v4, s22, v4
	v_xor_b32_e32 v1, s23, v76
	v_and_b32_e32 v76, exec_lo, v4
	v_lshlrev_b32_e32 v4, 30, v0
	v_cmp_gt_i64_e64 s[22:23], 0, v[3:4]
	v_not_b32_e32 v4, v4
	v_ashrrev_i32_e32 v4, 31, v4
	v_xor_b32_e32 v77, s23, v4
	v_xor_b32_e32 v4, s22, v4
	v_and_b32_e32 v76, v76, v4
	v_lshlrev_b32_e32 v4, 29, v0
	v_cmp_gt_i64_e64 s[22:23], 0, v[3:4]
	v_not_b32_e32 v4, v4
	v_and_b32_e32 v1, exec_hi, v1
	v_ashrrev_i32_e32 v4, 31, v4
	v_and_b32_e32 v1, v1, v77
	v_xor_b32_e32 v77, s23, v4
	v_xor_b32_e32 v4, s22, v4
	v_and_b32_e32 v76, v76, v4
	v_lshlrev_b32_e32 v4, 28, v0
	v_mul_u32_u24_e32 v75, 20, v0
	v_cmp_gt_i64_e64 s[22:23], 0, v[3:4]
	v_not_b32_e32 v0, v4
	v_ashrrev_i32_e32 v0, 31, v0
	v_xor_b32_e32 v4, s23, v0
	v_xor_b32_e32 v0, s22, v0
	v_and_b32_e32 v1, v1, v77
	v_and_b32_e32 v0, v76, v0
	v_and_b32_e32 v1, v1, v4
	v_mbcnt_lo_u32_b32 v4, v0, 0
	v_mbcnt_hi_u32_b32 v76, v1, v4
	v_cmp_ne_u64_e64 s[22:23], 0, v[0:1]
	v_cmp_eq_u32_e64 s[24:25], 0, v76
	s_and_b64 s[24:25], s[22:23], s[24:25]
	; wave barrier
	s_and_saveexec_b64 s[22:23], s[24:25]
	s_cbranch_execz .LBB29_28
; %bb.27:                               ;   in Loop: Header=BB29_4 Depth=2
	v_bcnt_u32_b32 v0, v0, 0
	v_bcnt_u32_b32 v0, v1, v0
	s_waitcnt lgkmcnt(0)
	v_add_u32_e32 v0, v74, v0
	v_add_u32_e32 v1, v2, v75
	ds_write_b32 v1, v0 offset:16
.LBB29_28:                              ;   in Loop: Header=BB29_4 Depth=2
	s_or_b64 exec, exec, s[22:23]
	v_lshlrev_b32_e32 v0, s33, v26
	v_lshrrev_b32_e32 v0, 28, v0
	v_mad_u32_u24 v1, v0, 20, v2
	; wave barrier
	ds_read_b32 v77, v1 offset:16
	v_and_b32_e32 v1, 1, v0
	v_add_co_u32_e64 v4, s[22:23], -1, v1
	v_addc_co_u32_e64 v79, s[22:23], 0, -1, s[22:23]
	v_cmp_ne_u32_e64 s[22:23], 0, v1
	v_xor_b32_e32 v4, s22, v4
	v_xor_b32_e32 v1, s23, v79
	v_and_b32_e32 v79, exec_lo, v4
	v_lshlrev_b32_e32 v4, 30, v0
	v_cmp_gt_i64_e64 s[22:23], 0, v[3:4]
	v_not_b32_e32 v4, v4
	v_ashrrev_i32_e32 v4, 31, v4
	v_xor_b32_e32 v80, s23, v4
	v_xor_b32_e32 v4, s22, v4
	v_and_b32_e32 v79, v79, v4
	v_lshlrev_b32_e32 v4, 29, v0
	v_cmp_gt_i64_e64 s[22:23], 0, v[3:4]
	v_not_b32_e32 v4, v4
	v_and_b32_e32 v1, exec_hi, v1
	v_ashrrev_i32_e32 v4, 31, v4
	v_and_b32_e32 v1, v1, v80
	v_xor_b32_e32 v80, s23, v4
	v_xor_b32_e32 v4, s22, v4
	v_and_b32_e32 v79, v79, v4
	v_lshlrev_b32_e32 v4, 28, v0
	v_mul_u32_u24_e32 v78, 20, v0
	v_cmp_gt_i64_e64 s[22:23], 0, v[3:4]
	v_not_b32_e32 v0, v4
	v_ashrrev_i32_e32 v0, 31, v0
	v_xor_b32_e32 v4, s23, v0
	v_xor_b32_e32 v0, s22, v0
	v_and_b32_e32 v1, v1, v80
	v_and_b32_e32 v0, v79, v0
	v_and_b32_e32 v1, v1, v4
	v_mbcnt_lo_u32_b32 v4, v0, 0
	v_mbcnt_hi_u32_b32 v79, v1, v4
	v_cmp_ne_u64_e64 s[22:23], 0, v[0:1]
	v_cmp_eq_u32_e64 s[24:25], 0, v79
	s_and_b64 s[24:25], s[22:23], s[24:25]
	; wave barrier
	s_and_saveexec_b64 s[22:23], s[24:25]
	s_cbranch_execz .LBB29_30
; %bb.29:                               ;   in Loop: Header=BB29_4 Depth=2
	v_bcnt_u32_b32 v0, v0, 0
	v_bcnt_u32_b32 v0, v1, v0
	s_waitcnt lgkmcnt(0)
	v_add_u32_e32 v0, v77, v0
	v_add_u32_e32 v1, v2, v78
	ds_write_b32 v1, v0 offset:16
.LBB29_30:                              ;   in Loop: Header=BB29_4 Depth=2
	s_or_b64 exec, exec, s[22:23]
	v_lshlrev_b32_e32 v0, s33, v27
	v_lshrrev_b32_e32 v0, 28, v0
	v_mad_u32_u24 v1, v0, 20, v2
	; wave barrier
	ds_read_b32 v80, v1 offset:16
	v_and_b32_e32 v1, 1, v0
	v_add_co_u32_e64 v4, s[22:23], -1, v1
	v_addc_co_u32_e64 v82, s[22:23], 0, -1, s[22:23]
	v_cmp_ne_u32_e64 s[22:23], 0, v1
	v_xor_b32_e32 v4, s22, v4
	v_xor_b32_e32 v1, s23, v82
	v_and_b32_e32 v82, exec_lo, v4
	v_lshlrev_b32_e32 v4, 30, v0
	v_cmp_gt_i64_e64 s[22:23], 0, v[3:4]
	v_not_b32_e32 v4, v4
	v_ashrrev_i32_e32 v4, 31, v4
	v_xor_b32_e32 v83, s23, v4
	v_xor_b32_e32 v4, s22, v4
	v_and_b32_e32 v82, v82, v4
	v_lshlrev_b32_e32 v4, 29, v0
	v_cmp_gt_i64_e64 s[22:23], 0, v[3:4]
	v_not_b32_e32 v4, v4
	v_and_b32_e32 v1, exec_hi, v1
	v_ashrrev_i32_e32 v4, 31, v4
	v_and_b32_e32 v1, v1, v83
	v_xor_b32_e32 v83, s23, v4
	v_xor_b32_e32 v4, s22, v4
	v_and_b32_e32 v82, v82, v4
	v_lshlrev_b32_e32 v4, 28, v0
	v_mul_u32_u24_e32 v81, 20, v0
	v_cmp_gt_i64_e64 s[22:23], 0, v[3:4]
	v_not_b32_e32 v0, v4
	v_ashrrev_i32_e32 v0, 31, v0
	v_xor_b32_e32 v4, s23, v0
	v_xor_b32_e32 v0, s22, v0
	v_and_b32_e32 v1, v1, v83
	v_and_b32_e32 v0, v82, v0
	v_and_b32_e32 v1, v1, v4
	v_mbcnt_lo_u32_b32 v4, v0, 0
	v_mbcnt_hi_u32_b32 v82, v1, v4
	v_cmp_ne_u64_e64 s[22:23], 0, v[0:1]
	v_cmp_eq_u32_e64 s[24:25], 0, v82
	s_and_b64 s[24:25], s[22:23], s[24:25]
	; wave barrier
	s_and_saveexec_b64 s[22:23], s[24:25]
	s_cbranch_execz .LBB29_32
; %bb.31:                               ;   in Loop: Header=BB29_4 Depth=2
	v_bcnt_u32_b32 v0, v0, 0
	v_bcnt_u32_b32 v0, v1, v0
	s_waitcnt lgkmcnt(0)
	v_add_u32_e32 v0, v80, v0
	v_add_u32_e32 v1, v2, v81
	ds_write_b32 v1, v0 offset:16
.LBB29_32:                              ;   in Loop: Header=BB29_4 Depth=2
	s_or_b64 exec, exec, s[22:23]
	v_lshlrev_b32_e32 v0, s33, v28
	v_lshrrev_b32_e32 v0, 28, v0
	v_mad_u32_u24 v1, v0, 20, v2
	; wave barrier
	ds_read_b32 v83, v1 offset:16
	v_and_b32_e32 v1, 1, v0
	v_add_co_u32_e64 v4, s[22:23], -1, v1
	v_addc_co_u32_e64 v85, s[22:23], 0, -1, s[22:23]
	v_cmp_ne_u32_e64 s[22:23], 0, v1
	v_xor_b32_e32 v4, s22, v4
	v_xor_b32_e32 v1, s23, v85
	v_and_b32_e32 v85, exec_lo, v4
	v_lshlrev_b32_e32 v4, 30, v0
	v_cmp_gt_i64_e64 s[22:23], 0, v[3:4]
	v_not_b32_e32 v4, v4
	v_ashrrev_i32_e32 v4, 31, v4
	v_xor_b32_e32 v86, s23, v4
	v_xor_b32_e32 v4, s22, v4
	v_and_b32_e32 v85, v85, v4
	v_lshlrev_b32_e32 v4, 29, v0
	v_cmp_gt_i64_e64 s[22:23], 0, v[3:4]
	v_not_b32_e32 v4, v4
	v_and_b32_e32 v1, exec_hi, v1
	v_ashrrev_i32_e32 v4, 31, v4
	v_and_b32_e32 v1, v1, v86
	v_xor_b32_e32 v86, s23, v4
	v_xor_b32_e32 v4, s22, v4
	v_and_b32_e32 v85, v85, v4
	v_lshlrev_b32_e32 v4, 28, v0
	v_mul_u32_u24_e32 v84, 20, v0
	v_cmp_gt_i64_e64 s[22:23], 0, v[3:4]
	v_not_b32_e32 v0, v4
	v_ashrrev_i32_e32 v0, 31, v0
	v_xor_b32_e32 v4, s23, v0
	v_xor_b32_e32 v0, s22, v0
	v_and_b32_e32 v1, v1, v86
	v_and_b32_e32 v0, v85, v0
	v_and_b32_e32 v1, v1, v4
	v_mbcnt_lo_u32_b32 v4, v0, 0
	v_mbcnt_hi_u32_b32 v85, v1, v4
	v_cmp_ne_u64_e64 s[22:23], 0, v[0:1]
	v_cmp_eq_u32_e64 s[24:25], 0, v85
	s_and_b64 s[24:25], s[22:23], s[24:25]
	; wave barrier
	s_and_saveexec_b64 s[22:23], s[24:25]
	s_cbranch_execz .LBB29_34
; %bb.33:                               ;   in Loop: Header=BB29_4 Depth=2
	v_bcnt_u32_b32 v0, v0, 0
	v_bcnt_u32_b32 v0, v1, v0
	s_waitcnt lgkmcnt(0)
	v_add_u32_e32 v0, v83, v0
	v_add_u32_e32 v1, v2, v84
	ds_write_b32 v1, v0 offset:16
.LBB29_34:                              ;   in Loop: Header=BB29_4 Depth=2
	s_or_b64 exec, exec, s[22:23]
	v_lshlrev_b32_e32 v0, s33, v29
	v_lshrrev_b32_e32 v0, 28, v0
	v_mad_u32_u24 v1, v0, 20, v2
	; wave barrier
	ds_read_b32 v86, v1 offset:16
	v_and_b32_e32 v1, 1, v0
	v_add_co_u32_e64 v4, s[22:23], -1, v1
	v_addc_co_u32_e64 v88, s[22:23], 0, -1, s[22:23]
	v_cmp_ne_u32_e64 s[22:23], 0, v1
	v_xor_b32_e32 v4, s22, v4
	v_xor_b32_e32 v1, s23, v88
	v_and_b32_e32 v88, exec_lo, v4
	v_lshlrev_b32_e32 v4, 30, v0
	v_cmp_gt_i64_e64 s[22:23], 0, v[3:4]
	v_not_b32_e32 v4, v4
	v_ashrrev_i32_e32 v4, 31, v4
	v_xor_b32_e32 v89, s23, v4
	v_xor_b32_e32 v4, s22, v4
	v_and_b32_e32 v88, v88, v4
	v_lshlrev_b32_e32 v4, 29, v0
	v_cmp_gt_i64_e64 s[22:23], 0, v[3:4]
	v_not_b32_e32 v4, v4
	v_and_b32_e32 v1, exec_hi, v1
	v_ashrrev_i32_e32 v4, 31, v4
	v_and_b32_e32 v1, v1, v89
	v_xor_b32_e32 v89, s23, v4
	v_xor_b32_e32 v4, s22, v4
	v_and_b32_e32 v88, v88, v4
	v_lshlrev_b32_e32 v4, 28, v0
	v_mul_u32_u24_e32 v87, 20, v0
	v_cmp_gt_i64_e64 s[22:23], 0, v[3:4]
	v_not_b32_e32 v0, v4
	v_ashrrev_i32_e32 v0, 31, v0
	v_xor_b32_e32 v4, s23, v0
	v_xor_b32_e32 v0, s22, v0
	v_and_b32_e32 v1, v1, v89
	v_and_b32_e32 v0, v88, v0
	v_and_b32_e32 v1, v1, v4
	v_mbcnt_lo_u32_b32 v4, v0, 0
	v_mbcnt_hi_u32_b32 v88, v1, v4
	v_cmp_ne_u64_e64 s[22:23], 0, v[0:1]
	v_cmp_eq_u32_e64 s[24:25], 0, v88
	s_and_b64 s[24:25], s[22:23], s[24:25]
	; wave barrier
	s_and_saveexec_b64 s[22:23], s[24:25]
	s_cbranch_execz .LBB29_36
; %bb.35:                               ;   in Loop: Header=BB29_4 Depth=2
	v_bcnt_u32_b32 v0, v0, 0
	v_bcnt_u32_b32 v0, v1, v0
	s_waitcnt lgkmcnt(0)
	v_add_u32_e32 v0, v86, v0
	v_add_u32_e32 v1, v2, v87
	ds_write_b32 v1, v0 offset:16
.LBB29_36:                              ;   in Loop: Header=BB29_4 Depth=2
	s_or_b64 exec, exec, s[22:23]
	v_lshlrev_b32_e32 v0, s33, v30
	v_lshrrev_b32_e32 v0, 28, v0
	v_mad_u32_u24 v1, v0, 20, v2
	; wave barrier
	ds_read_b32 v89, v1 offset:16
	v_and_b32_e32 v1, 1, v0
	v_add_co_u32_e64 v4, s[22:23], -1, v1
	v_addc_co_u32_e64 v91, s[22:23], 0, -1, s[22:23]
	v_cmp_ne_u32_e64 s[22:23], 0, v1
	v_xor_b32_e32 v4, s22, v4
	v_xor_b32_e32 v1, s23, v91
	v_and_b32_e32 v91, exec_lo, v4
	v_lshlrev_b32_e32 v4, 30, v0
	v_cmp_gt_i64_e64 s[22:23], 0, v[3:4]
	v_not_b32_e32 v4, v4
	v_ashrrev_i32_e32 v4, 31, v4
	v_xor_b32_e32 v92, s23, v4
	v_xor_b32_e32 v4, s22, v4
	v_and_b32_e32 v91, v91, v4
	v_lshlrev_b32_e32 v4, 29, v0
	v_cmp_gt_i64_e64 s[22:23], 0, v[3:4]
	v_not_b32_e32 v4, v4
	v_and_b32_e32 v1, exec_hi, v1
	v_ashrrev_i32_e32 v4, 31, v4
	v_and_b32_e32 v1, v1, v92
	v_xor_b32_e32 v92, s23, v4
	v_xor_b32_e32 v4, s22, v4
	v_and_b32_e32 v91, v91, v4
	v_lshlrev_b32_e32 v4, 28, v0
	v_mul_u32_u24_e32 v90, 20, v0
	v_cmp_gt_i64_e64 s[22:23], 0, v[3:4]
	v_not_b32_e32 v0, v4
	v_ashrrev_i32_e32 v0, 31, v0
	v_xor_b32_e32 v4, s23, v0
	v_xor_b32_e32 v0, s22, v0
	v_and_b32_e32 v1, v1, v92
	v_and_b32_e32 v0, v91, v0
	v_and_b32_e32 v1, v1, v4
	v_mbcnt_lo_u32_b32 v4, v0, 0
	v_mbcnt_hi_u32_b32 v91, v1, v4
	v_cmp_ne_u64_e64 s[22:23], 0, v[0:1]
	v_cmp_eq_u32_e64 s[24:25], 0, v91
	s_and_b64 s[24:25], s[22:23], s[24:25]
	; wave barrier
	s_and_saveexec_b64 s[22:23], s[24:25]
	s_cbranch_execz .LBB29_38
; %bb.37:                               ;   in Loop: Header=BB29_4 Depth=2
	v_bcnt_u32_b32 v0, v0, 0
	v_bcnt_u32_b32 v0, v1, v0
	s_waitcnt lgkmcnt(0)
	v_add_u32_e32 v0, v89, v0
	v_add_u32_e32 v1, v2, v90
	ds_write_b32 v1, v0 offset:16
.LBB29_38:                              ;   in Loop: Header=BB29_4 Depth=2
	s_or_b64 exec, exec, s[22:23]
	v_lshlrev_b32_e32 v0, s33, v31
	v_lshrrev_b32_e32 v0, 28, v0
	v_mad_u32_u24 v1, v0, 20, v2
	; wave barrier
	ds_read_b32 v92, v1 offset:16
	v_and_b32_e32 v1, 1, v0
	v_add_co_u32_e64 v4, s[22:23], -1, v1
	v_addc_co_u32_e64 v94, s[22:23], 0, -1, s[22:23]
	v_cmp_ne_u32_e64 s[22:23], 0, v1
	v_xor_b32_e32 v4, s22, v4
	v_xor_b32_e32 v1, s23, v94
	v_and_b32_e32 v94, exec_lo, v4
	v_lshlrev_b32_e32 v4, 30, v0
	v_cmp_gt_i64_e64 s[22:23], 0, v[3:4]
	v_not_b32_e32 v4, v4
	v_ashrrev_i32_e32 v4, 31, v4
	v_xor_b32_e32 v95, s23, v4
	v_xor_b32_e32 v4, s22, v4
	v_and_b32_e32 v94, v94, v4
	v_lshlrev_b32_e32 v4, 29, v0
	v_cmp_gt_i64_e64 s[22:23], 0, v[3:4]
	v_not_b32_e32 v4, v4
	v_and_b32_e32 v1, exec_hi, v1
	v_ashrrev_i32_e32 v4, 31, v4
	v_and_b32_e32 v1, v1, v95
	v_xor_b32_e32 v95, s23, v4
	v_xor_b32_e32 v4, s22, v4
	v_and_b32_e32 v94, v94, v4
	v_lshlrev_b32_e32 v4, 28, v0
	v_mul_u32_u24_e32 v93, 20, v0
	v_cmp_gt_i64_e64 s[22:23], 0, v[3:4]
	v_not_b32_e32 v0, v4
	v_ashrrev_i32_e32 v0, 31, v0
	v_xor_b32_e32 v4, s23, v0
	v_xor_b32_e32 v0, s22, v0
	v_and_b32_e32 v1, v1, v95
	v_and_b32_e32 v0, v94, v0
	v_and_b32_e32 v1, v1, v4
	v_mbcnt_lo_u32_b32 v4, v0, 0
	v_mbcnt_hi_u32_b32 v94, v1, v4
	v_cmp_ne_u64_e64 s[22:23], 0, v[0:1]
	v_cmp_eq_u32_e64 s[24:25], 0, v94
	s_and_b64 s[24:25], s[22:23], s[24:25]
	; wave barrier
	s_and_saveexec_b64 s[22:23], s[24:25]
	s_cbranch_execz .LBB29_40
; %bb.39:                               ;   in Loop: Header=BB29_4 Depth=2
	v_bcnt_u32_b32 v0, v0, 0
	v_bcnt_u32_b32 v0, v1, v0
	s_waitcnt lgkmcnt(0)
	v_add_u32_e32 v0, v92, v0
	v_add_u32_e32 v1, v2, v93
	ds_write_b32 v1, v0 offset:16
.LBB29_40:                              ;   in Loop: Header=BB29_4 Depth=2
	s_or_b64 exec, exec, s[22:23]
	v_lshlrev_b32_e32 v0, s33, v32
	v_lshrrev_b32_e32 v0, 28, v0
	v_mad_u32_u24 v1, v0, 20, v2
	; wave barrier
	ds_read_b32 v95, v1 offset:16
	v_and_b32_e32 v1, 1, v0
	v_add_co_u32_e64 v4, s[22:23], -1, v1
	v_addc_co_u32_e64 v97, s[22:23], 0, -1, s[22:23]
	v_cmp_ne_u32_e64 s[22:23], 0, v1
	v_xor_b32_e32 v4, s22, v4
	v_xor_b32_e32 v1, s23, v97
	v_and_b32_e32 v97, exec_lo, v4
	v_lshlrev_b32_e32 v4, 30, v0
	v_cmp_gt_i64_e64 s[22:23], 0, v[3:4]
	v_not_b32_e32 v4, v4
	v_ashrrev_i32_e32 v4, 31, v4
	v_xor_b32_e32 v98, s23, v4
	v_xor_b32_e32 v4, s22, v4
	v_and_b32_e32 v97, v97, v4
	v_lshlrev_b32_e32 v4, 29, v0
	v_cmp_gt_i64_e64 s[22:23], 0, v[3:4]
	v_not_b32_e32 v4, v4
	v_and_b32_e32 v1, exec_hi, v1
	v_ashrrev_i32_e32 v4, 31, v4
	v_and_b32_e32 v1, v1, v98
	v_xor_b32_e32 v98, s23, v4
	v_xor_b32_e32 v4, s22, v4
	v_and_b32_e32 v97, v97, v4
	v_lshlrev_b32_e32 v4, 28, v0
	v_mul_u32_u24_e32 v96, 20, v0
	v_cmp_gt_i64_e64 s[22:23], 0, v[3:4]
	v_not_b32_e32 v0, v4
	v_ashrrev_i32_e32 v0, 31, v0
	v_xor_b32_e32 v4, s23, v0
	v_xor_b32_e32 v0, s22, v0
	v_and_b32_e32 v1, v1, v98
	v_and_b32_e32 v0, v97, v0
	v_and_b32_e32 v1, v1, v4
	v_mbcnt_lo_u32_b32 v4, v0, 0
	v_mbcnt_hi_u32_b32 v97, v1, v4
	v_cmp_ne_u64_e64 s[22:23], 0, v[0:1]
	v_cmp_eq_u32_e64 s[24:25], 0, v97
	s_and_b64 s[24:25], s[22:23], s[24:25]
	; wave barrier
	s_and_saveexec_b64 s[22:23], s[24:25]
	s_cbranch_execz .LBB29_42
; %bb.41:                               ;   in Loop: Header=BB29_4 Depth=2
	v_bcnt_u32_b32 v0, v0, 0
	v_bcnt_u32_b32 v0, v1, v0
	s_waitcnt lgkmcnt(0)
	v_add_u32_e32 v0, v95, v0
	v_add_u32_e32 v1, v2, v96
	ds_write_b32 v1, v0 offset:16
.LBB29_42:                              ;   in Loop: Header=BB29_4 Depth=2
	s_or_b64 exec, exec, s[22:23]
	v_lshlrev_b32_e32 v0, s33, v34
	v_lshrrev_b32_e32 v0, 28, v0
	v_mad_u32_u24 v1, v0, 20, v2
	; wave barrier
	ds_read_b32 v98, v1 offset:16
	v_and_b32_e32 v1, 1, v0
	v_add_co_u32_e64 v4, s[22:23], -1, v1
	v_addc_co_u32_e64 v100, s[22:23], 0, -1, s[22:23]
	v_cmp_ne_u32_e64 s[22:23], 0, v1
	v_xor_b32_e32 v4, s22, v4
	v_xor_b32_e32 v1, s23, v100
	v_and_b32_e32 v100, exec_lo, v4
	v_lshlrev_b32_e32 v4, 30, v0
	v_cmp_gt_i64_e64 s[22:23], 0, v[3:4]
	v_not_b32_e32 v4, v4
	v_ashrrev_i32_e32 v4, 31, v4
	v_xor_b32_e32 v101, s23, v4
	v_xor_b32_e32 v4, s22, v4
	v_and_b32_e32 v100, v100, v4
	v_lshlrev_b32_e32 v4, 29, v0
	v_cmp_gt_i64_e64 s[22:23], 0, v[3:4]
	v_not_b32_e32 v4, v4
	v_and_b32_e32 v1, exec_hi, v1
	v_ashrrev_i32_e32 v4, 31, v4
	v_and_b32_e32 v1, v1, v101
	v_xor_b32_e32 v101, s23, v4
	v_xor_b32_e32 v4, s22, v4
	v_and_b32_e32 v100, v100, v4
	v_lshlrev_b32_e32 v4, 28, v0
	v_mul_u32_u24_e32 v99, 20, v0
	v_cmp_gt_i64_e64 s[22:23], 0, v[3:4]
	v_not_b32_e32 v0, v4
	v_ashrrev_i32_e32 v0, 31, v0
	v_xor_b32_e32 v4, s23, v0
	v_xor_b32_e32 v0, s22, v0
	v_and_b32_e32 v1, v1, v101
	v_and_b32_e32 v0, v100, v0
	v_and_b32_e32 v1, v1, v4
	v_mbcnt_lo_u32_b32 v4, v0, 0
	v_mbcnt_hi_u32_b32 v100, v1, v4
	v_cmp_ne_u64_e64 s[22:23], 0, v[0:1]
	v_cmp_eq_u32_e64 s[24:25], 0, v100
	s_and_b64 s[24:25], s[22:23], s[24:25]
	; wave barrier
	s_and_saveexec_b64 s[22:23], s[24:25]
	s_cbranch_execz .LBB29_44
; %bb.43:                               ;   in Loop: Header=BB29_4 Depth=2
	v_bcnt_u32_b32 v0, v0, 0
	v_bcnt_u32_b32 v0, v1, v0
	s_waitcnt lgkmcnt(0)
	v_add_u32_e32 v0, v98, v0
	v_add_u32_e32 v1, v2, v99
	ds_write_b32 v1, v0 offset:16
.LBB29_44:                              ;   in Loop: Header=BB29_4 Depth=2
	s_or_b64 exec, exec, s[22:23]
	v_lshlrev_b32_e32 v0, s33, v35
	v_lshrrev_b32_e32 v0, 28, v0
	v_mad_u32_u24 v1, v0, 20, v2
	; wave barrier
	ds_read_b32 v101, v1 offset:16
	v_and_b32_e32 v1, 1, v0
	v_add_co_u32_e64 v4, s[22:23], -1, v1
	v_addc_co_u32_e64 v103, s[22:23], 0, -1, s[22:23]
	v_cmp_ne_u32_e64 s[22:23], 0, v1
	v_xor_b32_e32 v4, s22, v4
	v_xor_b32_e32 v1, s23, v103
	v_and_b32_e32 v103, exec_lo, v4
	v_lshlrev_b32_e32 v4, 30, v0
	v_cmp_gt_i64_e64 s[22:23], 0, v[3:4]
	v_not_b32_e32 v4, v4
	v_ashrrev_i32_e32 v4, 31, v4
	v_xor_b32_e32 v104, s23, v4
	v_xor_b32_e32 v4, s22, v4
	v_and_b32_e32 v103, v103, v4
	v_lshlrev_b32_e32 v4, 29, v0
	v_cmp_gt_i64_e64 s[22:23], 0, v[3:4]
	v_not_b32_e32 v4, v4
	v_and_b32_e32 v1, exec_hi, v1
	v_ashrrev_i32_e32 v4, 31, v4
	v_and_b32_e32 v1, v1, v104
	v_xor_b32_e32 v104, s23, v4
	v_xor_b32_e32 v4, s22, v4
	v_and_b32_e32 v103, v103, v4
	v_lshlrev_b32_e32 v4, 28, v0
	v_mul_u32_u24_e32 v102, 20, v0
	v_cmp_gt_i64_e64 s[22:23], 0, v[3:4]
	v_not_b32_e32 v0, v4
	v_ashrrev_i32_e32 v0, 31, v0
	v_xor_b32_e32 v4, s23, v0
	v_xor_b32_e32 v0, s22, v0
	v_and_b32_e32 v1, v1, v104
	v_and_b32_e32 v0, v103, v0
	v_and_b32_e32 v1, v1, v4
	v_mbcnt_lo_u32_b32 v4, v0, 0
	v_mbcnt_hi_u32_b32 v103, v1, v4
	v_cmp_ne_u64_e64 s[22:23], 0, v[0:1]
	v_cmp_eq_u32_e64 s[24:25], 0, v103
	s_and_b64 s[24:25], s[22:23], s[24:25]
	; wave barrier
	s_and_saveexec_b64 s[22:23], s[24:25]
	s_cbranch_execz .LBB29_46
; %bb.45:                               ;   in Loop: Header=BB29_4 Depth=2
	v_bcnt_u32_b32 v0, v0, 0
	v_bcnt_u32_b32 v0, v1, v0
	s_waitcnt lgkmcnt(0)
	v_add_u32_e32 v0, v101, v0
	v_add_u32_e32 v1, v2, v102
	ds_write_b32 v1, v0 offset:16
.LBB29_46:                              ;   in Loop: Header=BB29_4 Depth=2
	s_or_b64 exec, exec, s[22:23]
	v_lshlrev_b32_e32 v0, s33, v36
	v_lshrrev_b32_e32 v0, 28, v0
	v_mad_u32_u24 v1, v0, 20, v2
	; wave barrier
	ds_read_b32 v104, v1 offset:16
	v_and_b32_e32 v1, 1, v0
	v_add_co_u32_e64 v4, s[22:23], -1, v1
	v_addc_co_u32_e64 v106, s[22:23], 0, -1, s[22:23]
	v_cmp_ne_u32_e64 s[22:23], 0, v1
	v_xor_b32_e32 v4, s22, v4
	v_xor_b32_e32 v1, s23, v106
	v_and_b32_e32 v106, exec_lo, v4
	v_lshlrev_b32_e32 v4, 30, v0
	v_cmp_gt_i64_e64 s[22:23], 0, v[3:4]
	v_not_b32_e32 v4, v4
	v_ashrrev_i32_e32 v4, 31, v4
	v_xor_b32_e32 v107, s23, v4
	v_xor_b32_e32 v4, s22, v4
	v_and_b32_e32 v106, v106, v4
	v_lshlrev_b32_e32 v4, 29, v0
	v_cmp_gt_i64_e64 s[22:23], 0, v[3:4]
	v_not_b32_e32 v4, v4
	v_and_b32_e32 v1, exec_hi, v1
	v_ashrrev_i32_e32 v4, 31, v4
	v_and_b32_e32 v1, v1, v107
	v_xor_b32_e32 v107, s23, v4
	v_xor_b32_e32 v4, s22, v4
	v_and_b32_e32 v106, v106, v4
	v_lshlrev_b32_e32 v4, 28, v0
	v_mul_u32_u24_e32 v105, 20, v0
	v_cmp_gt_i64_e64 s[22:23], 0, v[3:4]
	v_not_b32_e32 v0, v4
	v_ashrrev_i32_e32 v0, 31, v0
	v_xor_b32_e32 v4, s23, v0
	v_xor_b32_e32 v0, s22, v0
	v_and_b32_e32 v1, v1, v107
	v_and_b32_e32 v0, v106, v0
	v_and_b32_e32 v1, v1, v4
	v_mbcnt_lo_u32_b32 v4, v0, 0
	v_mbcnt_hi_u32_b32 v106, v1, v4
	v_cmp_ne_u64_e64 s[22:23], 0, v[0:1]
	v_cmp_eq_u32_e64 s[24:25], 0, v106
	s_and_b64 s[24:25], s[22:23], s[24:25]
	; wave barrier
	s_and_saveexec_b64 s[22:23], s[24:25]
	s_cbranch_execz .LBB29_48
; %bb.47:                               ;   in Loop: Header=BB29_4 Depth=2
	v_bcnt_u32_b32 v0, v0, 0
	v_bcnt_u32_b32 v0, v1, v0
	s_waitcnt lgkmcnt(0)
	v_add_u32_e32 v0, v104, v0
	v_add_u32_e32 v1, v2, v105
	ds_write_b32 v1, v0 offset:16
.LBB29_48:                              ;   in Loop: Header=BB29_4 Depth=2
	s_or_b64 exec, exec, s[22:23]
	v_lshlrev_b32_e32 v0, s33, v37
	v_lshrrev_b32_e32 v0, 28, v0
	v_mad_u32_u24 v1, v0, 20, v2
	; wave barrier
	ds_read_b32 v107, v1 offset:16
	v_and_b32_e32 v1, 1, v0
	v_add_co_u32_e64 v4, s[22:23], -1, v1
	v_addc_co_u32_e64 v109, s[22:23], 0, -1, s[22:23]
	v_cmp_ne_u32_e64 s[22:23], 0, v1
	v_xor_b32_e32 v4, s22, v4
	v_xor_b32_e32 v1, s23, v109
	v_and_b32_e32 v109, exec_lo, v4
	v_lshlrev_b32_e32 v4, 30, v0
	v_cmp_gt_i64_e64 s[22:23], 0, v[3:4]
	v_not_b32_e32 v4, v4
	v_ashrrev_i32_e32 v4, 31, v4
	v_xor_b32_e32 v110, s23, v4
	v_xor_b32_e32 v4, s22, v4
	v_and_b32_e32 v109, v109, v4
	v_lshlrev_b32_e32 v4, 29, v0
	v_cmp_gt_i64_e64 s[22:23], 0, v[3:4]
	v_not_b32_e32 v4, v4
	v_and_b32_e32 v1, exec_hi, v1
	v_ashrrev_i32_e32 v4, 31, v4
	v_and_b32_e32 v1, v1, v110
	v_xor_b32_e32 v110, s23, v4
	v_xor_b32_e32 v4, s22, v4
	v_and_b32_e32 v109, v109, v4
	v_lshlrev_b32_e32 v4, 28, v0
	v_mul_u32_u24_e32 v108, 20, v0
	v_cmp_gt_i64_e64 s[22:23], 0, v[3:4]
	v_not_b32_e32 v0, v4
	v_ashrrev_i32_e32 v0, 31, v0
	v_xor_b32_e32 v4, s23, v0
	v_xor_b32_e32 v0, s22, v0
	v_and_b32_e32 v1, v1, v110
	v_and_b32_e32 v0, v109, v0
	v_and_b32_e32 v1, v1, v4
	v_mbcnt_lo_u32_b32 v4, v0, 0
	v_mbcnt_hi_u32_b32 v109, v1, v4
	v_cmp_ne_u64_e64 s[22:23], 0, v[0:1]
	v_cmp_eq_u32_e64 s[24:25], 0, v109
	s_and_b64 s[24:25], s[22:23], s[24:25]
	; wave barrier
	s_and_saveexec_b64 s[22:23], s[24:25]
	s_cbranch_execz .LBB29_50
; %bb.49:                               ;   in Loop: Header=BB29_4 Depth=2
	v_bcnt_u32_b32 v0, v0, 0
	v_bcnt_u32_b32 v0, v1, v0
	s_waitcnt lgkmcnt(0)
	v_add_u32_e32 v0, v107, v0
	v_add_u32_e32 v1, v2, v108
	ds_write_b32 v1, v0 offset:16
.LBB29_50:                              ;   in Loop: Header=BB29_4 Depth=2
	s_or_b64 exec, exec, s[22:23]
	v_lshlrev_b32_e32 v0, s33, v38
	v_lshrrev_b32_e32 v0, 28, v0
	v_mad_u32_u24 v1, v0, 20, v2
	; wave barrier
	ds_read_b32 v110, v1 offset:16
	v_and_b32_e32 v1, 1, v0
	v_add_co_u32_e64 v4, s[22:23], -1, v1
	v_addc_co_u32_e64 v112, s[22:23], 0, -1, s[22:23]
	v_cmp_ne_u32_e64 s[22:23], 0, v1
	v_xor_b32_e32 v4, s22, v4
	v_xor_b32_e32 v1, s23, v112
	v_and_b32_e32 v112, exec_lo, v4
	v_lshlrev_b32_e32 v4, 30, v0
	v_cmp_gt_i64_e64 s[22:23], 0, v[3:4]
	v_not_b32_e32 v4, v4
	v_ashrrev_i32_e32 v4, 31, v4
	v_xor_b32_e32 v113, s23, v4
	v_xor_b32_e32 v4, s22, v4
	v_and_b32_e32 v112, v112, v4
	v_lshlrev_b32_e32 v4, 29, v0
	v_cmp_gt_i64_e64 s[22:23], 0, v[3:4]
	v_not_b32_e32 v4, v4
	v_and_b32_e32 v1, exec_hi, v1
	v_ashrrev_i32_e32 v4, 31, v4
	v_and_b32_e32 v1, v1, v113
	v_xor_b32_e32 v113, s23, v4
	v_xor_b32_e32 v4, s22, v4
	v_and_b32_e32 v112, v112, v4
	v_lshlrev_b32_e32 v4, 28, v0
	v_mul_u32_u24_e32 v111, 20, v0
	v_cmp_gt_i64_e64 s[22:23], 0, v[3:4]
	v_not_b32_e32 v0, v4
	v_ashrrev_i32_e32 v0, 31, v0
	v_xor_b32_e32 v4, s23, v0
	v_xor_b32_e32 v0, s22, v0
	v_and_b32_e32 v1, v1, v113
	v_and_b32_e32 v0, v112, v0
	v_and_b32_e32 v1, v1, v4
	v_mbcnt_lo_u32_b32 v4, v0, 0
	v_mbcnt_hi_u32_b32 v112, v1, v4
	v_cmp_ne_u64_e64 s[22:23], 0, v[0:1]
	v_cmp_eq_u32_e64 s[24:25], 0, v112
	s_and_b64 s[24:25], s[22:23], s[24:25]
	; wave barrier
	s_and_saveexec_b64 s[22:23], s[24:25]
	s_cbranch_execz .LBB29_52
; %bb.51:                               ;   in Loop: Header=BB29_4 Depth=2
	v_bcnt_u32_b32 v0, v0, 0
	v_bcnt_u32_b32 v0, v1, v0
	s_waitcnt lgkmcnt(0)
	v_add_u32_e32 v0, v110, v0
	v_add_u32_e32 v1, v2, v111
	ds_write_b32 v1, v0 offset:16
.LBB29_52:                              ;   in Loop: Header=BB29_4 Depth=2
	s_or_b64 exec, exec, s[22:23]
	v_lshlrev_b32_e32 v0, s33, v39
	v_lshrrev_b32_e32 v0, 28, v0
	v_mad_u32_u24 v1, v0, 20, v2
	; wave barrier
	ds_read_b32 v113, v1 offset:16
	v_and_b32_e32 v1, 1, v0
	v_add_co_u32_e64 v4, s[22:23], -1, v1
	v_addc_co_u32_e64 v114, s[22:23], 0, -1, s[22:23]
	v_cmp_ne_u32_e64 s[22:23], 0, v1
	v_xor_b32_e32 v4, s22, v4
	v_xor_b32_e32 v1, s23, v114
	v_and_b32_e32 v114, exec_lo, v4
	v_lshlrev_b32_e32 v4, 30, v0
	v_cmp_gt_i64_e64 s[22:23], 0, v[3:4]
	v_not_b32_e32 v4, v4
	v_ashrrev_i32_e32 v4, 31, v4
	v_xor_b32_e32 v116, s23, v4
	v_xor_b32_e32 v4, s22, v4
	v_and_b32_e32 v114, v114, v4
	v_lshlrev_b32_e32 v4, 29, v0
	v_cmp_gt_i64_e64 s[22:23], 0, v[3:4]
	v_not_b32_e32 v4, v4
	v_and_b32_e32 v1, exec_hi, v1
	v_ashrrev_i32_e32 v4, 31, v4
	v_and_b32_e32 v1, v1, v116
	v_xor_b32_e32 v116, s23, v4
	v_xor_b32_e32 v4, s22, v4
	v_and_b32_e32 v114, v114, v4
	v_lshlrev_b32_e32 v4, 28, v0
	v_mul_u32_u24_e32 v115, 20, v0
	v_cmp_gt_i64_e64 s[22:23], 0, v[3:4]
	v_not_b32_e32 v0, v4
	v_ashrrev_i32_e32 v0, 31, v0
	v_xor_b32_e32 v4, s23, v0
	v_xor_b32_e32 v0, s22, v0
	v_and_b32_e32 v1, v1, v116
	v_and_b32_e32 v0, v114, v0
	v_and_b32_e32 v1, v1, v4
	v_mbcnt_lo_u32_b32 v4, v0, 0
	v_mbcnt_hi_u32_b32 v114, v1, v4
	v_cmp_ne_u64_e64 s[22:23], 0, v[0:1]
	v_cmp_eq_u32_e64 s[24:25], 0, v114
	s_and_b64 s[24:25], s[22:23], s[24:25]
	; wave barrier
	s_and_saveexec_b64 s[22:23], s[24:25]
	s_cbranch_execz .LBB29_54
; %bb.53:                               ;   in Loop: Header=BB29_4 Depth=2
	v_bcnt_u32_b32 v0, v0, 0
	v_bcnt_u32_b32 v0, v1, v0
	s_waitcnt lgkmcnt(0)
	v_add_u32_e32 v0, v113, v0
	v_add_u32_e32 v1, v2, v115
	ds_write_b32 v1, v0 offset:16
.LBB29_54:                              ;   in Loop: Header=BB29_4 Depth=2
	s_or_b64 exec, exec, s[22:23]
	v_lshlrev_b32_e32 v0, s33, v40
	v_lshrrev_b32_e32 v0, 28, v0
	v_mad_u32_u24 v1, v0, 20, v2
	; wave barrier
	ds_read_b32 v116, v1 offset:16
	v_and_b32_e32 v1, 1, v0
	v_add_co_u32_e64 v4, s[22:23], -1, v1
	v_addc_co_u32_e64 v117, s[22:23], 0, -1, s[22:23]
	v_cmp_ne_u32_e64 s[22:23], 0, v1
	v_xor_b32_e32 v4, s22, v4
	v_xor_b32_e32 v1, s23, v117
	v_and_b32_e32 v117, exec_lo, v4
	v_lshlrev_b32_e32 v4, 30, v0
	v_cmp_gt_i64_e64 s[22:23], 0, v[3:4]
	v_not_b32_e32 v4, v4
	v_ashrrev_i32_e32 v4, 31, v4
	v_xor_b32_e32 v119, s23, v4
	v_xor_b32_e32 v4, s22, v4
	v_and_b32_e32 v117, v117, v4
	v_lshlrev_b32_e32 v4, 29, v0
	v_cmp_gt_i64_e64 s[22:23], 0, v[3:4]
	v_not_b32_e32 v4, v4
	v_and_b32_e32 v1, exec_hi, v1
	v_ashrrev_i32_e32 v4, 31, v4
	v_and_b32_e32 v1, v1, v119
	v_xor_b32_e32 v119, s23, v4
	v_xor_b32_e32 v4, s22, v4
	v_and_b32_e32 v117, v117, v4
	v_lshlrev_b32_e32 v4, 28, v0
	v_mul_u32_u24_e32 v118, 20, v0
	v_cmp_gt_i64_e64 s[22:23], 0, v[3:4]
	v_not_b32_e32 v0, v4
	v_ashrrev_i32_e32 v0, 31, v0
	v_xor_b32_e32 v4, s23, v0
	v_xor_b32_e32 v0, s22, v0
	v_and_b32_e32 v1, v1, v119
	v_and_b32_e32 v0, v117, v0
	v_and_b32_e32 v1, v1, v4
	v_mbcnt_lo_u32_b32 v4, v0, 0
	v_mbcnt_hi_u32_b32 v117, v1, v4
	v_cmp_ne_u64_e64 s[22:23], 0, v[0:1]
	v_cmp_eq_u32_e64 s[24:25], 0, v117
	s_and_b64 s[24:25], s[22:23], s[24:25]
	; wave barrier
	s_and_saveexec_b64 s[22:23], s[24:25]
	s_cbranch_execz .LBB29_56
; %bb.55:                               ;   in Loop: Header=BB29_4 Depth=2
	v_bcnt_u32_b32 v0, v0, 0
	v_bcnt_u32_b32 v0, v1, v0
	s_waitcnt lgkmcnt(0)
	v_add_u32_e32 v0, v116, v0
	v_add_u32_e32 v1, v2, v118
	ds_write_b32 v1, v0 offset:16
.LBB29_56:                              ;   in Loop: Header=BB29_4 Depth=2
	s_or_b64 exec, exec, s[22:23]
	v_lshlrev_b32_e32 v0, s33, v41
	v_lshrrev_b32_e32 v0, 28, v0
	v_mad_u32_u24 v1, v0, 20, v2
	; wave barrier
	ds_read_b32 v119, v1 offset:16
	v_and_b32_e32 v1, 1, v0
	v_add_co_u32_e64 v4, s[22:23], -1, v1
	v_addc_co_u32_e64 v120, s[22:23], 0, -1, s[22:23]
	v_cmp_ne_u32_e64 s[22:23], 0, v1
	v_xor_b32_e32 v4, s22, v4
	v_xor_b32_e32 v1, s23, v120
	v_and_b32_e32 v120, exec_lo, v4
	v_lshlrev_b32_e32 v4, 30, v0
	v_cmp_gt_i64_e64 s[22:23], 0, v[3:4]
	v_not_b32_e32 v4, v4
	v_ashrrev_i32_e32 v4, 31, v4
	v_xor_b32_e32 v122, s23, v4
	v_xor_b32_e32 v4, s22, v4
	v_and_b32_e32 v120, v120, v4
	v_lshlrev_b32_e32 v4, 29, v0
	v_cmp_gt_i64_e64 s[22:23], 0, v[3:4]
	v_not_b32_e32 v4, v4
	v_and_b32_e32 v1, exec_hi, v1
	v_ashrrev_i32_e32 v4, 31, v4
	v_and_b32_e32 v1, v1, v122
	v_xor_b32_e32 v122, s23, v4
	v_xor_b32_e32 v4, s22, v4
	v_and_b32_e32 v120, v120, v4
	v_lshlrev_b32_e32 v4, 28, v0
	v_mul_u32_u24_e32 v121, 20, v0
	v_cmp_gt_i64_e64 s[22:23], 0, v[3:4]
	v_not_b32_e32 v0, v4
	v_ashrrev_i32_e32 v0, 31, v0
	v_xor_b32_e32 v4, s23, v0
	v_xor_b32_e32 v0, s22, v0
	v_and_b32_e32 v1, v1, v122
	v_and_b32_e32 v0, v120, v0
	v_and_b32_e32 v1, v1, v4
	v_mbcnt_lo_u32_b32 v4, v0, 0
	v_mbcnt_hi_u32_b32 v120, v1, v4
	v_cmp_ne_u64_e64 s[22:23], 0, v[0:1]
	v_cmp_eq_u32_e64 s[24:25], 0, v120
	s_and_b64 s[24:25], s[22:23], s[24:25]
	; wave barrier
	s_and_saveexec_b64 s[22:23], s[24:25]
	s_cbranch_execz .LBB29_58
; %bb.57:                               ;   in Loop: Header=BB29_4 Depth=2
	v_bcnt_u32_b32 v0, v0, 0
	v_bcnt_u32_b32 v0, v1, v0
	s_waitcnt lgkmcnt(0)
	v_add_u32_e32 v0, v119, v0
	v_add_u32_e32 v1, v2, v121
	ds_write_b32 v1, v0 offset:16
.LBB29_58:                              ;   in Loop: Header=BB29_4 Depth=2
	s_or_b64 exec, exec, s[22:23]
	v_lshlrev_b32_e32 v0, s33, v42
	v_lshrrev_b32_e32 v0, 28, v0
	v_mad_u32_u24 v1, v0, 20, v2
	; wave barrier
	ds_read_b32 v122, v1 offset:16
	v_and_b32_e32 v1, 1, v0
	v_add_co_u32_e64 v4, s[22:23], -1, v1
	v_addc_co_u32_e64 v123, s[22:23], 0, -1, s[22:23]
	v_cmp_ne_u32_e64 s[22:23], 0, v1
	v_xor_b32_e32 v4, s22, v4
	v_xor_b32_e32 v1, s23, v123
	v_and_b32_e32 v123, exec_lo, v4
	v_lshlrev_b32_e32 v4, 30, v0
	v_cmp_gt_i64_e64 s[22:23], 0, v[3:4]
	v_not_b32_e32 v4, v4
	v_ashrrev_i32_e32 v4, 31, v4
	v_xor_b32_e32 v125, s23, v4
	v_xor_b32_e32 v4, s22, v4
	v_and_b32_e32 v123, v123, v4
	v_lshlrev_b32_e32 v4, 29, v0
	v_cmp_gt_i64_e64 s[22:23], 0, v[3:4]
	v_not_b32_e32 v4, v4
	v_and_b32_e32 v1, exec_hi, v1
	v_ashrrev_i32_e32 v4, 31, v4
	v_and_b32_e32 v1, v1, v125
	v_xor_b32_e32 v125, s23, v4
	v_xor_b32_e32 v4, s22, v4
	v_and_b32_e32 v123, v123, v4
	v_lshlrev_b32_e32 v4, 28, v0
	v_mul_u32_u24_e32 v124, 20, v0
	v_cmp_gt_i64_e64 s[22:23], 0, v[3:4]
	v_not_b32_e32 v0, v4
	v_ashrrev_i32_e32 v0, 31, v0
	v_xor_b32_e32 v4, s23, v0
	v_xor_b32_e32 v0, s22, v0
	v_and_b32_e32 v1, v1, v125
	v_and_b32_e32 v0, v123, v0
	v_and_b32_e32 v1, v1, v4
	v_mbcnt_lo_u32_b32 v4, v0, 0
	v_mbcnt_hi_u32_b32 v123, v1, v4
	v_cmp_ne_u64_e64 s[22:23], 0, v[0:1]
	v_cmp_eq_u32_e64 s[24:25], 0, v123
	s_and_b64 s[24:25], s[22:23], s[24:25]
	; wave barrier
	s_and_saveexec_b64 s[22:23], s[24:25]
	s_cbranch_execz .LBB29_60
; %bb.59:                               ;   in Loop: Header=BB29_4 Depth=2
	v_bcnt_u32_b32 v0, v0, 0
	v_bcnt_u32_b32 v0, v1, v0
	s_waitcnt lgkmcnt(0)
	v_add_u32_e32 v0, v122, v0
	v_add_u32_e32 v1, v2, v124
	ds_write_b32 v1, v0 offset:16
.LBB29_60:                              ;   in Loop: Header=BB29_4 Depth=2
	s_or_b64 exec, exec, s[22:23]
	v_lshlrev_b32_e32 v0, s33, v43
	v_lshrrev_b32_e32 v0, 28, v0
	v_mad_u32_u24 v1, v0, 20, v2
	; wave barrier
	ds_read_b32 v125, v1 offset:16
	v_and_b32_e32 v1, 1, v0
	v_add_co_u32_e64 v4, s[22:23], -1, v1
	v_addc_co_u32_e64 v126, s[22:23], 0, -1, s[22:23]
	v_cmp_ne_u32_e64 s[22:23], 0, v1
	v_xor_b32_e32 v4, s22, v4
	v_xor_b32_e32 v1, s23, v126
	v_and_b32_e32 v126, exec_lo, v4
	v_lshlrev_b32_e32 v4, 30, v0
	v_cmp_gt_i64_e64 s[22:23], 0, v[3:4]
	v_not_b32_e32 v4, v4
	v_ashrrev_i32_e32 v4, 31, v4
	v_xor_b32_e32 v128, s23, v4
	v_xor_b32_e32 v4, s22, v4
	v_and_b32_e32 v126, v126, v4
	v_lshlrev_b32_e32 v4, 29, v0
	v_cmp_gt_i64_e64 s[22:23], 0, v[3:4]
	v_not_b32_e32 v4, v4
	v_and_b32_e32 v1, exec_hi, v1
	v_ashrrev_i32_e32 v4, 31, v4
	v_and_b32_e32 v1, v1, v128
	v_xor_b32_e32 v128, s23, v4
	v_xor_b32_e32 v4, s22, v4
	v_and_b32_e32 v126, v126, v4
	v_lshlrev_b32_e32 v4, 28, v0
	v_mul_u32_u24_e32 v127, 20, v0
	v_cmp_gt_i64_e64 s[22:23], 0, v[3:4]
	v_not_b32_e32 v0, v4
	v_ashrrev_i32_e32 v0, 31, v0
	v_xor_b32_e32 v4, s23, v0
	v_xor_b32_e32 v0, s22, v0
	v_and_b32_e32 v1, v1, v128
	v_and_b32_e32 v0, v126, v0
	v_and_b32_e32 v1, v1, v4
	v_mbcnt_lo_u32_b32 v4, v0, 0
	v_mbcnt_hi_u32_b32 v126, v1, v4
	v_cmp_ne_u64_e64 s[22:23], 0, v[0:1]
	v_cmp_eq_u32_e64 s[24:25], 0, v126
	s_and_b64 s[24:25], s[22:23], s[24:25]
	; wave barrier
	s_and_saveexec_b64 s[22:23], s[24:25]
	s_cbranch_execz .LBB29_62
; %bb.61:                               ;   in Loop: Header=BB29_4 Depth=2
	v_bcnt_u32_b32 v0, v0, 0
	v_bcnt_u32_b32 v0, v1, v0
	s_waitcnt lgkmcnt(0)
	v_add_u32_e32 v0, v125, v0
	v_add_u32_e32 v1, v2, v127
	ds_write_b32 v1, v0 offset:16
.LBB29_62:                              ;   in Loop: Header=BB29_4 Depth=2
	s_or_b64 exec, exec, s[22:23]
	v_lshlrev_b32_e32 v0, s33, v44
	v_lshrrev_b32_e32 v0, 28, v0
	v_mad_u32_u24 v1, v0, 20, v2
	; wave barrier
	ds_read_b32 v128, v1 offset:16
	v_and_b32_e32 v1, 1, v0
	v_add_co_u32_e64 v4, s[22:23], -1, v1
	v_addc_co_u32_e64 v129, s[22:23], 0, -1, s[22:23]
	v_cmp_ne_u32_e64 s[22:23], 0, v1
	v_xor_b32_e32 v4, s22, v4
	v_xor_b32_e32 v1, s23, v129
	v_and_b32_e32 v129, exec_lo, v4
	v_lshlrev_b32_e32 v4, 30, v0
	v_cmp_gt_i64_e64 s[22:23], 0, v[3:4]
	v_not_b32_e32 v4, v4
	v_ashrrev_i32_e32 v4, 31, v4
	v_xor_b32_e32 v131, s23, v4
	v_xor_b32_e32 v4, s22, v4
	v_and_b32_e32 v129, v129, v4
	v_lshlrev_b32_e32 v4, 29, v0
	v_cmp_gt_i64_e64 s[22:23], 0, v[3:4]
	v_not_b32_e32 v4, v4
	v_and_b32_e32 v1, exec_hi, v1
	v_ashrrev_i32_e32 v4, 31, v4
	v_and_b32_e32 v1, v1, v131
	v_xor_b32_e32 v131, s23, v4
	v_xor_b32_e32 v4, s22, v4
	v_and_b32_e32 v129, v129, v4
	v_lshlrev_b32_e32 v4, 28, v0
	v_mul_u32_u24_e32 v130, 20, v0
	v_cmp_gt_i64_e64 s[22:23], 0, v[3:4]
	v_not_b32_e32 v0, v4
	v_ashrrev_i32_e32 v0, 31, v0
	v_xor_b32_e32 v4, s23, v0
	v_xor_b32_e32 v0, s22, v0
	v_and_b32_e32 v1, v1, v131
	v_and_b32_e32 v0, v129, v0
	v_and_b32_e32 v1, v1, v4
	v_mbcnt_lo_u32_b32 v4, v0, 0
	v_mbcnt_hi_u32_b32 v129, v1, v4
	v_cmp_ne_u64_e64 s[22:23], 0, v[0:1]
	v_cmp_eq_u32_e64 s[24:25], 0, v129
	s_and_b64 s[24:25], s[22:23], s[24:25]
	; wave barrier
	s_and_saveexec_b64 s[22:23], s[24:25]
	s_cbranch_execz .LBB29_64
; %bb.63:                               ;   in Loop: Header=BB29_4 Depth=2
	v_bcnt_u32_b32 v0, v0, 0
	v_bcnt_u32_b32 v0, v1, v0
	s_waitcnt lgkmcnt(0)
	v_add_u32_e32 v0, v128, v0
	v_add_u32_e32 v1, v2, v130
	ds_write_b32 v1, v0 offset:16
.LBB29_64:                              ;   in Loop: Header=BB29_4 Depth=2
	s_or_b64 exec, exec, s[22:23]
	v_lshlrev_b32_e32 v0, s33, v45
	v_lshrrev_b32_e32 v0, 28, v0
	v_mad_u32_u24 v1, v0, 20, v2
	; wave barrier
	ds_read_b32 v131, v1 offset:16
	v_and_b32_e32 v1, 1, v0
	v_add_co_u32_e64 v4, s[22:23], -1, v1
	v_addc_co_u32_e64 v132, s[22:23], 0, -1, s[22:23]
	v_cmp_ne_u32_e64 s[22:23], 0, v1
	v_xor_b32_e32 v4, s22, v4
	v_xor_b32_e32 v1, s23, v132
	v_and_b32_e32 v132, exec_lo, v4
	v_lshlrev_b32_e32 v4, 30, v0
	v_cmp_gt_i64_e64 s[22:23], 0, v[3:4]
	v_not_b32_e32 v4, v4
	v_ashrrev_i32_e32 v4, 31, v4
	v_xor_b32_e32 v134, s23, v4
	v_xor_b32_e32 v4, s22, v4
	v_and_b32_e32 v132, v132, v4
	v_lshlrev_b32_e32 v4, 29, v0
	v_cmp_gt_i64_e64 s[22:23], 0, v[3:4]
	v_not_b32_e32 v4, v4
	v_and_b32_e32 v1, exec_hi, v1
	v_ashrrev_i32_e32 v4, 31, v4
	v_and_b32_e32 v1, v1, v134
	v_xor_b32_e32 v134, s23, v4
	v_xor_b32_e32 v4, s22, v4
	v_and_b32_e32 v132, v132, v4
	v_lshlrev_b32_e32 v4, 28, v0
	v_mul_u32_u24_e32 v133, 20, v0
	v_cmp_gt_i64_e64 s[22:23], 0, v[3:4]
	v_not_b32_e32 v0, v4
	v_ashrrev_i32_e32 v0, 31, v0
	v_xor_b32_e32 v4, s23, v0
	v_xor_b32_e32 v0, s22, v0
	v_and_b32_e32 v1, v1, v134
	v_and_b32_e32 v0, v132, v0
	v_and_b32_e32 v1, v1, v4
	v_mbcnt_lo_u32_b32 v4, v0, 0
	v_mbcnt_hi_u32_b32 v132, v1, v4
	v_cmp_ne_u64_e64 s[22:23], 0, v[0:1]
	v_cmp_eq_u32_e64 s[24:25], 0, v132
	s_and_b64 s[24:25], s[22:23], s[24:25]
	; wave barrier
	s_and_saveexec_b64 s[22:23], s[24:25]
	s_cbranch_execz .LBB29_66
; %bb.65:                               ;   in Loop: Header=BB29_4 Depth=2
	v_bcnt_u32_b32 v0, v0, 0
	v_bcnt_u32_b32 v0, v1, v0
	s_waitcnt lgkmcnt(0)
	v_add_u32_e32 v0, v131, v0
	v_add_u32_e32 v1, v2, v133
	ds_write_b32 v1, v0 offset:16
.LBB29_66:                              ;   in Loop: Header=BB29_4 Depth=2
	s_or_b64 exec, exec, s[22:23]
	v_lshlrev_b32_e32 v0, s33, v46
	v_lshrrev_b32_e32 v0, 28, v0
	v_mad_u32_u24 v1, v0, 20, v2
	; wave barrier
	ds_read_b32 v134, v1 offset:16
	v_and_b32_e32 v1, 1, v0
	v_add_co_u32_e64 v4, s[22:23], -1, v1
	v_addc_co_u32_e64 v136, s[22:23], 0, -1, s[22:23]
	v_cmp_ne_u32_e64 s[22:23], 0, v1
	v_xor_b32_e32 v4, s22, v4
	v_xor_b32_e32 v1, s23, v136
	v_and_b32_e32 v136, exec_lo, v4
	v_lshlrev_b32_e32 v4, 30, v0
	v_cmp_gt_i64_e64 s[22:23], 0, v[3:4]
	v_not_b32_e32 v4, v4
	v_ashrrev_i32_e32 v4, 31, v4
	v_xor_b32_e32 v137, s23, v4
	v_xor_b32_e32 v4, s22, v4
	v_and_b32_e32 v136, v136, v4
	v_lshlrev_b32_e32 v4, 29, v0
	v_cmp_gt_i64_e64 s[22:23], 0, v[3:4]
	v_not_b32_e32 v4, v4
	v_and_b32_e32 v1, exec_hi, v1
	v_ashrrev_i32_e32 v4, 31, v4
	v_and_b32_e32 v1, v1, v137
	v_xor_b32_e32 v137, s23, v4
	v_xor_b32_e32 v4, s22, v4
	v_and_b32_e32 v136, v136, v4
	v_lshlrev_b32_e32 v4, 28, v0
	v_mul_u32_u24_e32 v135, 20, v0
	v_cmp_gt_i64_e64 s[22:23], 0, v[3:4]
	v_not_b32_e32 v0, v4
	v_ashrrev_i32_e32 v0, 31, v0
	v_xor_b32_e32 v4, s23, v0
	v_xor_b32_e32 v0, s22, v0
	v_and_b32_e32 v1, v1, v137
	v_and_b32_e32 v0, v136, v0
	v_and_b32_e32 v1, v1, v4
	v_mbcnt_lo_u32_b32 v4, v0, 0
	v_mbcnt_hi_u32_b32 v4, v1, v4
	v_cmp_ne_u64_e64 s[22:23], 0, v[0:1]
	v_cmp_eq_u32_e64 s[24:25], 0, v4
	s_and_b64 s[24:25], s[22:23], s[24:25]
	; wave barrier
	s_and_saveexec_b64 s[22:23], s[24:25]
	s_cbranch_execz .LBB29_68
; %bb.67:                               ;   in Loop: Header=BB29_4 Depth=2
	v_bcnt_u32_b32 v0, v0, 0
	v_bcnt_u32_b32 v0, v1, v0
	s_waitcnt lgkmcnt(0)
	v_add_u32_e32 v0, v134, v0
	v_add_u32_e32 v1, v2, v135
	ds_write_b32 v1, v0 offset:16
.LBB29_68:                              ;   in Loop: Header=BB29_4 Depth=2
	s_or_b64 exec, exec, s[22:23]
	; wave barrier
	s_waitcnt lgkmcnt(0)
	s_barrier
	ds_read_b32 v0, v6 offset:16
	s_waitcnt lgkmcnt(0)
	s_nop 0
	v_mov_b32_dpp v1, v0 row_shr:1 row_mask:0xf bank_mask:0xf
	v_cndmask_b32_e64 v1, v1, 0, s[8:9]
	v_add_u32_e32 v0, v1, v0
	s_nop 1
	v_mov_b32_dpp v1, v0 row_shr:2 row_mask:0xf bank_mask:0xf
	v_cndmask_b32_e64 v1, 0, v1, s[10:11]
	v_add_u32_e32 v0, v0, v1
	;; [unrolled: 4-line block ×4, first 2 shown]
	s_nop 1
	v_mov_b32_dpp v1, v0 row_bcast:15 row_mask:0xf bank_mask:0xf
	v_cndmask_b32_e64 v1, v1, 0, s[16:17]
	v_add_u32_e32 v0, v0, v1
	s_nop 1
	v_mov_b32_dpp v1, v0 row_bcast:31 row_mask:0xf bank_mask:0xf
	v_cndmask_b32_e64 v1, 0, v1, s[2:3]
	v_add_u32_e32 v0, v0, v1
	s_and_saveexec_b64 s[22:23], s[4:5]
; %bb.69:                               ;   in Loop: Header=BB29_4 Depth=2
	ds_write_b32 v10, v0
; %bb.70:                               ;   in Loop: Header=BB29_4 Depth=2
	s_or_b64 exec, exec, s[22:23]
	s_waitcnt lgkmcnt(0)
	s_barrier
	s_and_saveexec_b64 s[22:23], vcc
	s_cbranch_execz .LBB29_72
; %bb.71:                               ;   in Loop: Header=BB29_4 Depth=2
	ds_read_b32 v1, v6
	s_waitcnt lgkmcnt(0)
	s_nop 0
	v_mov_b32_dpp v136, v1 row_shr:1 row_mask:0xf bank_mask:0xf
	v_cndmask_b32_e64 v136, v136, 0, s[18:19]
	v_add_u32_e32 v1, v136, v1
	s_nop 1
	v_mov_b32_dpp v136, v1 row_shr:2 row_mask:0xf bank_mask:0xf
	v_cndmask_b32_e64 v136, 0, v136, s[20:21]
	v_add_u32_e32 v1, v1, v136
	ds_write_b32 v6, v1
.LBB29_72:                              ;   in Loop: Header=BB29_4 Depth=2
	s_or_b64 exec, exec, s[22:23]
	v_mov_b32_e32 v1, 0
	s_waitcnt lgkmcnt(0)
	s_barrier
	s_and_saveexec_b64 s[22:23], s[0:1]
	s_cbranch_execz .LBB29_3
; %bb.73:                               ;   in Loop: Header=BB29_4 Depth=2
	ds_read_b32 v1, v12
	s_branch .LBB29_3
.LBB29_74:
	v_add_u32_e32 v0, v2, v135
	v_add_u32_e32 v1, v2, v133
	;; [unrolled: 1-line block ×8, first 2 shown]
	ds_read_b32 v0, v0 offset:16
	ds_read_b32 v1, v1 offset:16
	;; [unrolled: 1-line block ×8, first 2 shown]
	s_waitcnt lgkmcnt(7)
	v_add3_u32 v15, v4, v134, v0
	s_waitcnt lgkmcnt(6)
	v_add3_u32 v14, v132, v131, v1
	;; [unrolled: 2-line block ×5, first 2 shown]
	v_add_u32_e32 v0, v2, v111
	v_add_u32_e32 v1, v2, v108
	;; [unrolled: 1-line block ×6, first 2 shown]
	s_waitcnt lgkmcnt(2)
	v_add3_u32 v18, v120, v119, v16
	s_waitcnt lgkmcnt(0)
	v_add3_u32 v16, v114, v113, v20
	v_add_u32_e32 v20, v2, v93
	v_add_u32_e32 v21, v2, v90
	ds_read_b32 v0, v0 offset:16
	ds_read_b32 v1, v1 offset:16
	ds_read_b32 v3, v3 offset:16
	ds_read_b32 v4, v4 offset:16
	ds_read_b32 v6, v6 offset:16
	ds_read_b32 v10, v10 offset:16
	ds_read_b32 v24, v20 offset:16
	ds_read_b32 v28, v21 offset:16
	s_waitcnt lgkmcnt(7)
	v_add3_u32 v23, v112, v110, v0
	s_waitcnt lgkmcnt(6)
	v_add3_u32 v22, v109, v107, v1
	;; [unrolled: 2-line block ×6, first 2 shown]
	v_add_u32_e32 v0, v2, v87
	v_add_u32_e32 v1, v2, v84
	;; [unrolled: 1-line block ×6, first 2 shown]
	s_waitcnt lgkmcnt(1)
	v_add3_u32 v25, v94, v92, v24
	s_waitcnt lgkmcnt(0)
	v_add3_u32 v24, v91, v89, v28
	v_add_u32_e32 v28, v2, v69
	v_add_u32_e32 v29, v2, v66
	ds_read_b32 v0, v0 offset:16
	ds_read_b32 v1, v1 offset:16
	;; [unrolled: 1-line block ×8, first 2 shown]
	s_waitcnt lgkmcnt(7)
	v_add3_u32 v31, v88, v86, v0
	s_waitcnt lgkmcnt(6)
	v_add3_u32 v30, v85, v83, v1
	;; [unrolled: 2-line block ×5, first 2 shown]
	v_add_u32_e32 v0, v2, v63
	v_add_u32_e32 v1, v2, v60
	;; [unrolled: 1-line block ×5, first 2 shown]
	v_add3_u32 v29, v82, v80, v3
	s_waitcnt lgkmcnt(1)
	v_add3_u32 v35, v70, v68, v32
	v_add_u32_e32 v3, v2, v57
	v_add_u32_e32 v11, v2, v11
	v_add_u32_e32 v2, v2, v7
	ds_read_b32 v0, v0 offset:16
	ds_read_b32 v1, v1 offset:16
	;; [unrolled: 1-line block ×8, first 2 shown]
	s_add_u32 s0, s26, s28
	s_waitcnt lgkmcnt(7)
	v_add3_u32 v3, v64, v62, v0
	s_waitcnt lgkmcnt(4)
	v_add3_u32 v0, v55, v53, v4
	;; [unrolled: 2-line block ×5, first 2 shown]
	s_waitcnt lgkmcnt(0)
	v_add_u32_e32 v8, v38, v8
	s_addc_u32 s1, s27, s29
	v_lshlrev_b32_e32 v4, 2, v5
	v_add3_u32 v17, v117, v116, v17
	v_add3_u32 v34, v67, v65, v34
	;; [unrolled: 1-line block ×4, first 2 shown]
	global_store_dwordx4 v4, v[8:11], s[0:1]
	global_store_dwordx4 v4, v[0:3], s[0:1] offset:16
	global_store_dwordx4 v4, v[34:37], s[0:1] offset:32
	;; [unrolled: 1-line block ×7, first 2 shown]
	s_endpgm
	.section	.rodata,"a",@progbits
	.p2align	6, 0x0
	.amdhsa_kernel _Z11rank_kernelIiLj4ELb0EL18RadixRankAlgorithm2ELj256ELj32ELj10EEvPKT_Pi
		.amdhsa_group_segment_fixed_size 1040
		.amdhsa_private_segment_fixed_size 0
		.amdhsa_kernarg_size 272
		.amdhsa_user_sgpr_count 6
		.amdhsa_user_sgpr_private_segment_buffer 1
		.amdhsa_user_sgpr_dispatch_ptr 0
		.amdhsa_user_sgpr_queue_ptr 0
		.amdhsa_user_sgpr_kernarg_segment_ptr 1
		.amdhsa_user_sgpr_dispatch_id 0
		.amdhsa_user_sgpr_flat_scratch_init 0
		.amdhsa_user_sgpr_private_segment_size 0
		.amdhsa_uses_dynamic_stack 0
		.amdhsa_system_sgpr_private_segment_wavefront_offset 0
		.amdhsa_system_sgpr_workgroup_id_x 1
		.amdhsa_system_sgpr_workgroup_id_y 0
		.amdhsa_system_sgpr_workgroup_id_z 0
		.amdhsa_system_sgpr_workgroup_info 0
		.amdhsa_system_vgpr_workitem_id 2
		.amdhsa_next_free_vgpr 138
		.amdhsa_next_free_sgpr 34
		.amdhsa_reserve_vcc 1
		.amdhsa_reserve_flat_scratch 0
		.amdhsa_float_round_mode_32 0
		.amdhsa_float_round_mode_16_64 0
		.amdhsa_float_denorm_mode_32 3
		.amdhsa_float_denorm_mode_16_64 3
		.amdhsa_dx10_clamp 1
		.amdhsa_ieee_mode 1
		.amdhsa_fp16_overflow 0
		.amdhsa_exception_fp_ieee_invalid_op 0
		.amdhsa_exception_fp_denorm_src 0
		.amdhsa_exception_fp_ieee_div_zero 0
		.amdhsa_exception_fp_ieee_overflow 0
		.amdhsa_exception_fp_ieee_underflow 0
		.amdhsa_exception_fp_ieee_inexact 0
		.amdhsa_exception_int_div_zero 0
	.end_amdhsa_kernel
	.section	.text._Z11rank_kernelIiLj4ELb0EL18RadixRankAlgorithm2ELj256ELj32ELj10EEvPKT_Pi,"axG",@progbits,_Z11rank_kernelIiLj4ELb0EL18RadixRankAlgorithm2ELj256ELj32ELj10EEvPKT_Pi,comdat
.Lfunc_end29:
	.size	_Z11rank_kernelIiLj4ELb0EL18RadixRankAlgorithm2ELj256ELj32ELj10EEvPKT_Pi, .Lfunc_end29-_Z11rank_kernelIiLj4ELb0EL18RadixRankAlgorithm2ELj256ELj32ELj10EEvPKT_Pi
                                        ; -- End function
	.set _Z11rank_kernelIiLj4ELb0EL18RadixRankAlgorithm2ELj256ELj32ELj10EEvPKT_Pi.num_vgpr, 138
	.set _Z11rank_kernelIiLj4ELb0EL18RadixRankAlgorithm2ELj256ELj32ELj10EEvPKT_Pi.num_agpr, 0
	.set _Z11rank_kernelIiLj4ELb0EL18RadixRankAlgorithm2ELj256ELj32ELj10EEvPKT_Pi.numbered_sgpr, 34
	.set _Z11rank_kernelIiLj4ELb0EL18RadixRankAlgorithm2ELj256ELj32ELj10EEvPKT_Pi.num_named_barrier, 0
	.set _Z11rank_kernelIiLj4ELb0EL18RadixRankAlgorithm2ELj256ELj32ELj10EEvPKT_Pi.private_seg_size, 0
	.set _Z11rank_kernelIiLj4ELb0EL18RadixRankAlgorithm2ELj256ELj32ELj10EEvPKT_Pi.uses_vcc, 1
	.set _Z11rank_kernelIiLj4ELb0EL18RadixRankAlgorithm2ELj256ELj32ELj10EEvPKT_Pi.uses_flat_scratch, 0
	.set _Z11rank_kernelIiLj4ELb0EL18RadixRankAlgorithm2ELj256ELj32ELj10EEvPKT_Pi.has_dyn_sized_stack, 0
	.set _Z11rank_kernelIiLj4ELb0EL18RadixRankAlgorithm2ELj256ELj32ELj10EEvPKT_Pi.has_recursion, 0
	.set _Z11rank_kernelIiLj4ELb0EL18RadixRankAlgorithm2ELj256ELj32ELj10EEvPKT_Pi.has_indirect_call, 0
	.section	.AMDGPU.csdata,"",@progbits
; Kernel info:
; codeLenInByte = 10260
; TotalNumSgprs: 38
; NumVgprs: 138
; ScratchSize: 0
; MemoryBound: 0
; FloatMode: 240
; IeeeMode: 1
; LDSByteSize: 1040 bytes/workgroup (compile time only)
; SGPRBlocks: 4
; VGPRBlocks: 34
; NumSGPRsForWavesPerEU: 38
; NumVGPRsForWavesPerEU: 138
; Occupancy: 1
; WaveLimiterHint : 0
; COMPUTE_PGM_RSRC2:SCRATCH_EN: 0
; COMPUTE_PGM_RSRC2:USER_SGPR: 6
; COMPUTE_PGM_RSRC2:TRAP_HANDLER: 0
; COMPUTE_PGM_RSRC2:TGID_X_EN: 1
; COMPUTE_PGM_RSRC2:TGID_Y_EN: 0
; COMPUTE_PGM_RSRC2:TGID_Z_EN: 0
; COMPUTE_PGM_RSRC2:TIDIG_COMP_CNT: 2
	.section	.text._Z11rank_kernelIiLj4ELb0EL18RadixRankAlgorithm0ELj512ELj1ELj10EEvPKT_Pi,"axG",@progbits,_Z11rank_kernelIiLj4ELb0EL18RadixRankAlgorithm0ELj512ELj1ELj10EEvPKT_Pi,comdat
	.protected	_Z11rank_kernelIiLj4ELb0EL18RadixRankAlgorithm0ELj512ELj1ELj10EEvPKT_Pi ; -- Begin function _Z11rank_kernelIiLj4ELb0EL18RadixRankAlgorithm0ELj512ELj1ELj10EEvPKT_Pi
	.globl	_Z11rank_kernelIiLj4ELb0EL18RadixRankAlgorithm0ELj512ELj1ELj10EEvPKT_Pi
	.p2align	8
	.type	_Z11rank_kernelIiLj4ELb0EL18RadixRankAlgorithm0ELj512ELj1ELj10EEvPKT_Pi,@function
_Z11rank_kernelIiLj4ELb0EL18RadixRankAlgorithm0ELj512ELj1ELj10EEvPKT_Pi: ; @_Z11rank_kernelIiLj4ELb0EL18RadixRankAlgorithm0ELj512ELj1ELj10EEvPKT_Pi
; %bb.0:
	s_load_dwordx4 s[24:27], s[4:5], 0x0
	s_lshl_b32 s30, s6, 9
	s_mov_b32 s31, 0
	s_lshl_b64 s[28:29], s[30:31], 2
	v_lshlrev_b32_e32 v1, 2, v0
	s_waitcnt lgkmcnt(0)
	s_add_u32 s0, s24, s28
	s_addc_u32 s1, s25, s29
	global_load_dword v7, v1, s[0:1]
	v_mbcnt_lo_u32_b32 v4, -1, 0
	v_mbcnt_hi_u32_b32 v6, -1, v4
	v_or_b32_e32 v5, 63, v0
	v_lshrrev_b32_e32 v8, 4, v0
	v_subrev_co_u32_e64 v11, s[6:7], 1, v6
	v_and_b32_e32 v12, 64, v6
	v_and_b32_e32 v9, 15, v6
	;; [unrolled: 1-line block ×3, first 2 shown]
	v_cmp_eq_u32_e64 s[4:5], v0, v5
	v_and_b32_e32 v5, 28, v8
	v_and_b32_e32 v8, 7, v6
	v_cmp_lt_i32_e64 s[18:19], v11, v12
	s_movk_i32 s24, 0xe00
	v_cmp_lt_u32_e64 s[2:3], 31, v6
	v_cmp_eq_u32_e64 s[8:9], 0, v9
	v_cmp_lt_u32_e64 s[10:11], 1, v9
	v_cmp_lt_u32_e64 s[12:13], 3, v9
	;; [unrolled: 1-line block ×3, first 2 shown]
	v_cmp_eq_u32_e64 s[16:17], 0, v10
	v_cndmask_b32_e64 v6, v11, v6, s[18:19]
	v_cmp_eq_u32_e64 s[18:19], 0, v8
	v_cmp_lt_u32_e64 s[20:21], 1, v8
	v_cmp_lt_u32_e64 s[22:23], 3, v8
	v_lshlrev_b32_e32 v3, 5, v0
	v_mul_i32_i24_e32 v15, 0xffffffe4, v0
	v_mov_b32_e32 v2, 0
	s_movk_i32 s30, 0xdff
	v_cmp_gt_u32_e32 vcc, 8, v0
	v_cmp_lt_u32_e64 s[0:1], 63, v0
	v_or_b32_e32 v4, 0xfffffe00, v0
	v_lshlrev_b32_e32 v6, 2, v6
	v_add_u32_e32 v15, v3, v15
	s_waitcnt vmcnt(0)
	v_not_b32_e32 v8, v7
	v_lshlrev_b32_e32 v9, 28, v7
	v_lshlrev_b32_e32 v10, 9, v7
	;; [unrolled: 1-line block ×7, first 2 shown]
	v_lshrrev_b32_e32 v17, 3, v7
	v_lshlrev_b32_e32 v18, 12, v7
	v_lshrrev_b32_e32 v19, 7, v7
	v_lshlrev_b32_e32 v20, 8, v7
	;; [unrolled: 2-line block ×3, first 2 shown]
	v_lshrrev_b32_e32 v23, 15, v7
	v_lshrrev_b32_e32 v7, 19, v7
	v_and_or_b32 v10, v10, s24, v0
	v_and_or_b32 v12, v12, s24, v0
	;; [unrolled: 1-line block ×8, first 2 shown]
	v_alignbit_b32 v9, v10, v9, 31
	v_alignbit_b32 v10, v12, v11, 31
	;; [unrolled: 1-line block ×8, first 2 shown]
	v_lshlrev_b32_e32 v7, 1, v9
	v_lshlrev_b32_e32 v8, 1, v10
	v_lshlrev_b32_e32 v9, 1, v11
	v_lshlrev_b32_e32 v10, 1, v12
	v_lshlrev_b32_e32 v11, 1, v13
	v_lshlrev_b32_e32 v12, 1, v14
	v_lshlrev_b32_e32 v14, 1, v16
	v_lshlrev_b32_e32 v13, 1, v17
	s_branch .LBB30_2
.LBB30_1:                               ;   in Loop: Header=BB30_2 Depth=1
	s_or_b64 exec, exec, s[24:25]
	s_waitcnt lgkmcnt(0)
	v_add_u32_e32 v17, v18, v17
	ds_bpermute_b32 v17, v6, v17
	ds_read_b32 v25, v2 offset:16412
	ds_read2_b64 v[19:22], v3 offset1:1
	ds_read_b64 v[23:24], v3 offset:16
	ds_read_b32 v26, v3 offset:24
	s_add_i32 s31, s31, 1
	s_cmp_eq_u32 s31, 10
	s_waitcnt lgkmcnt(4)
	v_cndmask_b32_e64 v17, v17, v18, s[6:7]
	s_waitcnt lgkmcnt(3)
	v_lshl_add_u32 v17, v25, 16, v17
	s_waitcnt lgkmcnt(2)
	v_add_u32_e32 v18, v17, v19
	v_add_u32_e32 v19, v20, v18
	;; [unrolled: 1-line block ×3, first 2 shown]
	ds_write2_b64 v3, v[17:18], v[19:20] offset1:1
	v_add_u32_e32 v17, v22, v20
	s_waitcnt lgkmcnt(2)
	v_add_u32_e32 v18, v23, v17
	v_add_u32_e32 v19, v24, v18
	s_waitcnt lgkmcnt(1)
	v_add_u32_e32 v20, v26, v19
	ds_write2_b64 v3, v[17:18], v[19:20] offset0:2 offset1:3
	s_waitcnt lgkmcnt(0)
	s_barrier
	s_cbranch_scc1 .LBB30_66
.LBB30_2:                               ; =>This Loop Header: Depth=1
                                        ;     Child Loop BB30_3 Depth 2
                                        ;     Child Loop BB30_11 Depth 2
	;; [unrolled: 1-line block ×8, first 2 shown]
	s_mov_b64 s[34:35], 0
	v_mov_b32_e32 v16, v4
	v_mov_b32_e32 v17, v1
.LBB30_3:                               ;   Parent Loop BB30_2 Depth=1
                                        ; =>  This Inner Loop Header: Depth=2
	v_add_u32_e32 v16, 0x200, v16
	v_cmp_lt_u32_e64 s[24:25], s30, v16
	ds_write_b32 v17, v2
	s_or_b64 s[34:35], s[24:25], s[34:35]
	v_add_u32_e32 v17, 0x800, v17
	s_andn2_b64 exec, exec, s[34:35]
	s_cbranch_execnz .LBB30_3
; %bb.4:                                ;   in Loop: Header=BB30_2 Depth=1
	s_or_b64 exec, exec, s[34:35]
	ds_read_u16 v16, v7
	s_waitcnt lgkmcnt(0)
	v_add_u16_e32 v16, 1, v16
	ds_write_b16 v7, v16
	s_waitcnt lgkmcnt(0)
	s_barrier
	ds_read2_b64 v[16:19], v3 offset1:1
	ds_read2_b64 v[20:23], v3 offset0:2 offset1:3
	s_waitcnt lgkmcnt(1)
	v_add_u32_e32 v16, v17, v16
	v_add3_u32 v16, v16, v18, v19
	s_waitcnt lgkmcnt(0)
	v_add3_u32 v16, v16, v20, v21
	v_add3_u32 v16, v16, v22, v23
	s_nop 1
	v_mov_b32_dpp v17, v16 row_shr:1 row_mask:0xf bank_mask:0xf
	v_cndmask_b32_e64 v17, v17, 0, s[8:9]
	v_add_u32_e32 v16, v17, v16
	s_nop 1
	v_mov_b32_dpp v17, v16 row_shr:2 row_mask:0xf bank_mask:0xf
	v_cndmask_b32_e64 v17, 0, v17, s[10:11]
	v_add_u32_e32 v16, v16, v17
	;; [unrolled: 4-line block ×4, first 2 shown]
	s_nop 1
	v_mov_b32_dpp v17, v16 row_bcast:15 row_mask:0xf bank_mask:0xf
	v_cndmask_b32_e64 v17, v17, 0, s[16:17]
	v_add_u32_e32 v16, v16, v17
	s_nop 1
	v_mov_b32_dpp v17, v16 row_bcast:31 row_mask:0xf bank_mask:0xf
	v_cndmask_b32_e64 v17, 0, v17, s[2:3]
	v_add_u32_e32 v16, v16, v17
	s_and_saveexec_b64 s[24:25], s[4:5]
; %bb.5:                                ;   in Loop: Header=BB30_2 Depth=1
	ds_write_b32 v5, v16 offset:16384
; %bb.6:                                ;   in Loop: Header=BB30_2 Depth=1
	s_or_b64 exec, exec, s[24:25]
	s_waitcnt lgkmcnt(0)
	s_barrier
	s_and_saveexec_b64 s[24:25], vcc
	s_cbranch_execz .LBB30_8
; %bb.7:                                ;   in Loop: Header=BB30_2 Depth=1
	ds_read_b32 v17, v15 offset:16384
	s_waitcnt lgkmcnt(0)
	s_nop 0
	v_mov_b32_dpp v18, v17 row_shr:1 row_mask:0xf bank_mask:0xf
	v_cndmask_b32_e64 v18, v18, 0, s[18:19]
	v_add_u32_e32 v17, v18, v17
	s_nop 1
	v_mov_b32_dpp v18, v17 row_shr:2 row_mask:0xf bank_mask:0xf
	v_cndmask_b32_e64 v18, 0, v18, s[20:21]
	v_add_u32_e32 v17, v17, v18
	;; [unrolled: 4-line block ×3, first 2 shown]
	ds_write_b32 v15, v17 offset:16384
.LBB30_8:                               ;   in Loop: Header=BB30_2 Depth=1
	s_or_b64 exec, exec, s[24:25]
	v_mov_b32_e32 v17, 0
	s_waitcnt lgkmcnt(0)
	s_barrier
	s_and_saveexec_b64 s[24:25], s[0:1]
; %bb.9:                                ;   in Loop: Header=BB30_2 Depth=1
	ds_read_b32 v17, v5 offset:16380
; %bb.10:                               ;   in Loop: Header=BB30_2 Depth=1
	s_or_b64 exec, exec, s[24:25]
	s_waitcnt lgkmcnt(0)
	v_add_u32_e32 v16, v17, v16
	ds_bpermute_b32 v16, v6, v16
	ds_read_b32 v24, v2 offset:16412
	ds_read2_b64 v[18:21], v3 offset1:1
	ds_read_b64 v[22:23], v3 offset:16
	ds_read_b32 v25, v3 offset:24
	s_mov_b64 s[34:35], 0
	s_waitcnt lgkmcnt(4)
	v_cndmask_b32_e64 v16, v16, v17, s[6:7]
	s_waitcnt lgkmcnt(3)
	v_lshl_add_u32 v16, v24, 16, v16
	s_waitcnt lgkmcnt(2)
	v_add_u32_e32 v17, v16, v18
	v_add_u32_e32 v18, v19, v17
	;; [unrolled: 1-line block ×3, first 2 shown]
	ds_write2_b64 v3, v[16:17], v[18:19] offset1:1
	v_add_u32_e32 v16, v21, v19
	s_waitcnt lgkmcnt(2)
	v_add_u32_e32 v17, v22, v16
	v_add_u32_e32 v18, v23, v17
	s_waitcnt lgkmcnt(1)
	v_add_u32_e32 v19, v25, v18
	ds_write2_b64 v3, v[16:17], v[18:19] offset0:2 offset1:3
	v_mov_b32_e32 v16, v1
	v_mov_b32_e32 v17, v4
	s_waitcnt lgkmcnt(0)
	s_barrier
.LBB30_11:                              ;   Parent Loop BB30_2 Depth=1
                                        ; =>  This Inner Loop Header: Depth=2
	v_add_u32_e32 v17, 0x200, v17
	v_cmp_lt_u32_e64 s[24:25], s30, v17
	ds_write_b32 v16, v2
	s_or_b64 s[34:35], s[24:25], s[34:35]
	v_add_u32_e32 v16, 0x800, v16
	s_andn2_b64 exec, exec, s[34:35]
	s_cbranch_execnz .LBB30_11
; %bb.12:                               ;   in Loop: Header=BB30_2 Depth=1
	s_or_b64 exec, exec, s[34:35]
	ds_read_u16 v16, v8
	s_waitcnt lgkmcnt(0)
	v_add_u16_e32 v16, 1, v16
	ds_write_b16 v8, v16
	s_waitcnt lgkmcnt(0)
	s_barrier
	ds_read2_b64 v[16:19], v3 offset1:1
	ds_read2_b64 v[20:23], v3 offset0:2 offset1:3
	s_waitcnt lgkmcnt(1)
	v_add_u32_e32 v16, v17, v16
	v_add3_u32 v16, v16, v18, v19
	s_waitcnt lgkmcnt(0)
	v_add3_u32 v16, v16, v20, v21
	v_add3_u32 v16, v16, v22, v23
	s_nop 1
	v_mov_b32_dpp v17, v16 row_shr:1 row_mask:0xf bank_mask:0xf
	v_cndmask_b32_e64 v17, v17, 0, s[8:9]
	v_add_u32_e32 v16, v17, v16
	s_nop 1
	v_mov_b32_dpp v17, v16 row_shr:2 row_mask:0xf bank_mask:0xf
	v_cndmask_b32_e64 v17, 0, v17, s[10:11]
	v_add_u32_e32 v16, v16, v17
	;; [unrolled: 4-line block ×4, first 2 shown]
	s_nop 1
	v_mov_b32_dpp v17, v16 row_bcast:15 row_mask:0xf bank_mask:0xf
	v_cndmask_b32_e64 v17, v17, 0, s[16:17]
	v_add_u32_e32 v16, v16, v17
	s_nop 1
	v_mov_b32_dpp v17, v16 row_bcast:31 row_mask:0xf bank_mask:0xf
	v_cndmask_b32_e64 v17, 0, v17, s[2:3]
	v_add_u32_e32 v16, v16, v17
	s_and_saveexec_b64 s[24:25], s[4:5]
; %bb.13:                               ;   in Loop: Header=BB30_2 Depth=1
	ds_write_b32 v5, v16 offset:16384
; %bb.14:                               ;   in Loop: Header=BB30_2 Depth=1
	s_or_b64 exec, exec, s[24:25]
	s_waitcnt lgkmcnt(0)
	s_barrier
	s_and_saveexec_b64 s[24:25], vcc
	s_cbranch_execz .LBB30_16
; %bb.15:                               ;   in Loop: Header=BB30_2 Depth=1
	ds_read_b32 v17, v15 offset:16384
	s_waitcnt lgkmcnt(0)
	s_nop 0
	v_mov_b32_dpp v18, v17 row_shr:1 row_mask:0xf bank_mask:0xf
	v_cndmask_b32_e64 v18, v18, 0, s[18:19]
	v_add_u32_e32 v17, v18, v17
	s_nop 1
	v_mov_b32_dpp v18, v17 row_shr:2 row_mask:0xf bank_mask:0xf
	v_cndmask_b32_e64 v18, 0, v18, s[20:21]
	v_add_u32_e32 v17, v17, v18
	;; [unrolled: 4-line block ×3, first 2 shown]
	ds_write_b32 v15, v17 offset:16384
.LBB30_16:                              ;   in Loop: Header=BB30_2 Depth=1
	s_or_b64 exec, exec, s[24:25]
	v_mov_b32_e32 v17, 0
	s_waitcnt lgkmcnt(0)
	s_barrier
	s_and_saveexec_b64 s[24:25], s[0:1]
; %bb.17:                               ;   in Loop: Header=BB30_2 Depth=1
	ds_read_b32 v17, v5 offset:16380
; %bb.18:                               ;   in Loop: Header=BB30_2 Depth=1
	s_or_b64 exec, exec, s[24:25]
	s_waitcnt lgkmcnt(0)
	v_add_u32_e32 v16, v17, v16
	ds_bpermute_b32 v16, v6, v16
	ds_read_b32 v24, v2 offset:16412
	ds_read2_b64 v[18:21], v3 offset1:1
	ds_read_b64 v[22:23], v3 offset:16
	ds_read_b32 v25, v3 offset:24
	s_mov_b64 s[34:35], 0
	s_waitcnt lgkmcnt(4)
	v_cndmask_b32_e64 v16, v16, v17, s[6:7]
	s_waitcnt lgkmcnt(3)
	v_lshl_add_u32 v16, v24, 16, v16
	s_waitcnt lgkmcnt(2)
	v_add_u32_e32 v17, v16, v18
	v_add_u32_e32 v18, v19, v17
	;; [unrolled: 1-line block ×3, first 2 shown]
	ds_write2_b64 v3, v[16:17], v[18:19] offset1:1
	v_add_u32_e32 v16, v21, v19
	s_waitcnt lgkmcnt(2)
	v_add_u32_e32 v17, v22, v16
	v_add_u32_e32 v18, v23, v17
	s_waitcnt lgkmcnt(1)
	v_add_u32_e32 v19, v25, v18
	ds_write2_b64 v3, v[16:17], v[18:19] offset0:2 offset1:3
	v_mov_b32_e32 v16, v1
	v_mov_b32_e32 v17, v4
	s_waitcnt lgkmcnt(0)
	s_barrier
.LBB30_19:                              ;   Parent Loop BB30_2 Depth=1
                                        ; =>  This Inner Loop Header: Depth=2
	v_add_u32_e32 v17, 0x200, v17
	v_cmp_lt_u32_e64 s[24:25], s30, v17
	ds_write_b32 v16, v2
	s_or_b64 s[34:35], s[24:25], s[34:35]
	v_add_u32_e32 v16, 0x800, v16
	s_andn2_b64 exec, exec, s[34:35]
	s_cbranch_execnz .LBB30_19
; %bb.20:                               ;   in Loop: Header=BB30_2 Depth=1
	s_or_b64 exec, exec, s[34:35]
	ds_read_u16 v16, v9
	s_waitcnt lgkmcnt(0)
	v_add_u16_e32 v16, 1, v16
	ds_write_b16 v9, v16
	s_waitcnt lgkmcnt(0)
	s_barrier
	ds_read2_b64 v[16:19], v3 offset1:1
	ds_read2_b64 v[20:23], v3 offset0:2 offset1:3
	s_waitcnt lgkmcnt(1)
	v_add_u32_e32 v16, v17, v16
	v_add3_u32 v16, v16, v18, v19
	s_waitcnt lgkmcnt(0)
	v_add3_u32 v16, v16, v20, v21
	v_add3_u32 v16, v16, v22, v23
	s_nop 1
	v_mov_b32_dpp v17, v16 row_shr:1 row_mask:0xf bank_mask:0xf
	v_cndmask_b32_e64 v17, v17, 0, s[8:9]
	v_add_u32_e32 v16, v17, v16
	s_nop 1
	v_mov_b32_dpp v17, v16 row_shr:2 row_mask:0xf bank_mask:0xf
	v_cndmask_b32_e64 v17, 0, v17, s[10:11]
	v_add_u32_e32 v16, v16, v17
	;; [unrolled: 4-line block ×4, first 2 shown]
	s_nop 1
	v_mov_b32_dpp v17, v16 row_bcast:15 row_mask:0xf bank_mask:0xf
	v_cndmask_b32_e64 v17, v17, 0, s[16:17]
	v_add_u32_e32 v16, v16, v17
	s_nop 1
	v_mov_b32_dpp v17, v16 row_bcast:31 row_mask:0xf bank_mask:0xf
	v_cndmask_b32_e64 v17, 0, v17, s[2:3]
	v_add_u32_e32 v16, v16, v17
	s_and_saveexec_b64 s[24:25], s[4:5]
; %bb.21:                               ;   in Loop: Header=BB30_2 Depth=1
	ds_write_b32 v5, v16 offset:16384
; %bb.22:                               ;   in Loop: Header=BB30_2 Depth=1
	s_or_b64 exec, exec, s[24:25]
	s_waitcnt lgkmcnt(0)
	s_barrier
	s_and_saveexec_b64 s[24:25], vcc
	s_cbranch_execz .LBB30_24
; %bb.23:                               ;   in Loop: Header=BB30_2 Depth=1
	ds_read_b32 v17, v15 offset:16384
	s_waitcnt lgkmcnt(0)
	s_nop 0
	v_mov_b32_dpp v18, v17 row_shr:1 row_mask:0xf bank_mask:0xf
	v_cndmask_b32_e64 v18, v18, 0, s[18:19]
	v_add_u32_e32 v17, v18, v17
	s_nop 1
	v_mov_b32_dpp v18, v17 row_shr:2 row_mask:0xf bank_mask:0xf
	v_cndmask_b32_e64 v18, 0, v18, s[20:21]
	v_add_u32_e32 v17, v17, v18
	;; [unrolled: 4-line block ×3, first 2 shown]
	ds_write_b32 v15, v17 offset:16384
.LBB30_24:                              ;   in Loop: Header=BB30_2 Depth=1
	s_or_b64 exec, exec, s[24:25]
	v_mov_b32_e32 v17, 0
	s_waitcnt lgkmcnt(0)
	s_barrier
	s_and_saveexec_b64 s[24:25], s[0:1]
; %bb.25:                               ;   in Loop: Header=BB30_2 Depth=1
	ds_read_b32 v17, v5 offset:16380
; %bb.26:                               ;   in Loop: Header=BB30_2 Depth=1
	s_or_b64 exec, exec, s[24:25]
	s_waitcnt lgkmcnt(0)
	v_add_u32_e32 v16, v17, v16
	ds_bpermute_b32 v16, v6, v16
	ds_read_b32 v24, v2 offset:16412
	ds_read2_b64 v[18:21], v3 offset1:1
	ds_read_b64 v[22:23], v3 offset:16
	ds_read_b32 v25, v3 offset:24
	s_mov_b64 s[34:35], 0
	s_waitcnt lgkmcnt(4)
	v_cndmask_b32_e64 v16, v16, v17, s[6:7]
	s_waitcnt lgkmcnt(3)
	v_lshl_add_u32 v16, v24, 16, v16
	s_waitcnt lgkmcnt(2)
	v_add_u32_e32 v17, v16, v18
	v_add_u32_e32 v18, v19, v17
	;; [unrolled: 1-line block ×3, first 2 shown]
	ds_write2_b64 v3, v[16:17], v[18:19] offset1:1
	v_add_u32_e32 v16, v21, v19
	s_waitcnt lgkmcnt(2)
	v_add_u32_e32 v17, v22, v16
	v_add_u32_e32 v18, v23, v17
	s_waitcnt lgkmcnt(1)
	v_add_u32_e32 v19, v25, v18
	ds_write2_b64 v3, v[16:17], v[18:19] offset0:2 offset1:3
	v_mov_b32_e32 v16, v1
	v_mov_b32_e32 v17, v4
	s_waitcnt lgkmcnt(0)
	s_barrier
.LBB30_27:                              ;   Parent Loop BB30_2 Depth=1
                                        ; =>  This Inner Loop Header: Depth=2
	v_add_u32_e32 v17, 0x200, v17
	v_cmp_lt_u32_e64 s[24:25], s30, v17
	ds_write_b32 v16, v2
	s_or_b64 s[34:35], s[24:25], s[34:35]
	v_add_u32_e32 v16, 0x800, v16
	s_andn2_b64 exec, exec, s[34:35]
	s_cbranch_execnz .LBB30_27
; %bb.28:                               ;   in Loop: Header=BB30_2 Depth=1
	s_or_b64 exec, exec, s[34:35]
	ds_read_u16 v16, v10
	s_waitcnt lgkmcnt(0)
	v_add_u16_e32 v16, 1, v16
	ds_write_b16 v10, v16
	s_waitcnt lgkmcnt(0)
	s_barrier
	ds_read2_b64 v[16:19], v3 offset1:1
	ds_read2_b64 v[20:23], v3 offset0:2 offset1:3
	s_waitcnt lgkmcnt(1)
	v_add_u32_e32 v16, v17, v16
	v_add3_u32 v16, v16, v18, v19
	s_waitcnt lgkmcnt(0)
	v_add3_u32 v16, v16, v20, v21
	v_add3_u32 v16, v16, v22, v23
	s_nop 1
	v_mov_b32_dpp v17, v16 row_shr:1 row_mask:0xf bank_mask:0xf
	v_cndmask_b32_e64 v17, v17, 0, s[8:9]
	v_add_u32_e32 v16, v17, v16
	s_nop 1
	v_mov_b32_dpp v17, v16 row_shr:2 row_mask:0xf bank_mask:0xf
	v_cndmask_b32_e64 v17, 0, v17, s[10:11]
	v_add_u32_e32 v16, v16, v17
	;; [unrolled: 4-line block ×4, first 2 shown]
	s_nop 1
	v_mov_b32_dpp v17, v16 row_bcast:15 row_mask:0xf bank_mask:0xf
	v_cndmask_b32_e64 v17, v17, 0, s[16:17]
	v_add_u32_e32 v16, v16, v17
	s_nop 1
	v_mov_b32_dpp v17, v16 row_bcast:31 row_mask:0xf bank_mask:0xf
	v_cndmask_b32_e64 v17, 0, v17, s[2:3]
	v_add_u32_e32 v16, v16, v17
	s_and_saveexec_b64 s[24:25], s[4:5]
; %bb.29:                               ;   in Loop: Header=BB30_2 Depth=1
	ds_write_b32 v5, v16 offset:16384
; %bb.30:                               ;   in Loop: Header=BB30_2 Depth=1
	s_or_b64 exec, exec, s[24:25]
	s_waitcnt lgkmcnt(0)
	s_barrier
	s_and_saveexec_b64 s[24:25], vcc
	s_cbranch_execz .LBB30_32
; %bb.31:                               ;   in Loop: Header=BB30_2 Depth=1
	ds_read_b32 v17, v15 offset:16384
	s_waitcnt lgkmcnt(0)
	s_nop 0
	v_mov_b32_dpp v18, v17 row_shr:1 row_mask:0xf bank_mask:0xf
	v_cndmask_b32_e64 v18, v18, 0, s[18:19]
	v_add_u32_e32 v17, v18, v17
	s_nop 1
	v_mov_b32_dpp v18, v17 row_shr:2 row_mask:0xf bank_mask:0xf
	v_cndmask_b32_e64 v18, 0, v18, s[20:21]
	v_add_u32_e32 v17, v17, v18
	;; [unrolled: 4-line block ×3, first 2 shown]
	ds_write_b32 v15, v17 offset:16384
.LBB30_32:                              ;   in Loop: Header=BB30_2 Depth=1
	s_or_b64 exec, exec, s[24:25]
	v_mov_b32_e32 v17, 0
	s_waitcnt lgkmcnt(0)
	s_barrier
	s_and_saveexec_b64 s[24:25], s[0:1]
; %bb.33:                               ;   in Loop: Header=BB30_2 Depth=1
	ds_read_b32 v17, v5 offset:16380
; %bb.34:                               ;   in Loop: Header=BB30_2 Depth=1
	s_or_b64 exec, exec, s[24:25]
	s_waitcnt lgkmcnt(0)
	v_add_u32_e32 v16, v17, v16
	ds_bpermute_b32 v16, v6, v16
	ds_read_b32 v24, v2 offset:16412
	ds_read2_b64 v[18:21], v3 offset1:1
	ds_read_b64 v[22:23], v3 offset:16
	ds_read_b32 v25, v3 offset:24
	s_mov_b64 s[34:35], 0
	s_waitcnt lgkmcnt(4)
	v_cndmask_b32_e64 v16, v16, v17, s[6:7]
	s_waitcnt lgkmcnt(3)
	v_lshl_add_u32 v16, v24, 16, v16
	s_waitcnt lgkmcnt(2)
	v_add_u32_e32 v17, v16, v18
	v_add_u32_e32 v18, v19, v17
	;; [unrolled: 1-line block ×3, first 2 shown]
	ds_write2_b64 v3, v[16:17], v[18:19] offset1:1
	v_add_u32_e32 v16, v21, v19
	s_waitcnt lgkmcnt(2)
	v_add_u32_e32 v17, v22, v16
	v_add_u32_e32 v18, v23, v17
	s_waitcnt lgkmcnt(1)
	v_add_u32_e32 v19, v25, v18
	ds_write2_b64 v3, v[16:17], v[18:19] offset0:2 offset1:3
	v_mov_b32_e32 v16, v1
	v_mov_b32_e32 v17, v4
	s_waitcnt lgkmcnt(0)
	s_barrier
.LBB30_35:                              ;   Parent Loop BB30_2 Depth=1
                                        ; =>  This Inner Loop Header: Depth=2
	v_add_u32_e32 v17, 0x200, v17
	v_cmp_lt_u32_e64 s[24:25], s30, v17
	ds_write_b32 v16, v2
	s_or_b64 s[34:35], s[24:25], s[34:35]
	v_add_u32_e32 v16, 0x800, v16
	s_andn2_b64 exec, exec, s[34:35]
	s_cbranch_execnz .LBB30_35
; %bb.36:                               ;   in Loop: Header=BB30_2 Depth=1
	s_or_b64 exec, exec, s[34:35]
	ds_read_u16 v16, v11
	s_waitcnt lgkmcnt(0)
	v_add_u16_e32 v16, 1, v16
	ds_write_b16 v11, v16
	s_waitcnt lgkmcnt(0)
	s_barrier
	ds_read2_b64 v[16:19], v3 offset1:1
	ds_read2_b64 v[20:23], v3 offset0:2 offset1:3
	s_waitcnt lgkmcnt(1)
	v_add_u32_e32 v16, v17, v16
	v_add3_u32 v16, v16, v18, v19
	s_waitcnt lgkmcnt(0)
	v_add3_u32 v16, v16, v20, v21
	v_add3_u32 v16, v16, v22, v23
	s_nop 1
	v_mov_b32_dpp v17, v16 row_shr:1 row_mask:0xf bank_mask:0xf
	v_cndmask_b32_e64 v17, v17, 0, s[8:9]
	v_add_u32_e32 v16, v17, v16
	s_nop 1
	v_mov_b32_dpp v17, v16 row_shr:2 row_mask:0xf bank_mask:0xf
	v_cndmask_b32_e64 v17, 0, v17, s[10:11]
	v_add_u32_e32 v16, v16, v17
	;; [unrolled: 4-line block ×4, first 2 shown]
	s_nop 1
	v_mov_b32_dpp v17, v16 row_bcast:15 row_mask:0xf bank_mask:0xf
	v_cndmask_b32_e64 v17, v17, 0, s[16:17]
	v_add_u32_e32 v16, v16, v17
	s_nop 1
	v_mov_b32_dpp v17, v16 row_bcast:31 row_mask:0xf bank_mask:0xf
	v_cndmask_b32_e64 v17, 0, v17, s[2:3]
	v_add_u32_e32 v16, v16, v17
	s_and_saveexec_b64 s[24:25], s[4:5]
; %bb.37:                               ;   in Loop: Header=BB30_2 Depth=1
	ds_write_b32 v5, v16 offset:16384
; %bb.38:                               ;   in Loop: Header=BB30_2 Depth=1
	s_or_b64 exec, exec, s[24:25]
	s_waitcnt lgkmcnt(0)
	s_barrier
	s_and_saveexec_b64 s[24:25], vcc
	s_cbranch_execz .LBB30_40
; %bb.39:                               ;   in Loop: Header=BB30_2 Depth=1
	ds_read_b32 v17, v15 offset:16384
	s_waitcnt lgkmcnt(0)
	s_nop 0
	v_mov_b32_dpp v18, v17 row_shr:1 row_mask:0xf bank_mask:0xf
	v_cndmask_b32_e64 v18, v18, 0, s[18:19]
	v_add_u32_e32 v17, v18, v17
	s_nop 1
	v_mov_b32_dpp v18, v17 row_shr:2 row_mask:0xf bank_mask:0xf
	v_cndmask_b32_e64 v18, 0, v18, s[20:21]
	v_add_u32_e32 v17, v17, v18
	;; [unrolled: 4-line block ×3, first 2 shown]
	ds_write_b32 v15, v17 offset:16384
.LBB30_40:                              ;   in Loop: Header=BB30_2 Depth=1
	s_or_b64 exec, exec, s[24:25]
	v_mov_b32_e32 v17, 0
	s_waitcnt lgkmcnt(0)
	s_barrier
	s_and_saveexec_b64 s[24:25], s[0:1]
; %bb.41:                               ;   in Loop: Header=BB30_2 Depth=1
	ds_read_b32 v17, v5 offset:16380
; %bb.42:                               ;   in Loop: Header=BB30_2 Depth=1
	s_or_b64 exec, exec, s[24:25]
	s_waitcnt lgkmcnt(0)
	v_add_u32_e32 v16, v17, v16
	ds_bpermute_b32 v16, v6, v16
	ds_read_b32 v24, v2 offset:16412
	ds_read2_b64 v[18:21], v3 offset1:1
	ds_read_b64 v[22:23], v3 offset:16
	ds_read_b32 v25, v3 offset:24
	s_mov_b64 s[34:35], 0
	s_waitcnt lgkmcnt(4)
	v_cndmask_b32_e64 v16, v16, v17, s[6:7]
	s_waitcnt lgkmcnt(3)
	v_lshl_add_u32 v16, v24, 16, v16
	s_waitcnt lgkmcnt(2)
	v_add_u32_e32 v17, v16, v18
	v_add_u32_e32 v18, v19, v17
	v_add_u32_e32 v19, v20, v18
	ds_write2_b64 v3, v[16:17], v[18:19] offset1:1
	v_add_u32_e32 v16, v21, v19
	s_waitcnt lgkmcnt(2)
	v_add_u32_e32 v17, v22, v16
	v_add_u32_e32 v18, v23, v17
	s_waitcnt lgkmcnt(1)
	v_add_u32_e32 v19, v25, v18
	ds_write2_b64 v3, v[16:17], v[18:19] offset0:2 offset1:3
	v_mov_b32_e32 v16, v1
	v_mov_b32_e32 v17, v4
	s_waitcnt lgkmcnt(0)
	s_barrier
.LBB30_43:                              ;   Parent Loop BB30_2 Depth=1
                                        ; =>  This Inner Loop Header: Depth=2
	v_add_u32_e32 v17, 0x200, v17
	v_cmp_lt_u32_e64 s[24:25], s30, v17
	ds_write_b32 v16, v2
	s_or_b64 s[34:35], s[24:25], s[34:35]
	v_add_u32_e32 v16, 0x800, v16
	s_andn2_b64 exec, exec, s[34:35]
	s_cbranch_execnz .LBB30_43
; %bb.44:                               ;   in Loop: Header=BB30_2 Depth=1
	s_or_b64 exec, exec, s[34:35]
	ds_read_u16 v16, v12
	s_waitcnt lgkmcnt(0)
	v_add_u16_e32 v16, 1, v16
	ds_write_b16 v12, v16
	s_waitcnt lgkmcnt(0)
	s_barrier
	ds_read2_b64 v[16:19], v3 offset1:1
	ds_read2_b64 v[20:23], v3 offset0:2 offset1:3
	s_waitcnt lgkmcnt(1)
	v_add_u32_e32 v16, v17, v16
	v_add3_u32 v16, v16, v18, v19
	s_waitcnt lgkmcnt(0)
	v_add3_u32 v16, v16, v20, v21
	v_add3_u32 v16, v16, v22, v23
	s_nop 1
	v_mov_b32_dpp v17, v16 row_shr:1 row_mask:0xf bank_mask:0xf
	v_cndmask_b32_e64 v17, v17, 0, s[8:9]
	v_add_u32_e32 v16, v17, v16
	s_nop 1
	v_mov_b32_dpp v17, v16 row_shr:2 row_mask:0xf bank_mask:0xf
	v_cndmask_b32_e64 v17, 0, v17, s[10:11]
	v_add_u32_e32 v16, v16, v17
	;; [unrolled: 4-line block ×4, first 2 shown]
	s_nop 1
	v_mov_b32_dpp v17, v16 row_bcast:15 row_mask:0xf bank_mask:0xf
	v_cndmask_b32_e64 v17, v17, 0, s[16:17]
	v_add_u32_e32 v16, v16, v17
	s_nop 1
	v_mov_b32_dpp v17, v16 row_bcast:31 row_mask:0xf bank_mask:0xf
	v_cndmask_b32_e64 v17, 0, v17, s[2:3]
	v_add_u32_e32 v16, v16, v17
	s_and_saveexec_b64 s[24:25], s[4:5]
; %bb.45:                               ;   in Loop: Header=BB30_2 Depth=1
	ds_write_b32 v5, v16 offset:16384
; %bb.46:                               ;   in Loop: Header=BB30_2 Depth=1
	s_or_b64 exec, exec, s[24:25]
	s_waitcnt lgkmcnt(0)
	s_barrier
	s_and_saveexec_b64 s[24:25], vcc
	s_cbranch_execz .LBB30_48
; %bb.47:                               ;   in Loop: Header=BB30_2 Depth=1
	ds_read_b32 v17, v15 offset:16384
	s_waitcnt lgkmcnt(0)
	s_nop 0
	v_mov_b32_dpp v18, v17 row_shr:1 row_mask:0xf bank_mask:0xf
	v_cndmask_b32_e64 v18, v18, 0, s[18:19]
	v_add_u32_e32 v17, v18, v17
	s_nop 1
	v_mov_b32_dpp v18, v17 row_shr:2 row_mask:0xf bank_mask:0xf
	v_cndmask_b32_e64 v18, 0, v18, s[20:21]
	v_add_u32_e32 v17, v17, v18
	s_nop 1
	v_mov_b32_dpp v18, v17 row_shr:4 row_mask:0xf bank_mask:0xf
	v_cndmask_b32_e64 v18, 0, v18, s[22:23]
	v_add_u32_e32 v17, v17, v18
	ds_write_b32 v15, v17 offset:16384
.LBB30_48:                              ;   in Loop: Header=BB30_2 Depth=1
	s_or_b64 exec, exec, s[24:25]
	v_mov_b32_e32 v17, 0
	s_waitcnt lgkmcnt(0)
	s_barrier
	s_and_saveexec_b64 s[24:25], s[0:1]
; %bb.49:                               ;   in Loop: Header=BB30_2 Depth=1
	ds_read_b32 v17, v5 offset:16380
; %bb.50:                               ;   in Loop: Header=BB30_2 Depth=1
	s_or_b64 exec, exec, s[24:25]
	s_waitcnt lgkmcnt(0)
	v_add_u32_e32 v16, v17, v16
	ds_bpermute_b32 v16, v6, v16
	ds_read_b32 v24, v2 offset:16412
	ds_read2_b64 v[18:21], v3 offset1:1
	ds_read_b64 v[22:23], v3 offset:16
	ds_read_b32 v25, v3 offset:24
	s_mov_b64 s[34:35], 0
	s_waitcnt lgkmcnt(4)
	v_cndmask_b32_e64 v16, v16, v17, s[6:7]
	s_waitcnt lgkmcnt(3)
	v_lshl_add_u32 v16, v24, 16, v16
	s_waitcnt lgkmcnt(2)
	v_add_u32_e32 v17, v16, v18
	v_add_u32_e32 v18, v19, v17
	;; [unrolled: 1-line block ×3, first 2 shown]
	ds_write2_b64 v3, v[16:17], v[18:19] offset1:1
	v_add_u32_e32 v16, v21, v19
	s_waitcnt lgkmcnt(2)
	v_add_u32_e32 v17, v22, v16
	v_add_u32_e32 v18, v23, v17
	s_waitcnt lgkmcnt(1)
	v_add_u32_e32 v19, v25, v18
	ds_write2_b64 v3, v[16:17], v[18:19] offset0:2 offset1:3
	v_mov_b32_e32 v16, v1
	v_mov_b32_e32 v17, v4
	s_waitcnt lgkmcnt(0)
	s_barrier
.LBB30_51:                              ;   Parent Loop BB30_2 Depth=1
                                        ; =>  This Inner Loop Header: Depth=2
	v_add_u32_e32 v17, 0x200, v17
	v_cmp_lt_u32_e64 s[24:25], s30, v17
	ds_write_b32 v16, v2
	s_or_b64 s[34:35], s[24:25], s[34:35]
	v_add_u32_e32 v16, 0x800, v16
	s_andn2_b64 exec, exec, s[34:35]
	s_cbranch_execnz .LBB30_51
; %bb.52:                               ;   in Loop: Header=BB30_2 Depth=1
	s_or_b64 exec, exec, s[34:35]
	ds_read_u16 v16, v14
	s_waitcnt lgkmcnt(0)
	v_add_u16_e32 v16, 1, v16
	ds_write_b16 v14, v16
	s_waitcnt lgkmcnt(0)
	s_barrier
	ds_read2_b64 v[16:19], v3 offset1:1
	ds_read2_b64 v[20:23], v3 offset0:2 offset1:3
	s_waitcnt lgkmcnt(1)
	v_add_u32_e32 v16, v17, v16
	v_add3_u32 v16, v16, v18, v19
	s_waitcnt lgkmcnt(0)
	v_add3_u32 v16, v16, v20, v21
	v_add3_u32 v16, v16, v22, v23
	s_nop 1
	v_mov_b32_dpp v17, v16 row_shr:1 row_mask:0xf bank_mask:0xf
	v_cndmask_b32_e64 v17, v17, 0, s[8:9]
	v_add_u32_e32 v16, v17, v16
	s_nop 1
	v_mov_b32_dpp v17, v16 row_shr:2 row_mask:0xf bank_mask:0xf
	v_cndmask_b32_e64 v17, 0, v17, s[10:11]
	v_add_u32_e32 v16, v16, v17
	;; [unrolled: 4-line block ×4, first 2 shown]
	s_nop 1
	v_mov_b32_dpp v17, v16 row_bcast:15 row_mask:0xf bank_mask:0xf
	v_cndmask_b32_e64 v17, v17, 0, s[16:17]
	v_add_u32_e32 v16, v16, v17
	s_nop 1
	v_mov_b32_dpp v17, v16 row_bcast:31 row_mask:0xf bank_mask:0xf
	v_cndmask_b32_e64 v17, 0, v17, s[2:3]
	v_add_u32_e32 v16, v16, v17
	s_and_saveexec_b64 s[24:25], s[4:5]
; %bb.53:                               ;   in Loop: Header=BB30_2 Depth=1
	ds_write_b32 v5, v16 offset:16384
; %bb.54:                               ;   in Loop: Header=BB30_2 Depth=1
	s_or_b64 exec, exec, s[24:25]
	s_waitcnt lgkmcnt(0)
	s_barrier
	s_and_saveexec_b64 s[24:25], vcc
	s_cbranch_execz .LBB30_56
; %bb.55:                               ;   in Loop: Header=BB30_2 Depth=1
	ds_read_b32 v17, v15 offset:16384
	s_waitcnt lgkmcnt(0)
	s_nop 0
	v_mov_b32_dpp v18, v17 row_shr:1 row_mask:0xf bank_mask:0xf
	v_cndmask_b32_e64 v18, v18, 0, s[18:19]
	v_add_u32_e32 v17, v18, v17
	s_nop 1
	v_mov_b32_dpp v18, v17 row_shr:2 row_mask:0xf bank_mask:0xf
	v_cndmask_b32_e64 v18, 0, v18, s[20:21]
	v_add_u32_e32 v17, v17, v18
	;; [unrolled: 4-line block ×3, first 2 shown]
	ds_write_b32 v15, v17 offset:16384
.LBB30_56:                              ;   in Loop: Header=BB30_2 Depth=1
	s_or_b64 exec, exec, s[24:25]
	v_mov_b32_e32 v17, 0
	s_waitcnt lgkmcnt(0)
	s_barrier
	s_and_saveexec_b64 s[24:25], s[0:1]
; %bb.57:                               ;   in Loop: Header=BB30_2 Depth=1
	ds_read_b32 v17, v5 offset:16380
; %bb.58:                               ;   in Loop: Header=BB30_2 Depth=1
	s_or_b64 exec, exec, s[24:25]
	s_waitcnt lgkmcnt(0)
	v_add_u32_e32 v16, v17, v16
	ds_bpermute_b32 v16, v6, v16
	ds_read_b32 v24, v2 offset:16412
	ds_read2_b64 v[18:21], v3 offset1:1
	ds_read_b64 v[22:23], v3 offset:16
	ds_read_b32 v25, v3 offset:24
	s_mov_b64 s[34:35], 0
	s_waitcnt lgkmcnt(4)
	v_cndmask_b32_e64 v16, v16, v17, s[6:7]
	s_waitcnt lgkmcnt(3)
	v_lshl_add_u32 v16, v24, 16, v16
	s_waitcnt lgkmcnt(2)
	v_add_u32_e32 v17, v16, v18
	v_add_u32_e32 v18, v19, v17
	;; [unrolled: 1-line block ×3, first 2 shown]
	ds_write2_b64 v3, v[16:17], v[18:19] offset1:1
	v_add_u32_e32 v16, v21, v19
	s_waitcnt lgkmcnt(2)
	v_add_u32_e32 v17, v22, v16
	v_add_u32_e32 v18, v23, v17
	s_waitcnt lgkmcnt(1)
	v_add_u32_e32 v19, v25, v18
	ds_write2_b64 v3, v[16:17], v[18:19] offset0:2 offset1:3
	v_mov_b32_e32 v16, v1
	v_mov_b32_e32 v17, v4
	s_waitcnt lgkmcnt(0)
	s_barrier
.LBB30_59:                              ;   Parent Loop BB30_2 Depth=1
                                        ; =>  This Inner Loop Header: Depth=2
	v_add_u32_e32 v17, 0x200, v17
	v_cmp_lt_u32_e64 s[24:25], s30, v17
	ds_write_b32 v16, v2
	s_or_b64 s[34:35], s[24:25], s[34:35]
	v_add_u32_e32 v16, 0x800, v16
	s_andn2_b64 exec, exec, s[34:35]
	s_cbranch_execnz .LBB30_59
; %bb.60:                               ;   in Loop: Header=BB30_2 Depth=1
	s_or_b64 exec, exec, s[34:35]
	ds_read_u16 v16, v13
	s_waitcnt lgkmcnt(0)
	v_add_u16_e32 v17, 1, v16
	ds_write_b16 v13, v17
	s_waitcnt lgkmcnt(0)
	s_barrier
	ds_read2_b64 v[17:20], v3 offset1:1
	ds_read2_b64 v[21:24], v3 offset0:2 offset1:3
	s_waitcnt lgkmcnt(1)
	v_add_u32_e32 v17, v18, v17
	v_add3_u32 v17, v17, v19, v20
	s_waitcnt lgkmcnt(0)
	v_add3_u32 v17, v17, v21, v22
	v_add3_u32 v17, v17, v23, v24
	s_nop 1
	v_mov_b32_dpp v18, v17 row_shr:1 row_mask:0xf bank_mask:0xf
	v_cndmask_b32_e64 v18, v18, 0, s[8:9]
	v_add_u32_e32 v17, v18, v17
	s_nop 1
	v_mov_b32_dpp v18, v17 row_shr:2 row_mask:0xf bank_mask:0xf
	v_cndmask_b32_e64 v18, 0, v18, s[10:11]
	v_add_u32_e32 v17, v17, v18
	;; [unrolled: 4-line block ×4, first 2 shown]
	s_nop 1
	v_mov_b32_dpp v18, v17 row_bcast:15 row_mask:0xf bank_mask:0xf
	v_cndmask_b32_e64 v18, v18, 0, s[16:17]
	v_add_u32_e32 v17, v17, v18
	s_nop 1
	v_mov_b32_dpp v18, v17 row_bcast:31 row_mask:0xf bank_mask:0xf
	v_cndmask_b32_e64 v18, 0, v18, s[2:3]
	v_add_u32_e32 v17, v17, v18
	s_and_saveexec_b64 s[24:25], s[4:5]
; %bb.61:                               ;   in Loop: Header=BB30_2 Depth=1
	ds_write_b32 v5, v17 offset:16384
; %bb.62:                               ;   in Loop: Header=BB30_2 Depth=1
	s_or_b64 exec, exec, s[24:25]
	s_waitcnt lgkmcnt(0)
	s_barrier
	s_and_saveexec_b64 s[24:25], vcc
	s_cbranch_execz .LBB30_64
; %bb.63:                               ;   in Loop: Header=BB30_2 Depth=1
	ds_read_b32 v18, v15 offset:16384
	s_waitcnt lgkmcnt(0)
	s_nop 0
	v_mov_b32_dpp v19, v18 row_shr:1 row_mask:0xf bank_mask:0xf
	v_cndmask_b32_e64 v19, v19, 0, s[18:19]
	v_add_u32_e32 v18, v19, v18
	s_nop 1
	v_mov_b32_dpp v19, v18 row_shr:2 row_mask:0xf bank_mask:0xf
	v_cndmask_b32_e64 v19, 0, v19, s[20:21]
	v_add_u32_e32 v18, v18, v19
	;; [unrolled: 4-line block ×3, first 2 shown]
	ds_write_b32 v15, v18 offset:16384
.LBB30_64:                              ;   in Loop: Header=BB30_2 Depth=1
	s_or_b64 exec, exec, s[24:25]
	v_mov_b32_e32 v18, 0
	s_waitcnt lgkmcnt(0)
	s_barrier
	s_and_saveexec_b64 s[24:25], s[0:1]
	s_cbranch_execz .LBB30_1
; %bb.65:                               ;   in Loop: Header=BB30_2 Depth=1
	ds_read_b32 v18, v5 offset:16380
	s_branch .LBB30_1
.LBB30_66:
	ds_read_u16 v1, v13
	s_add_u32 s0, s26, s28
	s_addc_u32 s1, s27, s29
	v_lshlrev_b32_e32 v0, 2, v0
	s_waitcnt lgkmcnt(0)
	v_add_u32_sdwa v1, v1, v16 dst_sel:DWORD dst_unused:UNUSED_PAD src0_sel:DWORD src1_sel:WORD_0
	global_store_dword v0, v1, s[0:1]
	s_endpgm
	.section	.rodata,"a",@progbits
	.p2align	6, 0x0
	.amdhsa_kernel _Z11rank_kernelIiLj4ELb0EL18RadixRankAlgorithm0ELj512ELj1ELj10EEvPKT_Pi
		.amdhsa_group_segment_fixed_size 16416
		.amdhsa_private_segment_fixed_size 0
		.amdhsa_kernarg_size 16
		.amdhsa_user_sgpr_count 6
		.amdhsa_user_sgpr_private_segment_buffer 1
		.amdhsa_user_sgpr_dispatch_ptr 0
		.amdhsa_user_sgpr_queue_ptr 0
		.amdhsa_user_sgpr_kernarg_segment_ptr 1
		.amdhsa_user_sgpr_dispatch_id 0
		.amdhsa_user_sgpr_flat_scratch_init 0
		.amdhsa_user_sgpr_private_segment_size 0
		.amdhsa_uses_dynamic_stack 0
		.amdhsa_system_sgpr_private_segment_wavefront_offset 0
		.amdhsa_system_sgpr_workgroup_id_x 1
		.amdhsa_system_sgpr_workgroup_id_y 0
		.amdhsa_system_sgpr_workgroup_id_z 0
		.amdhsa_system_sgpr_workgroup_info 0
		.amdhsa_system_vgpr_workitem_id 0
		.amdhsa_next_free_vgpr 37
		.amdhsa_next_free_sgpr 93
		.amdhsa_reserve_vcc 1
		.amdhsa_reserve_flat_scratch 0
		.amdhsa_float_round_mode_32 0
		.amdhsa_float_round_mode_16_64 0
		.amdhsa_float_denorm_mode_32 3
		.amdhsa_float_denorm_mode_16_64 3
		.amdhsa_dx10_clamp 1
		.amdhsa_ieee_mode 1
		.amdhsa_fp16_overflow 0
		.amdhsa_exception_fp_ieee_invalid_op 0
		.amdhsa_exception_fp_denorm_src 0
		.amdhsa_exception_fp_ieee_div_zero 0
		.amdhsa_exception_fp_ieee_overflow 0
		.amdhsa_exception_fp_ieee_underflow 0
		.amdhsa_exception_fp_ieee_inexact 0
		.amdhsa_exception_int_div_zero 0
	.end_amdhsa_kernel
	.section	.text._Z11rank_kernelIiLj4ELb0EL18RadixRankAlgorithm0ELj512ELj1ELj10EEvPKT_Pi,"axG",@progbits,_Z11rank_kernelIiLj4ELb0EL18RadixRankAlgorithm0ELj512ELj1ELj10EEvPKT_Pi,comdat
.Lfunc_end30:
	.size	_Z11rank_kernelIiLj4ELb0EL18RadixRankAlgorithm0ELj512ELj1ELj10EEvPKT_Pi, .Lfunc_end30-_Z11rank_kernelIiLj4ELb0EL18RadixRankAlgorithm0ELj512ELj1ELj10EEvPKT_Pi
                                        ; -- End function
	.set _Z11rank_kernelIiLj4ELb0EL18RadixRankAlgorithm0ELj512ELj1ELj10EEvPKT_Pi.num_vgpr, 27
	.set _Z11rank_kernelIiLj4ELb0EL18RadixRankAlgorithm0ELj512ELj1ELj10EEvPKT_Pi.num_agpr, 0
	.set _Z11rank_kernelIiLj4ELb0EL18RadixRankAlgorithm0ELj512ELj1ELj10EEvPKT_Pi.numbered_sgpr, 36
	.set _Z11rank_kernelIiLj4ELb0EL18RadixRankAlgorithm0ELj512ELj1ELj10EEvPKT_Pi.num_named_barrier, 0
	.set _Z11rank_kernelIiLj4ELb0EL18RadixRankAlgorithm0ELj512ELj1ELj10EEvPKT_Pi.private_seg_size, 0
	.set _Z11rank_kernelIiLj4ELb0EL18RadixRankAlgorithm0ELj512ELj1ELj10EEvPKT_Pi.uses_vcc, 1
	.set _Z11rank_kernelIiLj4ELb0EL18RadixRankAlgorithm0ELj512ELj1ELj10EEvPKT_Pi.uses_flat_scratch, 0
	.set _Z11rank_kernelIiLj4ELb0EL18RadixRankAlgorithm0ELj512ELj1ELj10EEvPKT_Pi.has_dyn_sized_stack, 0
	.set _Z11rank_kernelIiLj4ELb0EL18RadixRankAlgorithm0ELj512ELj1ELj10EEvPKT_Pi.has_recursion, 0
	.set _Z11rank_kernelIiLj4ELb0EL18RadixRankAlgorithm0ELj512ELj1ELj10EEvPKT_Pi.has_indirect_call, 0
	.section	.AMDGPU.csdata,"",@progbits
; Kernel info:
; codeLenInByte = 5180
; TotalNumSgprs: 40
; NumVgprs: 27
; ScratchSize: 0
; MemoryBound: 0
; FloatMode: 240
; IeeeMode: 1
; LDSByteSize: 16416 bytes/workgroup (compile time only)
; SGPRBlocks: 12
; VGPRBlocks: 9
; NumSGPRsForWavesPerEU: 97
; NumVGPRsForWavesPerEU: 37
; Occupancy: 6
; WaveLimiterHint : 0
; COMPUTE_PGM_RSRC2:SCRATCH_EN: 0
; COMPUTE_PGM_RSRC2:USER_SGPR: 6
; COMPUTE_PGM_RSRC2:TRAP_HANDLER: 0
; COMPUTE_PGM_RSRC2:TGID_X_EN: 1
; COMPUTE_PGM_RSRC2:TGID_Y_EN: 0
; COMPUTE_PGM_RSRC2:TGID_Z_EN: 0
; COMPUTE_PGM_RSRC2:TIDIG_COMP_CNT: 0
	.section	.text._Z11rank_kernelIiLj4ELb0EL18RadixRankAlgorithm1ELj512ELj1ELj10EEvPKT_Pi,"axG",@progbits,_Z11rank_kernelIiLj4ELb0EL18RadixRankAlgorithm1ELj512ELj1ELj10EEvPKT_Pi,comdat
	.protected	_Z11rank_kernelIiLj4ELb0EL18RadixRankAlgorithm1ELj512ELj1ELj10EEvPKT_Pi ; -- Begin function _Z11rank_kernelIiLj4ELb0EL18RadixRankAlgorithm1ELj512ELj1ELj10EEvPKT_Pi
	.globl	_Z11rank_kernelIiLj4ELb0EL18RadixRankAlgorithm1ELj512ELj1ELj10EEvPKT_Pi
	.p2align	8
	.type	_Z11rank_kernelIiLj4ELb0EL18RadixRankAlgorithm1ELj512ELj1ELj10EEvPKT_Pi,@function
_Z11rank_kernelIiLj4ELb0EL18RadixRankAlgorithm1ELj512ELj1ELj10EEvPKT_Pi: ; @_Z11rank_kernelIiLj4ELb0EL18RadixRankAlgorithm1ELj512ELj1ELj10EEvPKT_Pi
; %bb.0:
	s_load_dwordx4 s[24:27], s[4:5], 0x0
	s_lshl_b32 s30, s6, 9
	s_mov_b32 s31, 0
	s_lshl_b64 s[28:29], s[30:31], 2
	v_lshlrev_b32_e32 v9, 2, v0
	s_waitcnt lgkmcnt(0)
	s_add_u32 s0, s24, s28
	s_addc_u32 s1, s25, s29
	global_load_dword v1, v9, s[0:1]
	v_mbcnt_lo_u32_b32 v2, -1, 0
	v_mbcnt_hi_u32_b32 v2, -1, v2
	v_or_b32_e32 v3, 63, v0
	v_cmp_eq_u32_e64 s[4:5], v0, v3
	v_subrev_co_u32_e64 v3, s[6:7], 1, v2
	v_and_b32_e32 v8, 64, v2
	v_lshrrev_b32_e32 v4, 4, v0
	v_cmp_lt_i32_e64 s[18:19], v3, v8
	v_and_b32_e32 v6, 15, v2
	v_and_b32_e32 v7, 16, v2
	v_cmp_lt_u32_e64 s[2:3], 31, v2
	v_and_b32_e32 v13, 28, v4
	v_and_b32_e32 v4, 7, v2
	v_cndmask_b32_e64 v2, v3, v2, s[18:19]
	s_movk_i32 s24, 0xe00
	v_cmp_eq_u32_e64 s[8:9], 0, v6
	v_cmp_lt_u32_e64 s[10:11], 1, v6
	v_cmp_lt_u32_e64 s[12:13], 3, v6
	v_cmp_lt_u32_e64 s[14:15], 7, v6
	v_cmp_eq_u32_e64 s[16:17], 0, v7
	v_cmp_eq_u32_e64 s[18:19], 0, v4
	v_cmp_lt_u32_e64 s[20:21], 1, v4
	v_cmp_lt_u32_e64 s[22:23], 3, v4
	v_lshlrev_b32_e32 v14, 2, v2
	v_lshlrev_b32_e32 v11, 5, v0
	v_mul_i32_i24_e32 v5, 0xffffffe4, v0
	v_mov_b32_e32 v10, 0
	s_movk_i32 s30, 0xdff
	v_cmp_gt_u32_e32 vcc, 8, v0
	v_cmp_lt_u32_e64 s[0:1], 63, v0
	v_or_b32_e32 v12, 0xfffffe00, v0
	s_waitcnt vmcnt(0)
	v_not_b32_e32 v2, v1
	v_lshlrev_b32_e32 v3, 28, v1
	v_lshlrev_b32_e32 v4, 9, v1
	;; [unrolled: 1-line block ×7, first 2 shown]
	v_lshrrev_b32_e32 v17, 3, v1
	v_lshlrev_b32_e32 v18, 12, v1
	v_lshrrev_b32_e32 v19, 7, v1
	v_lshlrev_b32_e32 v20, 8, v1
	;; [unrolled: 2-line block ×3, first 2 shown]
	v_lshrrev_b32_e32 v23, 15, v1
	v_lshrrev_b32_e32 v1, 19, v1
	v_and_or_b32 v4, v4, s24, v0
	v_and_or_b32 v7, v7, s24, v0
	;; [unrolled: 1-line block ×8, first 2 shown]
	v_alignbit_b32 v3, v4, v3, 31
	v_alignbit_b32 v4, v7, v6, 31
	;; [unrolled: 1-line block ×8, first 2 shown]
	v_lshlrev_b32_e32 v15, 1, v3
	v_lshlrev_b32_e32 v16, 1, v4
	;; [unrolled: 1-line block ×8, first 2 shown]
	v_add_u32_e32 v23, v11, v5
	s_branch .LBB31_2
.LBB31_1:                               ;   in Loop: Header=BB31_2 Depth=1
	s_or_b64 exec, exec, s[24:25]
	s_waitcnt lgkmcnt(0)
	v_add_u32_e32 v4, v25, v4
	ds_bpermute_b32 v4, v14, v4
	ds_read_b32 v26, v10 offset:16412
	s_add_i32 s31, s31, 1
	s_cmp_eq_u32 s31, 10
	s_waitcnt lgkmcnt(1)
	v_cndmask_b32_e64 v4, v4, v25, s[6:7]
	s_waitcnt lgkmcnt(0)
	v_lshl_add_u32 v4, v26, 16, v4
	v_add_u32_e32 v5, v4, v5
	v_add_u32_e32 v6, v5, v6
	;; [unrolled: 1-line block ×7, first 2 shown]
	ds_write2_b64 v11, v[4:5], v[6:7] offset1:1
	ds_write2_b64 v11, v[25:26], v[1:2] offset0:2 offset1:3
	s_waitcnt lgkmcnt(0)
	s_barrier
	s_cbranch_scc1 .LBB31_66
.LBB31_2:                               ; =>This Loop Header: Depth=1
                                        ;     Child Loop BB31_3 Depth 2
                                        ;     Child Loop BB31_11 Depth 2
                                        ;     Child Loop BB31_19 Depth 2
                                        ;     Child Loop BB31_27 Depth 2
                                        ;     Child Loop BB31_35 Depth 2
                                        ;     Child Loop BB31_43 Depth 2
                                        ;     Child Loop BB31_51 Depth 2
                                        ;     Child Loop BB31_59 Depth 2
	s_mov_b64 s[34:35], 0
	v_mov_b32_e32 v1, v12
	v_mov_b32_e32 v2, v9
.LBB31_3:                               ;   Parent Loop BB31_2 Depth=1
                                        ; =>  This Inner Loop Header: Depth=2
	v_add_u32_e32 v1, 0x200, v1
	v_cmp_lt_u32_e64 s[24:25], s30, v1
	ds_write_b32 v2, v10
	s_or_b64 s[34:35], s[24:25], s[34:35]
	v_add_u32_e32 v2, 0x800, v2
	s_andn2_b64 exec, exec, s[34:35]
	s_cbranch_execnz .LBB31_3
; %bb.4:                                ;   in Loop: Header=BB31_2 Depth=1
	s_or_b64 exec, exec, s[34:35]
	ds_read_u16 v1, v15
	s_waitcnt lgkmcnt(0)
	v_add_u16_e32 v1, 1, v1
	ds_write_b16 v15, v1
	s_waitcnt lgkmcnt(0)
	s_barrier
	ds_read2_b64 v[5:8], v11 offset1:1
	ds_read2_b64 v[1:4], v11 offset0:2 offset1:3
	s_waitcnt lgkmcnt(1)
	v_add_u32_e32 v24, v6, v5
	v_add3_u32 v24, v24, v7, v8
	s_waitcnt lgkmcnt(0)
	v_add3_u32 v24, v24, v1, v2
	v_add3_u32 v4, v24, v3, v4
	s_nop 1
	v_mov_b32_dpp v24, v4 row_shr:1 row_mask:0xf bank_mask:0xf
	v_cndmask_b32_e64 v24, v24, 0, s[8:9]
	v_add_u32_e32 v4, v24, v4
	s_nop 1
	v_mov_b32_dpp v24, v4 row_shr:2 row_mask:0xf bank_mask:0xf
	v_cndmask_b32_e64 v24, 0, v24, s[10:11]
	v_add_u32_e32 v4, v4, v24
	;; [unrolled: 4-line block ×4, first 2 shown]
	s_nop 1
	v_mov_b32_dpp v24, v4 row_bcast:15 row_mask:0xf bank_mask:0xf
	v_cndmask_b32_e64 v24, v24, 0, s[16:17]
	v_add_u32_e32 v4, v4, v24
	s_nop 1
	v_mov_b32_dpp v24, v4 row_bcast:31 row_mask:0xf bank_mask:0xf
	v_cndmask_b32_e64 v24, 0, v24, s[2:3]
	v_add_u32_e32 v4, v4, v24
	s_and_saveexec_b64 s[24:25], s[4:5]
; %bb.5:                                ;   in Loop: Header=BB31_2 Depth=1
	ds_write_b32 v13, v4 offset:16384
; %bb.6:                                ;   in Loop: Header=BB31_2 Depth=1
	s_or_b64 exec, exec, s[24:25]
	s_waitcnt lgkmcnt(0)
	s_barrier
	s_and_saveexec_b64 s[24:25], vcc
	s_cbranch_execz .LBB31_8
; %bb.7:                                ;   in Loop: Header=BB31_2 Depth=1
	ds_read_b32 v24, v23 offset:16384
	s_waitcnt lgkmcnt(0)
	s_nop 0
	v_mov_b32_dpp v25, v24 row_shr:1 row_mask:0xf bank_mask:0xf
	v_cndmask_b32_e64 v25, v25, 0, s[18:19]
	v_add_u32_e32 v24, v25, v24
	s_nop 1
	v_mov_b32_dpp v25, v24 row_shr:2 row_mask:0xf bank_mask:0xf
	v_cndmask_b32_e64 v25, 0, v25, s[20:21]
	v_add_u32_e32 v24, v24, v25
	;; [unrolled: 4-line block ×3, first 2 shown]
	ds_write_b32 v23, v24 offset:16384
.LBB31_8:                               ;   in Loop: Header=BB31_2 Depth=1
	s_or_b64 exec, exec, s[24:25]
	v_mov_b32_e32 v24, 0
	s_waitcnt lgkmcnt(0)
	s_barrier
	s_and_saveexec_b64 s[24:25], s[0:1]
; %bb.9:                                ;   in Loop: Header=BB31_2 Depth=1
	ds_read_b32 v24, v13 offset:16380
; %bb.10:                               ;   in Loop: Header=BB31_2 Depth=1
	s_or_b64 exec, exec, s[24:25]
	s_waitcnt lgkmcnt(0)
	v_add_u32_e32 v4, v24, v4
	ds_bpermute_b32 v4, v14, v4
	ds_read_b32 v25, v10 offset:16412
	s_mov_b64 s[34:35], 0
	s_waitcnt lgkmcnt(1)
	v_cndmask_b32_e64 v4, v4, v24, s[6:7]
	s_waitcnt lgkmcnt(0)
	v_lshl_add_u32 v4, v25, 16, v4
	v_add_u32_e32 v5, v4, v5
	v_add_u32_e32 v6, v5, v6
	;; [unrolled: 1-line block ×7, first 2 shown]
	ds_write2_b64 v11, v[24:25], v[1:2] offset0:2 offset1:3
	v_mov_b32_e32 v1, v9
	v_mov_b32_e32 v2, v12
	ds_write2_b64 v11, v[4:5], v[6:7] offset1:1
	s_waitcnt lgkmcnt(0)
	s_barrier
.LBB31_11:                              ;   Parent Loop BB31_2 Depth=1
                                        ; =>  This Inner Loop Header: Depth=2
	v_add_u32_e32 v2, 0x200, v2
	v_cmp_lt_u32_e64 s[24:25], s30, v2
	ds_write_b32 v1, v10
	s_or_b64 s[34:35], s[24:25], s[34:35]
	v_add_u32_e32 v1, 0x800, v1
	s_andn2_b64 exec, exec, s[34:35]
	s_cbranch_execnz .LBB31_11
; %bb.12:                               ;   in Loop: Header=BB31_2 Depth=1
	s_or_b64 exec, exec, s[34:35]
	ds_read_u16 v1, v16
	s_waitcnt lgkmcnt(0)
	v_add_u16_e32 v1, 1, v1
	ds_write_b16 v16, v1
	s_waitcnt lgkmcnt(0)
	s_barrier
	ds_read2_b64 v[5:8], v11 offset1:1
	ds_read2_b64 v[1:4], v11 offset0:2 offset1:3
	s_waitcnt lgkmcnt(1)
	v_add_u32_e32 v24, v6, v5
	v_add3_u32 v24, v24, v7, v8
	s_waitcnt lgkmcnt(0)
	v_add3_u32 v24, v24, v1, v2
	v_add3_u32 v4, v24, v3, v4
	s_nop 1
	v_mov_b32_dpp v24, v4 row_shr:1 row_mask:0xf bank_mask:0xf
	v_cndmask_b32_e64 v24, v24, 0, s[8:9]
	v_add_u32_e32 v4, v24, v4
	s_nop 1
	v_mov_b32_dpp v24, v4 row_shr:2 row_mask:0xf bank_mask:0xf
	v_cndmask_b32_e64 v24, 0, v24, s[10:11]
	v_add_u32_e32 v4, v4, v24
	;; [unrolled: 4-line block ×4, first 2 shown]
	s_nop 1
	v_mov_b32_dpp v24, v4 row_bcast:15 row_mask:0xf bank_mask:0xf
	v_cndmask_b32_e64 v24, v24, 0, s[16:17]
	v_add_u32_e32 v4, v4, v24
	s_nop 1
	v_mov_b32_dpp v24, v4 row_bcast:31 row_mask:0xf bank_mask:0xf
	v_cndmask_b32_e64 v24, 0, v24, s[2:3]
	v_add_u32_e32 v4, v4, v24
	s_and_saveexec_b64 s[24:25], s[4:5]
; %bb.13:                               ;   in Loop: Header=BB31_2 Depth=1
	ds_write_b32 v13, v4 offset:16384
; %bb.14:                               ;   in Loop: Header=BB31_2 Depth=1
	s_or_b64 exec, exec, s[24:25]
	s_waitcnt lgkmcnt(0)
	s_barrier
	s_and_saveexec_b64 s[24:25], vcc
	s_cbranch_execz .LBB31_16
; %bb.15:                               ;   in Loop: Header=BB31_2 Depth=1
	ds_read_b32 v24, v23 offset:16384
	s_waitcnt lgkmcnt(0)
	s_nop 0
	v_mov_b32_dpp v25, v24 row_shr:1 row_mask:0xf bank_mask:0xf
	v_cndmask_b32_e64 v25, v25, 0, s[18:19]
	v_add_u32_e32 v24, v25, v24
	s_nop 1
	v_mov_b32_dpp v25, v24 row_shr:2 row_mask:0xf bank_mask:0xf
	v_cndmask_b32_e64 v25, 0, v25, s[20:21]
	v_add_u32_e32 v24, v24, v25
	;; [unrolled: 4-line block ×3, first 2 shown]
	ds_write_b32 v23, v24 offset:16384
.LBB31_16:                              ;   in Loop: Header=BB31_2 Depth=1
	s_or_b64 exec, exec, s[24:25]
	v_mov_b32_e32 v24, 0
	s_waitcnt lgkmcnt(0)
	s_barrier
	s_and_saveexec_b64 s[24:25], s[0:1]
; %bb.17:                               ;   in Loop: Header=BB31_2 Depth=1
	ds_read_b32 v24, v13 offset:16380
; %bb.18:                               ;   in Loop: Header=BB31_2 Depth=1
	s_or_b64 exec, exec, s[24:25]
	s_waitcnt lgkmcnt(0)
	v_add_u32_e32 v4, v24, v4
	ds_bpermute_b32 v4, v14, v4
	ds_read_b32 v25, v10 offset:16412
	s_mov_b64 s[34:35], 0
	s_waitcnt lgkmcnt(1)
	v_cndmask_b32_e64 v4, v4, v24, s[6:7]
	s_waitcnt lgkmcnt(0)
	v_lshl_add_u32 v4, v25, 16, v4
	v_add_u32_e32 v5, v4, v5
	v_add_u32_e32 v6, v5, v6
	;; [unrolled: 1-line block ×7, first 2 shown]
	ds_write2_b64 v11, v[24:25], v[1:2] offset0:2 offset1:3
	v_mov_b32_e32 v1, v9
	v_mov_b32_e32 v2, v12
	ds_write2_b64 v11, v[4:5], v[6:7] offset1:1
	s_waitcnt lgkmcnt(0)
	s_barrier
.LBB31_19:                              ;   Parent Loop BB31_2 Depth=1
                                        ; =>  This Inner Loop Header: Depth=2
	v_add_u32_e32 v2, 0x200, v2
	v_cmp_lt_u32_e64 s[24:25], s30, v2
	ds_write_b32 v1, v10
	s_or_b64 s[34:35], s[24:25], s[34:35]
	v_add_u32_e32 v1, 0x800, v1
	s_andn2_b64 exec, exec, s[34:35]
	s_cbranch_execnz .LBB31_19
; %bb.20:                               ;   in Loop: Header=BB31_2 Depth=1
	s_or_b64 exec, exec, s[34:35]
	ds_read_u16 v1, v17
	s_waitcnt lgkmcnt(0)
	v_add_u16_e32 v1, 1, v1
	ds_write_b16 v17, v1
	s_waitcnt lgkmcnt(0)
	s_barrier
	ds_read2_b64 v[5:8], v11 offset1:1
	ds_read2_b64 v[1:4], v11 offset0:2 offset1:3
	s_waitcnt lgkmcnt(1)
	v_add_u32_e32 v24, v6, v5
	v_add3_u32 v24, v24, v7, v8
	s_waitcnt lgkmcnt(0)
	v_add3_u32 v24, v24, v1, v2
	v_add3_u32 v4, v24, v3, v4
	s_nop 1
	v_mov_b32_dpp v24, v4 row_shr:1 row_mask:0xf bank_mask:0xf
	v_cndmask_b32_e64 v24, v24, 0, s[8:9]
	v_add_u32_e32 v4, v24, v4
	s_nop 1
	v_mov_b32_dpp v24, v4 row_shr:2 row_mask:0xf bank_mask:0xf
	v_cndmask_b32_e64 v24, 0, v24, s[10:11]
	v_add_u32_e32 v4, v4, v24
	;; [unrolled: 4-line block ×4, first 2 shown]
	s_nop 1
	v_mov_b32_dpp v24, v4 row_bcast:15 row_mask:0xf bank_mask:0xf
	v_cndmask_b32_e64 v24, v24, 0, s[16:17]
	v_add_u32_e32 v4, v4, v24
	s_nop 1
	v_mov_b32_dpp v24, v4 row_bcast:31 row_mask:0xf bank_mask:0xf
	v_cndmask_b32_e64 v24, 0, v24, s[2:3]
	v_add_u32_e32 v4, v4, v24
	s_and_saveexec_b64 s[24:25], s[4:5]
; %bb.21:                               ;   in Loop: Header=BB31_2 Depth=1
	ds_write_b32 v13, v4 offset:16384
; %bb.22:                               ;   in Loop: Header=BB31_2 Depth=1
	s_or_b64 exec, exec, s[24:25]
	s_waitcnt lgkmcnt(0)
	s_barrier
	s_and_saveexec_b64 s[24:25], vcc
	s_cbranch_execz .LBB31_24
; %bb.23:                               ;   in Loop: Header=BB31_2 Depth=1
	ds_read_b32 v24, v23 offset:16384
	s_waitcnt lgkmcnt(0)
	s_nop 0
	v_mov_b32_dpp v25, v24 row_shr:1 row_mask:0xf bank_mask:0xf
	v_cndmask_b32_e64 v25, v25, 0, s[18:19]
	v_add_u32_e32 v24, v25, v24
	s_nop 1
	v_mov_b32_dpp v25, v24 row_shr:2 row_mask:0xf bank_mask:0xf
	v_cndmask_b32_e64 v25, 0, v25, s[20:21]
	v_add_u32_e32 v24, v24, v25
	;; [unrolled: 4-line block ×3, first 2 shown]
	ds_write_b32 v23, v24 offset:16384
.LBB31_24:                              ;   in Loop: Header=BB31_2 Depth=1
	s_or_b64 exec, exec, s[24:25]
	v_mov_b32_e32 v24, 0
	s_waitcnt lgkmcnt(0)
	s_barrier
	s_and_saveexec_b64 s[24:25], s[0:1]
; %bb.25:                               ;   in Loop: Header=BB31_2 Depth=1
	ds_read_b32 v24, v13 offset:16380
; %bb.26:                               ;   in Loop: Header=BB31_2 Depth=1
	s_or_b64 exec, exec, s[24:25]
	s_waitcnt lgkmcnt(0)
	v_add_u32_e32 v4, v24, v4
	ds_bpermute_b32 v4, v14, v4
	ds_read_b32 v25, v10 offset:16412
	s_mov_b64 s[34:35], 0
	s_waitcnt lgkmcnt(1)
	v_cndmask_b32_e64 v4, v4, v24, s[6:7]
	s_waitcnt lgkmcnt(0)
	v_lshl_add_u32 v4, v25, 16, v4
	v_add_u32_e32 v5, v4, v5
	v_add_u32_e32 v6, v5, v6
	;; [unrolled: 1-line block ×7, first 2 shown]
	ds_write2_b64 v11, v[24:25], v[1:2] offset0:2 offset1:3
	v_mov_b32_e32 v1, v9
	v_mov_b32_e32 v2, v12
	ds_write2_b64 v11, v[4:5], v[6:7] offset1:1
	s_waitcnt lgkmcnt(0)
	s_barrier
.LBB31_27:                              ;   Parent Loop BB31_2 Depth=1
                                        ; =>  This Inner Loop Header: Depth=2
	v_add_u32_e32 v2, 0x200, v2
	v_cmp_lt_u32_e64 s[24:25], s30, v2
	ds_write_b32 v1, v10
	s_or_b64 s[34:35], s[24:25], s[34:35]
	v_add_u32_e32 v1, 0x800, v1
	s_andn2_b64 exec, exec, s[34:35]
	s_cbranch_execnz .LBB31_27
; %bb.28:                               ;   in Loop: Header=BB31_2 Depth=1
	s_or_b64 exec, exec, s[34:35]
	ds_read_u16 v1, v18
	s_waitcnt lgkmcnt(0)
	v_add_u16_e32 v1, 1, v1
	ds_write_b16 v18, v1
	s_waitcnt lgkmcnt(0)
	s_barrier
	ds_read2_b64 v[5:8], v11 offset1:1
	ds_read2_b64 v[1:4], v11 offset0:2 offset1:3
	s_waitcnt lgkmcnt(1)
	v_add_u32_e32 v24, v6, v5
	v_add3_u32 v24, v24, v7, v8
	s_waitcnt lgkmcnt(0)
	v_add3_u32 v24, v24, v1, v2
	v_add3_u32 v4, v24, v3, v4
	s_nop 1
	v_mov_b32_dpp v24, v4 row_shr:1 row_mask:0xf bank_mask:0xf
	v_cndmask_b32_e64 v24, v24, 0, s[8:9]
	v_add_u32_e32 v4, v24, v4
	s_nop 1
	v_mov_b32_dpp v24, v4 row_shr:2 row_mask:0xf bank_mask:0xf
	v_cndmask_b32_e64 v24, 0, v24, s[10:11]
	v_add_u32_e32 v4, v4, v24
	;; [unrolled: 4-line block ×4, first 2 shown]
	s_nop 1
	v_mov_b32_dpp v24, v4 row_bcast:15 row_mask:0xf bank_mask:0xf
	v_cndmask_b32_e64 v24, v24, 0, s[16:17]
	v_add_u32_e32 v4, v4, v24
	s_nop 1
	v_mov_b32_dpp v24, v4 row_bcast:31 row_mask:0xf bank_mask:0xf
	v_cndmask_b32_e64 v24, 0, v24, s[2:3]
	v_add_u32_e32 v4, v4, v24
	s_and_saveexec_b64 s[24:25], s[4:5]
; %bb.29:                               ;   in Loop: Header=BB31_2 Depth=1
	ds_write_b32 v13, v4 offset:16384
; %bb.30:                               ;   in Loop: Header=BB31_2 Depth=1
	s_or_b64 exec, exec, s[24:25]
	s_waitcnt lgkmcnt(0)
	s_barrier
	s_and_saveexec_b64 s[24:25], vcc
	s_cbranch_execz .LBB31_32
; %bb.31:                               ;   in Loop: Header=BB31_2 Depth=1
	ds_read_b32 v24, v23 offset:16384
	s_waitcnt lgkmcnt(0)
	s_nop 0
	v_mov_b32_dpp v25, v24 row_shr:1 row_mask:0xf bank_mask:0xf
	v_cndmask_b32_e64 v25, v25, 0, s[18:19]
	v_add_u32_e32 v24, v25, v24
	s_nop 1
	v_mov_b32_dpp v25, v24 row_shr:2 row_mask:0xf bank_mask:0xf
	v_cndmask_b32_e64 v25, 0, v25, s[20:21]
	v_add_u32_e32 v24, v24, v25
	;; [unrolled: 4-line block ×3, first 2 shown]
	ds_write_b32 v23, v24 offset:16384
.LBB31_32:                              ;   in Loop: Header=BB31_2 Depth=1
	s_or_b64 exec, exec, s[24:25]
	v_mov_b32_e32 v24, 0
	s_waitcnt lgkmcnt(0)
	s_barrier
	s_and_saveexec_b64 s[24:25], s[0:1]
; %bb.33:                               ;   in Loop: Header=BB31_2 Depth=1
	ds_read_b32 v24, v13 offset:16380
; %bb.34:                               ;   in Loop: Header=BB31_2 Depth=1
	s_or_b64 exec, exec, s[24:25]
	s_waitcnt lgkmcnt(0)
	v_add_u32_e32 v4, v24, v4
	ds_bpermute_b32 v4, v14, v4
	ds_read_b32 v25, v10 offset:16412
	s_mov_b64 s[34:35], 0
	s_waitcnt lgkmcnt(1)
	v_cndmask_b32_e64 v4, v4, v24, s[6:7]
	s_waitcnt lgkmcnt(0)
	v_lshl_add_u32 v4, v25, 16, v4
	v_add_u32_e32 v5, v4, v5
	v_add_u32_e32 v6, v5, v6
	;; [unrolled: 1-line block ×7, first 2 shown]
	ds_write2_b64 v11, v[24:25], v[1:2] offset0:2 offset1:3
	v_mov_b32_e32 v1, v9
	v_mov_b32_e32 v2, v12
	ds_write2_b64 v11, v[4:5], v[6:7] offset1:1
	s_waitcnt lgkmcnt(0)
	s_barrier
.LBB31_35:                              ;   Parent Loop BB31_2 Depth=1
                                        ; =>  This Inner Loop Header: Depth=2
	v_add_u32_e32 v2, 0x200, v2
	v_cmp_lt_u32_e64 s[24:25], s30, v2
	ds_write_b32 v1, v10
	s_or_b64 s[34:35], s[24:25], s[34:35]
	v_add_u32_e32 v1, 0x800, v1
	s_andn2_b64 exec, exec, s[34:35]
	s_cbranch_execnz .LBB31_35
; %bb.36:                               ;   in Loop: Header=BB31_2 Depth=1
	s_or_b64 exec, exec, s[34:35]
	ds_read_u16 v1, v19
	s_waitcnt lgkmcnt(0)
	v_add_u16_e32 v1, 1, v1
	ds_write_b16 v19, v1
	s_waitcnt lgkmcnt(0)
	s_barrier
	ds_read2_b64 v[5:8], v11 offset1:1
	ds_read2_b64 v[1:4], v11 offset0:2 offset1:3
	s_waitcnt lgkmcnt(1)
	v_add_u32_e32 v24, v6, v5
	v_add3_u32 v24, v24, v7, v8
	s_waitcnt lgkmcnt(0)
	v_add3_u32 v24, v24, v1, v2
	v_add3_u32 v4, v24, v3, v4
	s_nop 1
	v_mov_b32_dpp v24, v4 row_shr:1 row_mask:0xf bank_mask:0xf
	v_cndmask_b32_e64 v24, v24, 0, s[8:9]
	v_add_u32_e32 v4, v24, v4
	s_nop 1
	v_mov_b32_dpp v24, v4 row_shr:2 row_mask:0xf bank_mask:0xf
	v_cndmask_b32_e64 v24, 0, v24, s[10:11]
	v_add_u32_e32 v4, v4, v24
	;; [unrolled: 4-line block ×4, first 2 shown]
	s_nop 1
	v_mov_b32_dpp v24, v4 row_bcast:15 row_mask:0xf bank_mask:0xf
	v_cndmask_b32_e64 v24, v24, 0, s[16:17]
	v_add_u32_e32 v4, v4, v24
	s_nop 1
	v_mov_b32_dpp v24, v4 row_bcast:31 row_mask:0xf bank_mask:0xf
	v_cndmask_b32_e64 v24, 0, v24, s[2:3]
	v_add_u32_e32 v4, v4, v24
	s_and_saveexec_b64 s[24:25], s[4:5]
; %bb.37:                               ;   in Loop: Header=BB31_2 Depth=1
	ds_write_b32 v13, v4 offset:16384
; %bb.38:                               ;   in Loop: Header=BB31_2 Depth=1
	s_or_b64 exec, exec, s[24:25]
	s_waitcnt lgkmcnt(0)
	s_barrier
	s_and_saveexec_b64 s[24:25], vcc
	s_cbranch_execz .LBB31_40
; %bb.39:                               ;   in Loop: Header=BB31_2 Depth=1
	ds_read_b32 v24, v23 offset:16384
	s_waitcnt lgkmcnt(0)
	s_nop 0
	v_mov_b32_dpp v25, v24 row_shr:1 row_mask:0xf bank_mask:0xf
	v_cndmask_b32_e64 v25, v25, 0, s[18:19]
	v_add_u32_e32 v24, v25, v24
	s_nop 1
	v_mov_b32_dpp v25, v24 row_shr:2 row_mask:0xf bank_mask:0xf
	v_cndmask_b32_e64 v25, 0, v25, s[20:21]
	v_add_u32_e32 v24, v24, v25
	;; [unrolled: 4-line block ×3, first 2 shown]
	ds_write_b32 v23, v24 offset:16384
.LBB31_40:                              ;   in Loop: Header=BB31_2 Depth=1
	s_or_b64 exec, exec, s[24:25]
	v_mov_b32_e32 v24, 0
	s_waitcnt lgkmcnt(0)
	s_barrier
	s_and_saveexec_b64 s[24:25], s[0:1]
; %bb.41:                               ;   in Loop: Header=BB31_2 Depth=1
	ds_read_b32 v24, v13 offset:16380
; %bb.42:                               ;   in Loop: Header=BB31_2 Depth=1
	s_or_b64 exec, exec, s[24:25]
	s_waitcnt lgkmcnt(0)
	v_add_u32_e32 v4, v24, v4
	ds_bpermute_b32 v4, v14, v4
	ds_read_b32 v25, v10 offset:16412
	s_mov_b64 s[34:35], 0
	s_waitcnt lgkmcnt(1)
	v_cndmask_b32_e64 v4, v4, v24, s[6:7]
	s_waitcnt lgkmcnt(0)
	v_lshl_add_u32 v4, v25, 16, v4
	v_add_u32_e32 v5, v4, v5
	v_add_u32_e32 v6, v5, v6
	;; [unrolled: 1-line block ×7, first 2 shown]
	ds_write2_b64 v11, v[24:25], v[1:2] offset0:2 offset1:3
	v_mov_b32_e32 v1, v9
	v_mov_b32_e32 v2, v12
	ds_write2_b64 v11, v[4:5], v[6:7] offset1:1
	s_waitcnt lgkmcnt(0)
	s_barrier
.LBB31_43:                              ;   Parent Loop BB31_2 Depth=1
                                        ; =>  This Inner Loop Header: Depth=2
	v_add_u32_e32 v2, 0x200, v2
	v_cmp_lt_u32_e64 s[24:25], s30, v2
	ds_write_b32 v1, v10
	s_or_b64 s[34:35], s[24:25], s[34:35]
	v_add_u32_e32 v1, 0x800, v1
	s_andn2_b64 exec, exec, s[34:35]
	s_cbranch_execnz .LBB31_43
; %bb.44:                               ;   in Loop: Header=BB31_2 Depth=1
	s_or_b64 exec, exec, s[34:35]
	ds_read_u16 v1, v20
	s_waitcnt lgkmcnt(0)
	v_add_u16_e32 v1, 1, v1
	ds_write_b16 v20, v1
	s_waitcnt lgkmcnt(0)
	s_barrier
	ds_read2_b64 v[5:8], v11 offset1:1
	ds_read2_b64 v[1:4], v11 offset0:2 offset1:3
	s_waitcnt lgkmcnt(1)
	v_add_u32_e32 v24, v6, v5
	v_add3_u32 v24, v24, v7, v8
	s_waitcnt lgkmcnt(0)
	v_add3_u32 v24, v24, v1, v2
	v_add3_u32 v4, v24, v3, v4
	s_nop 1
	v_mov_b32_dpp v24, v4 row_shr:1 row_mask:0xf bank_mask:0xf
	v_cndmask_b32_e64 v24, v24, 0, s[8:9]
	v_add_u32_e32 v4, v24, v4
	s_nop 1
	v_mov_b32_dpp v24, v4 row_shr:2 row_mask:0xf bank_mask:0xf
	v_cndmask_b32_e64 v24, 0, v24, s[10:11]
	v_add_u32_e32 v4, v4, v24
	;; [unrolled: 4-line block ×4, first 2 shown]
	s_nop 1
	v_mov_b32_dpp v24, v4 row_bcast:15 row_mask:0xf bank_mask:0xf
	v_cndmask_b32_e64 v24, v24, 0, s[16:17]
	v_add_u32_e32 v4, v4, v24
	s_nop 1
	v_mov_b32_dpp v24, v4 row_bcast:31 row_mask:0xf bank_mask:0xf
	v_cndmask_b32_e64 v24, 0, v24, s[2:3]
	v_add_u32_e32 v4, v4, v24
	s_and_saveexec_b64 s[24:25], s[4:5]
; %bb.45:                               ;   in Loop: Header=BB31_2 Depth=1
	ds_write_b32 v13, v4 offset:16384
; %bb.46:                               ;   in Loop: Header=BB31_2 Depth=1
	s_or_b64 exec, exec, s[24:25]
	s_waitcnt lgkmcnt(0)
	s_barrier
	s_and_saveexec_b64 s[24:25], vcc
	s_cbranch_execz .LBB31_48
; %bb.47:                               ;   in Loop: Header=BB31_2 Depth=1
	ds_read_b32 v24, v23 offset:16384
	s_waitcnt lgkmcnt(0)
	s_nop 0
	v_mov_b32_dpp v25, v24 row_shr:1 row_mask:0xf bank_mask:0xf
	v_cndmask_b32_e64 v25, v25, 0, s[18:19]
	v_add_u32_e32 v24, v25, v24
	s_nop 1
	v_mov_b32_dpp v25, v24 row_shr:2 row_mask:0xf bank_mask:0xf
	v_cndmask_b32_e64 v25, 0, v25, s[20:21]
	v_add_u32_e32 v24, v24, v25
	;; [unrolled: 4-line block ×3, first 2 shown]
	ds_write_b32 v23, v24 offset:16384
.LBB31_48:                              ;   in Loop: Header=BB31_2 Depth=1
	s_or_b64 exec, exec, s[24:25]
	v_mov_b32_e32 v24, 0
	s_waitcnt lgkmcnt(0)
	s_barrier
	s_and_saveexec_b64 s[24:25], s[0:1]
; %bb.49:                               ;   in Loop: Header=BB31_2 Depth=1
	ds_read_b32 v24, v13 offset:16380
; %bb.50:                               ;   in Loop: Header=BB31_2 Depth=1
	s_or_b64 exec, exec, s[24:25]
	s_waitcnt lgkmcnt(0)
	v_add_u32_e32 v4, v24, v4
	ds_bpermute_b32 v4, v14, v4
	ds_read_b32 v25, v10 offset:16412
	s_mov_b64 s[34:35], 0
	s_waitcnt lgkmcnt(1)
	v_cndmask_b32_e64 v4, v4, v24, s[6:7]
	s_waitcnt lgkmcnt(0)
	v_lshl_add_u32 v4, v25, 16, v4
	v_add_u32_e32 v5, v4, v5
	v_add_u32_e32 v6, v5, v6
	;; [unrolled: 1-line block ×7, first 2 shown]
	ds_write2_b64 v11, v[24:25], v[1:2] offset0:2 offset1:3
	v_mov_b32_e32 v1, v9
	v_mov_b32_e32 v2, v12
	ds_write2_b64 v11, v[4:5], v[6:7] offset1:1
	s_waitcnt lgkmcnt(0)
	s_barrier
.LBB31_51:                              ;   Parent Loop BB31_2 Depth=1
                                        ; =>  This Inner Loop Header: Depth=2
	v_add_u32_e32 v2, 0x200, v2
	v_cmp_lt_u32_e64 s[24:25], s30, v2
	ds_write_b32 v1, v10
	s_or_b64 s[34:35], s[24:25], s[34:35]
	v_add_u32_e32 v1, 0x800, v1
	s_andn2_b64 exec, exec, s[34:35]
	s_cbranch_execnz .LBB31_51
; %bb.52:                               ;   in Loop: Header=BB31_2 Depth=1
	s_or_b64 exec, exec, s[34:35]
	ds_read_u16 v1, v22
	s_waitcnt lgkmcnt(0)
	v_add_u16_e32 v1, 1, v1
	ds_write_b16 v22, v1
	s_waitcnt lgkmcnt(0)
	s_barrier
	ds_read2_b64 v[5:8], v11 offset1:1
	ds_read2_b64 v[1:4], v11 offset0:2 offset1:3
	s_waitcnt lgkmcnt(1)
	v_add_u32_e32 v24, v6, v5
	v_add3_u32 v24, v24, v7, v8
	s_waitcnt lgkmcnt(0)
	v_add3_u32 v24, v24, v1, v2
	v_add3_u32 v4, v24, v3, v4
	s_nop 1
	v_mov_b32_dpp v24, v4 row_shr:1 row_mask:0xf bank_mask:0xf
	v_cndmask_b32_e64 v24, v24, 0, s[8:9]
	v_add_u32_e32 v4, v24, v4
	s_nop 1
	v_mov_b32_dpp v24, v4 row_shr:2 row_mask:0xf bank_mask:0xf
	v_cndmask_b32_e64 v24, 0, v24, s[10:11]
	v_add_u32_e32 v4, v4, v24
	;; [unrolled: 4-line block ×4, first 2 shown]
	s_nop 1
	v_mov_b32_dpp v24, v4 row_bcast:15 row_mask:0xf bank_mask:0xf
	v_cndmask_b32_e64 v24, v24, 0, s[16:17]
	v_add_u32_e32 v4, v4, v24
	s_nop 1
	v_mov_b32_dpp v24, v4 row_bcast:31 row_mask:0xf bank_mask:0xf
	v_cndmask_b32_e64 v24, 0, v24, s[2:3]
	v_add_u32_e32 v4, v4, v24
	s_and_saveexec_b64 s[24:25], s[4:5]
; %bb.53:                               ;   in Loop: Header=BB31_2 Depth=1
	ds_write_b32 v13, v4 offset:16384
; %bb.54:                               ;   in Loop: Header=BB31_2 Depth=1
	s_or_b64 exec, exec, s[24:25]
	s_waitcnt lgkmcnt(0)
	s_barrier
	s_and_saveexec_b64 s[24:25], vcc
	s_cbranch_execz .LBB31_56
; %bb.55:                               ;   in Loop: Header=BB31_2 Depth=1
	ds_read_b32 v24, v23 offset:16384
	s_waitcnt lgkmcnt(0)
	s_nop 0
	v_mov_b32_dpp v25, v24 row_shr:1 row_mask:0xf bank_mask:0xf
	v_cndmask_b32_e64 v25, v25, 0, s[18:19]
	v_add_u32_e32 v24, v25, v24
	s_nop 1
	v_mov_b32_dpp v25, v24 row_shr:2 row_mask:0xf bank_mask:0xf
	v_cndmask_b32_e64 v25, 0, v25, s[20:21]
	v_add_u32_e32 v24, v24, v25
	;; [unrolled: 4-line block ×3, first 2 shown]
	ds_write_b32 v23, v24 offset:16384
.LBB31_56:                              ;   in Loop: Header=BB31_2 Depth=1
	s_or_b64 exec, exec, s[24:25]
	v_mov_b32_e32 v24, 0
	s_waitcnt lgkmcnt(0)
	s_barrier
	s_and_saveexec_b64 s[24:25], s[0:1]
; %bb.57:                               ;   in Loop: Header=BB31_2 Depth=1
	ds_read_b32 v24, v13 offset:16380
; %bb.58:                               ;   in Loop: Header=BB31_2 Depth=1
	s_or_b64 exec, exec, s[24:25]
	s_waitcnt lgkmcnt(0)
	v_add_u32_e32 v4, v24, v4
	ds_bpermute_b32 v4, v14, v4
	ds_read_b32 v25, v10 offset:16412
	s_mov_b64 s[34:35], 0
	s_waitcnt lgkmcnt(1)
	v_cndmask_b32_e64 v4, v4, v24, s[6:7]
	s_waitcnt lgkmcnt(0)
	v_lshl_add_u32 v4, v25, 16, v4
	v_add_u32_e32 v5, v4, v5
	v_add_u32_e32 v6, v5, v6
	;; [unrolled: 1-line block ×7, first 2 shown]
	ds_write2_b64 v11, v[24:25], v[1:2] offset0:2 offset1:3
	v_mov_b32_e32 v1, v9
	v_mov_b32_e32 v2, v12
	ds_write2_b64 v11, v[4:5], v[6:7] offset1:1
	s_waitcnt lgkmcnt(0)
	s_barrier
.LBB31_59:                              ;   Parent Loop BB31_2 Depth=1
                                        ; =>  This Inner Loop Header: Depth=2
	v_add_u32_e32 v2, 0x200, v2
	v_cmp_lt_u32_e64 s[24:25], s30, v2
	ds_write_b32 v1, v10
	s_or_b64 s[34:35], s[24:25], s[34:35]
	v_add_u32_e32 v1, 0x800, v1
	s_andn2_b64 exec, exec, s[34:35]
	s_cbranch_execnz .LBB31_59
; %bb.60:                               ;   in Loop: Header=BB31_2 Depth=1
	s_or_b64 exec, exec, s[34:35]
	ds_read_u16 v24, v21
	s_waitcnt lgkmcnt(0)
	v_add_u16_e32 v1, 1, v24
	ds_write_b16 v21, v1
	s_waitcnt lgkmcnt(0)
	s_barrier
	ds_read2_b64 v[5:8], v11 offset1:1
	ds_read2_b64 v[1:4], v11 offset0:2 offset1:3
	s_waitcnt lgkmcnt(1)
	v_add_u32_e32 v25, v6, v5
	v_add3_u32 v25, v25, v7, v8
	s_waitcnt lgkmcnt(0)
	v_add3_u32 v25, v25, v1, v2
	v_add3_u32 v4, v25, v3, v4
	s_nop 1
	v_mov_b32_dpp v25, v4 row_shr:1 row_mask:0xf bank_mask:0xf
	v_cndmask_b32_e64 v25, v25, 0, s[8:9]
	v_add_u32_e32 v4, v25, v4
	s_nop 1
	v_mov_b32_dpp v25, v4 row_shr:2 row_mask:0xf bank_mask:0xf
	v_cndmask_b32_e64 v25, 0, v25, s[10:11]
	v_add_u32_e32 v4, v4, v25
	;; [unrolled: 4-line block ×4, first 2 shown]
	s_nop 1
	v_mov_b32_dpp v25, v4 row_bcast:15 row_mask:0xf bank_mask:0xf
	v_cndmask_b32_e64 v25, v25, 0, s[16:17]
	v_add_u32_e32 v4, v4, v25
	s_nop 1
	v_mov_b32_dpp v25, v4 row_bcast:31 row_mask:0xf bank_mask:0xf
	v_cndmask_b32_e64 v25, 0, v25, s[2:3]
	v_add_u32_e32 v4, v4, v25
	s_and_saveexec_b64 s[24:25], s[4:5]
; %bb.61:                               ;   in Loop: Header=BB31_2 Depth=1
	ds_write_b32 v13, v4 offset:16384
; %bb.62:                               ;   in Loop: Header=BB31_2 Depth=1
	s_or_b64 exec, exec, s[24:25]
	s_waitcnt lgkmcnt(0)
	s_barrier
	s_and_saveexec_b64 s[24:25], vcc
	s_cbranch_execz .LBB31_64
; %bb.63:                               ;   in Loop: Header=BB31_2 Depth=1
	ds_read_b32 v25, v23 offset:16384
	s_waitcnt lgkmcnt(0)
	s_nop 0
	v_mov_b32_dpp v26, v25 row_shr:1 row_mask:0xf bank_mask:0xf
	v_cndmask_b32_e64 v26, v26, 0, s[18:19]
	v_add_u32_e32 v25, v26, v25
	s_nop 1
	v_mov_b32_dpp v26, v25 row_shr:2 row_mask:0xf bank_mask:0xf
	v_cndmask_b32_e64 v26, 0, v26, s[20:21]
	v_add_u32_e32 v25, v25, v26
	;; [unrolled: 4-line block ×3, first 2 shown]
	ds_write_b32 v23, v25 offset:16384
.LBB31_64:                              ;   in Loop: Header=BB31_2 Depth=1
	s_or_b64 exec, exec, s[24:25]
	v_mov_b32_e32 v25, 0
	s_waitcnt lgkmcnt(0)
	s_barrier
	s_and_saveexec_b64 s[24:25], s[0:1]
	s_cbranch_execz .LBB31_1
; %bb.65:                               ;   in Loop: Header=BB31_2 Depth=1
	ds_read_b32 v25, v13 offset:16380
	s_branch .LBB31_1
.LBB31_66:
	ds_read_u16 v1, v21
	s_add_u32 s0, s26, s28
	s_addc_u32 s1, s27, s29
	v_lshlrev_b32_e32 v0, 2, v0
	s_waitcnt lgkmcnt(0)
	v_add_u32_sdwa v1, v1, v24 dst_sel:DWORD dst_unused:UNUSED_PAD src0_sel:DWORD src1_sel:WORD_0
	global_store_dword v0, v1, s[0:1]
	s_endpgm
	.section	.rodata,"a",@progbits
	.p2align	6, 0x0
	.amdhsa_kernel _Z11rank_kernelIiLj4ELb0EL18RadixRankAlgorithm1ELj512ELj1ELj10EEvPKT_Pi
		.amdhsa_group_segment_fixed_size 16416
		.amdhsa_private_segment_fixed_size 0
		.amdhsa_kernarg_size 16
		.amdhsa_user_sgpr_count 6
		.amdhsa_user_sgpr_private_segment_buffer 1
		.amdhsa_user_sgpr_dispatch_ptr 0
		.amdhsa_user_sgpr_queue_ptr 0
		.amdhsa_user_sgpr_kernarg_segment_ptr 1
		.amdhsa_user_sgpr_dispatch_id 0
		.amdhsa_user_sgpr_flat_scratch_init 0
		.amdhsa_user_sgpr_private_segment_size 0
		.amdhsa_uses_dynamic_stack 0
		.amdhsa_system_sgpr_private_segment_wavefront_offset 0
		.amdhsa_system_sgpr_workgroup_id_x 1
		.amdhsa_system_sgpr_workgroup_id_y 0
		.amdhsa_system_sgpr_workgroup_id_z 0
		.amdhsa_system_sgpr_workgroup_info 0
		.amdhsa_system_vgpr_workitem_id 0
		.amdhsa_next_free_vgpr 37
		.amdhsa_next_free_sgpr 93
		.amdhsa_reserve_vcc 1
		.amdhsa_reserve_flat_scratch 0
		.amdhsa_float_round_mode_32 0
		.amdhsa_float_round_mode_16_64 0
		.amdhsa_float_denorm_mode_32 3
		.amdhsa_float_denorm_mode_16_64 3
		.amdhsa_dx10_clamp 1
		.amdhsa_ieee_mode 1
		.amdhsa_fp16_overflow 0
		.amdhsa_exception_fp_ieee_invalid_op 0
		.amdhsa_exception_fp_denorm_src 0
		.amdhsa_exception_fp_ieee_div_zero 0
		.amdhsa_exception_fp_ieee_overflow 0
		.amdhsa_exception_fp_ieee_underflow 0
		.amdhsa_exception_fp_ieee_inexact 0
		.amdhsa_exception_int_div_zero 0
	.end_amdhsa_kernel
	.section	.text._Z11rank_kernelIiLj4ELb0EL18RadixRankAlgorithm1ELj512ELj1ELj10EEvPKT_Pi,"axG",@progbits,_Z11rank_kernelIiLj4ELb0EL18RadixRankAlgorithm1ELj512ELj1ELj10EEvPKT_Pi,comdat
.Lfunc_end31:
	.size	_Z11rank_kernelIiLj4ELb0EL18RadixRankAlgorithm1ELj512ELj1ELj10EEvPKT_Pi, .Lfunc_end31-_Z11rank_kernelIiLj4ELb0EL18RadixRankAlgorithm1ELj512ELj1ELj10EEvPKT_Pi
                                        ; -- End function
	.set _Z11rank_kernelIiLj4ELb0EL18RadixRankAlgorithm1ELj512ELj1ELj10EEvPKT_Pi.num_vgpr, 27
	.set _Z11rank_kernelIiLj4ELb0EL18RadixRankAlgorithm1ELj512ELj1ELj10EEvPKT_Pi.num_agpr, 0
	.set _Z11rank_kernelIiLj4ELb0EL18RadixRankAlgorithm1ELj512ELj1ELj10EEvPKT_Pi.numbered_sgpr, 36
	.set _Z11rank_kernelIiLj4ELb0EL18RadixRankAlgorithm1ELj512ELj1ELj10EEvPKT_Pi.num_named_barrier, 0
	.set _Z11rank_kernelIiLj4ELb0EL18RadixRankAlgorithm1ELj512ELj1ELj10EEvPKT_Pi.private_seg_size, 0
	.set _Z11rank_kernelIiLj4ELb0EL18RadixRankAlgorithm1ELj512ELj1ELj10EEvPKT_Pi.uses_vcc, 1
	.set _Z11rank_kernelIiLj4ELb0EL18RadixRankAlgorithm1ELj512ELj1ELj10EEvPKT_Pi.uses_flat_scratch, 0
	.set _Z11rank_kernelIiLj4ELb0EL18RadixRankAlgorithm1ELj512ELj1ELj10EEvPKT_Pi.has_dyn_sized_stack, 0
	.set _Z11rank_kernelIiLj4ELb0EL18RadixRankAlgorithm1ELj512ELj1ELj10EEvPKT_Pi.has_recursion, 0
	.set _Z11rank_kernelIiLj4ELb0EL18RadixRankAlgorithm1ELj512ELj1ELj10EEvPKT_Pi.has_indirect_call, 0
	.section	.AMDGPU.csdata,"",@progbits
; Kernel info:
; codeLenInByte = 4892
; TotalNumSgprs: 40
; NumVgprs: 27
; ScratchSize: 0
; MemoryBound: 0
; FloatMode: 240
; IeeeMode: 1
; LDSByteSize: 16416 bytes/workgroup (compile time only)
; SGPRBlocks: 12
; VGPRBlocks: 9
; NumSGPRsForWavesPerEU: 97
; NumVGPRsForWavesPerEU: 37
; Occupancy: 6
; WaveLimiterHint : 0
; COMPUTE_PGM_RSRC2:SCRATCH_EN: 0
; COMPUTE_PGM_RSRC2:USER_SGPR: 6
; COMPUTE_PGM_RSRC2:TRAP_HANDLER: 0
; COMPUTE_PGM_RSRC2:TGID_X_EN: 1
; COMPUTE_PGM_RSRC2:TGID_Y_EN: 0
; COMPUTE_PGM_RSRC2:TGID_Z_EN: 0
; COMPUTE_PGM_RSRC2:TIDIG_COMP_CNT: 0
	.section	.text._Z11rank_kernelIiLj4ELb0EL18RadixRankAlgorithm2ELj512ELj1ELj10EEvPKT_Pi,"axG",@progbits,_Z11rank_kernelIiLj4ELb0EL18RadixRankAlgorithm2ELj512ELj1ELj10EEvPKT_Pi,comdat
	.protected	_Z11rank_kernelIiLj4ELb0EL18RadixRankAlgorithm2ELj512ELj1ELj10EEvPKT_Pi ; -- Begin function _Z11rank_kernelIiLj4ELb0EL18RadixRankAlgorithm2ELj512ELj1ELj10EEvPKT_Pi
	.globl	_Z11rank_kernelIiLj4ELb0EL18RadixRankAlgorithm2ELj512ELj1ELj10EEvPKT_Pi
	.p2align	8
	.type	_Z11rank_kernelIiLj4ELb0EL18RadixRankAlgorithm2ELj512ELj1ELj10EEvPKT_Pi,@function
_Z11rank_kernelIiLj4ELb0EL18RadixRankAlgorithm2ELj512ELj1ELj10EEvPKT_Pi: ; @_Z11rank_kernelIiLj4ELb0EL18RadixRankAlgorithm2ELj512ELj1ELj10EEvPKT_Pi
; %bb.0:
	s_load_dwordx4 s[28:31], s[4:5], 0x0
	s_load_dword s22, s[4:5], 0x1c
	s_lshl_b32 s36, s6, 9
	s_mov_b32 s37, 0
	s_lshl_b64 s[34:35], s[36:37], 2
	s_waitcnt lgkmcnt(0)
	s_add_u32 s0, s28, s34
	s_addc_u32 s1, s29, s35
	v_lshlrev_b32_e32 v5, 2, v0
	global_load_dword v4, v5, s[0:1]
	s_lshr_b32 s23, s22, 16
	s_and_b32 s22, s22, 0xffff
	v_mad_u32_u24 v1, v2, s23, v1
	v_mbcnt_lo_u32_b32 v6, -1, 0
	v_mad_u64_u32 v[1:2], s[22:23], v1, s22, v[0:1]
	v_mbcnt_hi_u32_b32 v7, -1, v6
	v_subrev_co_u32_e64 v11, s[6:7], 1, v7
	v_and_b32_e32 v12, 64, v7
	v_or_b32_e32 v6, 63, v0
	v_lshrrev_b32_e32 v8, 4, v0
	v_and_b32_e32 v9, 15, v7
	v_cmp_lt_i32_e64 s[18:19], v11, v12
	v_and_b32_e32 v10, 16, v7
	v_cmp_eq_u32_e64 s[4:5], v0, v6
	v_and_b32_e32 v6, 28, v8
	v_and_b32_e32 v8, 7, v7
	v_cmp_eq_u32_e64 s[8:9], 0, v9
	v_cmp_lt_u32_e64 s[10:11], 1, v9
	v_cmp_lt_u32_e64 s[12:13], 3, v9
	;; [unrolled: 1-line block ×3, first 2 shown]
	v_cndmask_b32_e64 v9, v11, v7, s[18:19]
	v_lshrrev_b32_e32 v1, 4, v1
	v_mov_b32_e32 v3, 0
	v_cmp_gt_u32_e32 vcc, 8, v0
	v_cmp_lt_u32_e64 s[0:1], 63, v0
	v_cmp_lt_u32_e64 s[2:3], 31, v7
	v_cmp_eq_u32_e64 s[16:17], 0, v10
	v_cmp_eq_u32_e64 s[18:19], 0, v8
	v_cmp_lt_u32_e64 s[20:21], 1, v8
	v_cmp_lt_u32_e64 s[22:23], 3, v8
	v_add_u32_e32 v7, -4, v6
	v_lshlrev_b32_e32 v8, 2, v9
	v_and_b32_e32 v9, 0xffffffc, v1
	s_waitcnt vmcnt(0)
	v_xor_b32_e32 v10, 0x80000000, v4
	s_branch .LBB32_2
.LBB32_1:                               ;   in Loop: Header=BB32_2 Depth=1
	s_add_i32 s37, s37, 1
	s_cmp_eq_u32 s37, 10
	s_cbranch_scc1 .LBB32_12
.LBB32_2:                               ; =>This Loop Header: Depth=1
                                        ;     Child Loop BB32_4 Depth 2
	s_mov_b32 s28, -4
	s_mov_b32 s29, 28
	s_branch .LBB32_4
.LBB32_3:                               ;   in Loop: Header=BB32_4 Depth=2
	s_or_b64 exec, exec, s[24:25]
	s_waitcnt lgkmcnt(0)
	v_add_u32_e32 v1, v2, v1
	ds_bpermute_b32 v1, v8, v1
	s_add_i32 s29, s29, -4
	s_add_i32 s28, s28, 4
	s_cmp_lt_u32 s28, 28
	s_waitcnt lgkmcnt(0)
	v_cndmask_b32_e64 v1, v1, v2, s[6:7]
	ds_write_b32 v5, v1 offset:32
	s_waitcnt lgkmcnt(0)
	s_barrier
	s_cbranch_scc0 .LBB32_1
.LBB32_4:                               ;   Parent Loop BB32_2 Depth=1
                                        ; =>  This Inner Loop Header: Depth=2
	v_lshlrev_b32_e32 v1, s29, v10
	v_lshrrev_b32_e32 v1, 28, v1
	v_and_b32_e32 v2, 1, v1
	v_add_co_u32_e64 v4, s[24:25], -1, v2
	v_addc_co_u32_e64 v12, s[24:25], 0, -1, s[24:25]
	v_cmp_ne_u32_e64 s[24:25], 0, v2
	v_xor_b32_e32 v4, s24, v4
	v_xor_b32_e32 v2, s25, v12
	v_and_b32_e32 v12, exec_lo, v4
	v_lshlrev_b32_e32 v4, 30, v1
	v_cmp_gt_i64_e64 s[24:25], 0, v[3:4]
	v_not_b32_e32 v4, v4
	v_ashrrev_i32_e32 v4, 31, v4
	v_xor_b32_e32 v13, s25, v4
	v_xor_b32_e32 v4, s24, v4
	v_and_b32_e32 v12, v12, v4
	v_lshlrev_b32_e32 v4, 29, v1
	v_cmp_gt_i64_e64 s[24:25], 0, v[3:4]
	v_not_b32_e32 v4, v4
	v_and_b32_e32 v2, exec_hi, v2
	v_ashrrev_i32_e32 v4, 31, v4
	v_and_b32_e32 v2, v2, v13
	v_xor_b32_e32 v13, s25, v4
	v_xor_b32_e32 v4, s24, v4
	v_and_b32_e32 v12, v12, v4
	v_lshlrev_b32_e32 v4, 28, v1
	v_mul_u32_u24_e32 v11, 36, v1
	v_cmp_gt_i64_e64 s[24:25], 0, v[3:4]
	v_not_b32_e32 v1, v4
	v_ashrrev_i32_e32 v1, 31, v1
	v_xor_b32_e32 v4, s25, v1
	v_xor_b32_e32 v1, s24, v1
	v_and_b32_e32 v2, v2, v13
	v_and_b32_e32 v1, v12, v1
	;; [unrolled: 1-line block ×3, first 2 shown]
	v_mbcnt_lo_u32_b32 v4, v1, 0
	v_mbcnt_hi_u32_b32 v4, v2, v4
	v_cmp_ne_u64_e64 s[24:25], 0, v[1:2]
	v_cmp_eq_u32_e64 s[26:27], 0, v4
	s_and_b64 s[26:27], s[24:25], s[26:27]
	ds_write_b32 v5, v3 offset:32
	s_waitcnt lgkmcnt(0)
	s_barrier
	; wave barrier
	s_and_saveexec_b64 s[24:25], s[26:27]
; %bb.5:                                ;   in Loop: Header=BB32_4 Depth=2
	v_bcnt_u32_b32 v1, v1, 0
	v_bcnt_u32_b32 v1, v2, v1
	v_add_u32_e32 v2, v9, v11
	ds_write_b32 v2, v1 offset:32
; %bb.6:                                ;   in Loop: Header=BB32_4 Depth=2
	s_or_b64 exec, exec, s[24:25]
	; wave barrier
	s_waitcnt lgkmcnt(0)
	s_barrier
	ds_read_b32 v1, v5 offset:32
	s_waitcnt lgkmcnt(0)
	s_nop 0
	v_mov_b32_dpp v2, v1 row_shr:1 row_mask:0xf bank_mask:0xf
	v_cndmask_b32_e64 v2, v2, 0, s[8:9]
	v_add_u32_e32 v1, v2, v1
	s_nop 1
	v_mov_b32_dpp v2, v1 row_shr:2 row_mask:0xf bank_mask:0xf
	v_cndmask_b32_e64 v2, 0, v2, s[10:11]
	v_add_u32_e32 v1, v1, v2
	;; [unrolled: 4-line block ×4, first 2 shown]
	s_nop 1
	v_mov_b32_dpp v2, v1 row_bcast:15 row_mask:0xf bank_mask:0xf
	v_cndmask_b32_e64 v2, v2, 0, s[16:17]
	v_add_u32_e32 v1, v1, v2
	s_nop 1
	v_mov_b32_dpp v2, v1 row_bcast:31 row_mask:0xf bank_mask:0xf
	v_cndmask_b32_e64 v2, 0, v2, s[2:3]
	v_add_u32_e32 v1, v1, v2
	s_and_saveexec_b64 s[24:25], s[4:5]
; %bb.7:                                ;   in Loop: Header=BB32_4 Depth=2
	ds_write_b32 v6, v1
; %bb.8:                                ;   in Loop: Header=BB32_4 Depth=2
	s_or_b64 exec, exec, s[24:25]
	s_waitcnt lgkmcnt(0)
	s_barrier
	s_and_saveexec_b64 s[24:25], vcc
	s_cbranch_execz .LBB32_10
; %bb.9:                                ;   in Loop: Header=BB32_4 Depth=2
	ds_read_b32 v2, v5
	s_waitcnt lgkmcnt(0)
	s_nop 0
	v_mov_b32_dpp v12, v2 row_shr:1 row_mask:0xf bank_mask:0xf
	v_cndmask_b32_e64 v12, v12, 0, s[18:19]
	v_add_u32_e32 v2, v12, v2
	s_nop 1
	v_mov_b32_dpp v12, v2 row_shr:2 row_mask:0xf bank_mask:0xf
	v_cndmask_b32_e64 v12, 0, v12, s[20:21]
	v_add_u32_e32 v2, v2, v12
	;; [unrolled: 4-line block ×3, first 2 shown]
	ds_write_b32 v5, v2
.LBB32_10:                              ;   in Loop: Header=BB32_4 Depth=2
	s_or_b64 exec, exec, s[24:25]
	v_mov_b32_e32 v2, 0
	s_waitcnt lgkmcnt(0)
	s_barrier
	s_and_saveexec_b64 s[24:25], s[0:1]
	s_cbranch_execz .LBB32_3
; %bb.11:                               ;   in Loop: Header=BB32_4 Depth=2
	ds_read_b32 v2, v7
	s_branch .LBB32_3
.LBB32_12:
	v_add_u32_e32 v1, v9, v11
	ds_read_b32 v1, v1 offset:32
	s_add_u32 s0, s30, s34
	s_addc_u32 s1, s31, s35
	v_lshlrev_b32_e32 v0, 2, v0
	s_waitcnt lgkmcnt(0)
	v_add_u32_e32 v1, v1, v4
	global_store_dword v0, v1, s[0:1]
	s_endpgm
	.section	.rodata,"a",@progbits
	.p2align	6, 0x0
	.amdhsa_kernel _Z11rank_kernelIiLj4ELb0EL18RadixRankAlgorithm2ELj512ELj1ELj10EEvPKT_Pi
		.amdhsa_group_segment_fixed_size 2080
		.amdhsa_private_segment_fixed_size 0
		.amdhsa_kernarg_size 272
		.amdhsa_user_sgpr_count 6
		.amdhsa_user_sgpr_private_segment_buffer 1
		.amdhsa_user_sgpr_dispatch_ptr 0
		.amdhsa_user_sgpr_queue_ptr 0
		.amdhsa_user_sgpr_kernarg_segment_ptr 1
		.amdhsa_user_sgpr_dispatch_id 0
		.amdhsa_user_sgpr_flat_scratch_init 0
		.amdhsa_user_sgpr_private_segment_size 0
		.amdhsa_uses_dynamic_stack 0
		.amdhsa_system_sgpr_private_segment_wavefront_offset 0
		.amdhsa_system_sgpr_workgroup_id_x 1
		.amdhsa_system_sgpr_workgroup_id_y 0
		.amdhsa_system_sgpr_workgroup_id_z 0
		.amdhsa_system_sgpr_workgroup_info 0
		.amdhsa_system_vgpr_workitem_id 2
		.amdhsa_next_free_vgpr 14
		.amdhsa_next_free_sgpr 38
		.amdhsa_reserve_vcc 1
		.amdhsa_reserve_flat_scratch 0
		.amdhsa_float_round_mode_32 0
		.amdhsa_float_round_mode_16_64 0
		.amdhsa_float_denorm_mode_32 3
		.amdhsa_float_denorm_mode_16_64 3
		.amdhsa_dx10_clamp 1
		.amdhsa_ieee_mode 1
		.amdhsa_fp16_overflow 0
		.amdhsa_exception_fp_ieee_invalid_op 0
		.amdhsa_exception_fp_denorm_src 0
		.amdhsa_exception_fp_ieee_div_zero 0
		.amdhsa_exception_fp_ieee_overflow 0
		.amdhsa_exception_fp_ieee_underflow 0
		.amdhsa_exception_fp_ieee_inexact 0
		.amdhsa_exception_int_div_zero 0
	.end_amdhsa_kernel
	.section	.text._Z11rank_kernelIiLj4ELb0EL18RadixRankAlgorithm2ELj512ELj1ELj10EEvPKT_Pi,"axG",@progbits,_Z11rank_kernelIiLj4ELb0EL18RadixRankAlgorithm2ELj512ELj1ELj10EEvPKT_Pi,comdat
.Lfunc_end32:
	.size	_Z11rank_kernelIiLj4ELb0EL18RadixRankAlgorithm2ELj512ELj1ELj10EEvPKT_Pi, .Lfunc_end32-_Z11rank_kernelIiLj4ELb0EL18RadixRankAlgorithm2ELj512ELj1ELj10EEvPKT_Pi
                                        ; -- End function
	.set _Z11rank_kernelIiLj4ELb0EL18RadixRankAlgorithm2ELj512ELj1ELj10EEvPKT_Pi.num_vgpr, 14
	.set _Z11rank_kernelIiLj4ELb0EL18RadixRankAlgorithm2ELj512ELj1ELj10EEvPKT_Pi.num_agpr, 0
	.set _Z11rank_kernelIiLj4ELb0EL18RadixRankAlgorithm2ELj512ELj1ELj10EEvPKT_Pi.numbered_sgpr, 38
	.set _Z11rank_kernelIiLj4ELb0EL18RadixRankAlgorithm2ELj512ELj1ELj10EEvPKT_Pi.num_named_barrier, 0
	.set _Z11rank_kernelIiLj4ELb0EL18RadixRankAlgorithm2ELj512ELj1ELj10EEvPKT_Pi.private_seg_size, 0
	.set _Z11rank_kernelIiLj4ELb0EL18RadixRankAlgorithm2ELj512ELj1ELj10EEvPKT_Pi.uses_vcc, 1
	.set _Z11rank_kernelIiLj4ELb0EL18RadixRankAlgorithm2ELj512ELj1ELj10EEvPKT_Pi.uses_flat_scratch, 0
	.set _Z11rank_kernelIiLj4ELb0EL18RadixRankAlgorithm2ELj512ELj1ELj10EEvPKT_Pi.has_dyn_sized_stack, 0
	.set _Z11rank_kernelIiLj4ELb0EL18RadixRankAlgorithm2ELj512ELj1ELj10EEvPKT_Pi.has_recursion, 0
	.set _Z11rank_kernelIiLj4ELb0EL18RadixRankAlgorithm2ELj512ELj1ELj10EEvPKT_Pi.has_indirect_call, 0
	.section	.AMDGPU.csdata,"",@progbits
; Kernel info:
; codeLenInByte = 988
; TotalNumSgprs: 42
; NumVgprs: 14
; ScratchSize: 0
; MemoryBound: 0
; FloatMode: 240
; IeeeMode: 1
; LDSByteSize: 2080 bytes/workgroup (compile time only)
; SGPRBlocks: 5
; VGPRBlocks: 3
; NumSGPRsForWavesPerEU: 42
; NumVGPRsForWavesPerEU: 14
; Occupancy: 10
; WaveLimiterHint : 0
; COMPUTE_PGM_RSRC2:SCRATCH_EN: 0
; COMPUTE_PGM_RSRC2:USER_SGPR: 6
; COMPUTE_PGM_RSRC2:TRAP_HANDLER: 0
; COMPUTE_PGM_RSRC2:TGID_X_EN: 1
; COMPUTE_PGM_RSRC2:TGID_Y_EN: 0
; COMPUTE_PGM_RSRC2:TGID_Z_EN: 0
; COMPUTE_PGM_RSRC2:TIDIG_COMP_CNT: 2
	.section	.text._Z11rank_kernelIiLj4ELb0EL18RadixRankAlgorithm0ELj512ELj4ELj10EEvPKT_Pi,"axG",@progbits,_Z11rank_kernelIiLj4ELb0EL18RadixRankAlgorithm0ELj512ELj4ELj10EEvPKT_Pi,comdat
	.protected	_Z11rank_kernelIiLj4ELb0EL18RadixRankAlgorithm0ELj512ELj4ELj10EEvPKT_Pi ; -- Begin function _Z11rank_kernelIiLj4ELb0EL18RadixRankAlgorithm0ELj512ELj4ELj10EEvPKT_Pi
	.globl	_Z11rank_kernelIiLj4ELb0EL18RadixRankAlgorithm0ELj512ELj4ELj10EEvPKT_Pi
	.p2align	8
	.type	_Z11rank_kernelIiLj4ELb0EL18RadixRankAlgorithm0ELj512ELj4ELj10EEvPKT_Pi,@function
_Z11rank_kernelIiLj4ELb0EL18RadixRankAlgorithm0ELj512ELj4ELj10EEvPKT_Pi: ; @_Z11rank_kernelIiLj4ELb0EL18RadixRankAlgorithm0ELj512ELj4ELj10EEvPKT_Pi
; %bb.0:
	s_load_dwordx4 s[24:27], s[4:5], 0x0
	s_lshl_b32 s30, s6, 11
	s_mov_b32 s31, 0
	s_lshl_b64 s[28:29], s[30:31], 2
	v_lshlrev_b32_e32 v1, 4, v0
	s_waitcnt lgkmcnt(0)
	s_add_u32 s0, s24, s28
	s_addc_u32 s1, s25, s29
	global_load_dwordx4 v[7:10], v1, s[0:1]
	v_mbcnt_lo_u32_b32 v4, -1, 0
	v_mbcnt_hi_u32_b32 v6, -1, v4
	v_subrev_co_u32_e64 v15, s[6:7], 1, v6
	v_and_b32_e32 v16, 64, v6
	v_or_b32_e32 v5, 63, v0
	v_lshrrev_b32_e32 v11, 4, v0
	v_cmp_lt_i32_e64 s[18:19], v15, v16
	v_lshlrev_b32_e32 v3, 5, v0
	v_mul_i32_i24_e32 v12, 0xffffffe4, v0
	v_and_b32_e32 v13, 15, v6
	v_and_b32_e32 v14, 16, v6
	v_cmp_lt_u32_e64 s[2:3], 31, v6
	v_cmp_eq_u32_e64 s[4:5], v0, v5
	v_and_b32_e32 v5, 28, v11
	v_and_b32_e32 v11, 7, v6
	v_cndmask_b32_e64 v6, v15, v6, s[18:19]
	v_mov_b32_e32 v1, 0
	s_movk_i32 s30, 0xdff
	s_movk_i32 s33, 0xe00
	v_lshlrev_b32_e32 v2, 2, v0
	v_cmp_gt_u32_e32 vcc, 8, v0
	v_cmp_lt_u32_e64 s[0:1], 63, v0
	v_or_b32_e32 v4, 0xfffffe00, v0
	v_cmp_eq_u32_e64 s[8:9], 0, v13
	v_cmp_lt_u32_e64 s[10:11], 1, v13
	v_cmp_lt_u32_e64 s[12:13], 3, v13
	;; [unrolled: 1-line block ×3, first 2 shown]
	v_cmp_eq_u32_e64 s[16:17], 0, v14
	v_cmp_eq_u32_e64 s[18:19], 0, v11
	v_cmp_lt_u32_e64 s[20:21], 1, v11
	v_cmp_lt_u32_e64 s[22:23], 3, v11
	v_lshlrev_b32_e32 v6, 2, v6
	v_add_u32_e32 v11, v3, v12
	s_waitcnt vmcnt(0)
	v_xor_b32_e32 v7, 0x80000000, v7
	v_xor_b32_e32 v8, 0x80000000, v8
	;; [unrolled: 1-line block ×4, first 2 shown]
	s_branch .LBB33_2
.LBB33_1:                               ;   in Loop: Header=BB33_2 Depth=1
	s_add_i32 s31, s31, 1
	s_cmp_eq_u32 s31, 10
	s_cbranch_scc1 .LBB33_12
.LBB33_2:                               ; =>This Loop Header: Depth=1
                                        ;     Child Loop BB33_4 Depth 2
                                        ;       Child Loop BB33_5 Depth 3
	s_mov_b32 s36, 0
	s_branch .LBB33_4
.LBB33_3:                               ;   in Loop: Header=BB33_4 Depth=2
	s_or_b64 exec, exec, s[24:25]
	s_waitcnt lgkmcnt(0)
	v_add_u32_e32 v20, v21, v20
	ds_bpermute_b32 v20, v6, v20
	ds_read_b32 v26, v1 offset:16412
	ds_read2_b64 v[22:25], v3 offset1:1
	ds_read_b32 v28, v3 offset:24
	s_add_i32 s24, s36, 4
	s_cmp_lt_u32 s36, 28
	s_waitcnt lgkmcnt(3)
	v_cndmask_b32_e64 v20, v20, v21, s[6:7]
	s_waitcnt lgkmcnt(2)
	v_lshl_add_u32 v20, v26, 16, v20
	ds_read_b64 v[26:27], v3 offset:16
	s_waitcnt lgkmcnt(2)
	v_add_u32_e32 v21, v20, v22
	v_add_u32_e32 v22, v23, v21
	;; [unrolled: 1-line block ×3, first 2 shown]
	ds_write2_b64 v3, v[20:21], v[22:23] offset1:1
	v_add_u32_e32 v20, v25, v23
	s_waitcnt lgkmcnt(1)
	v_add_u32_e32 v21, v26, v20
	v_add_u32_e32 v22, v27, v21
	;; [unrolled: 1-line block ×3, first 2 shown]
	s_mov_b32 s36, s24
	ds_write2_b64 v3, v[20:21], v[22:23] offset0:2 offset1:3
	s_waitcnt lgkmcnt(0)
	s_barrier
	s_cbranch_scc0 .LBB33_1
.LBB33_4:                               ;   Parent Loop BB33_2 Depth=1
                                        ; =>  This Loop Header: Depth=2
                                        ;       Child Loop BB33_5 Depth 3
	s_mov_b64 s[34:35], 0
	v_mov_b32_e32 v12, v4
	v_mov_b32_e32 v13, v2
.LBB33_5:                               ;   Parent Loop BB33_2 Depth=1
                                        ;     Parent Loop BB33_4 Depth=2
                                        ; =>    This Inner Loop Header: Depth=3
	v_add_u32_e32 v12, 0x200, v12
	v_cmp_lt_u32_e64 s[24:25], s30, v12
	ds_write_b32 v13, v1
	s_or_b64 s[34:35], s[24:25], s[34:35]
	v_add_u32_e32 v13, 0x800, v13
	s_andn2_b64 exec, exec, s[34:35]
	s_cbranch_execnz .LBB33_5
; %bb.6:                                ;   in Loop: Header=BB33_4 Depth=2
	s_or_b64 exec, exec, s[34:35]
	s_sub_i32 s24, 28, s36
	v_lshlrev_b32_e32 v12, s24, v7
	v_lshrrev_b32_e32 v13, 19, v12
	v_and_or_b32 v13, v13, s33, v0
	v_alignbit_b32 v12, v13, v12, 31
	v_lshlrev_b32_e32 v13, 1, v12
	ds_read_u16 v12, v13
	v_lshlrev_b32_e32 v14, s24, v8
	v_lshrrev_b32_e32 v15, 19, v14
	v_and_or_b32 v15, v15, s33, v0
	v_alignbit_b32 v14, v15, v14, 31
	s_waitcnt lgkmcnt(0)
	v_add_u16_e32 v15, 1, v12
	ds_write_b16 v13, v15
	v_lshlrev_b32_e32 v15, 1, v14
	ds_read_u16 v14, v15
	v_lshlrev_b32_e32 v16, s24, v9
	v_lshrrev_b32_e32 v17, 19, v16
	v_and_or_b32 v17, v17, s33, v0
	v_alignbit_b32 v16, v17, v16, 31
	s_waitcnt lgkmcnt(0)
	v_add_u16_e32 v18, 1, v14
	ds_write_b16 v15, v18
	;; [unrolled: 9-line block ×3, first 2 shown]
	v_lshlrev_b32_e32 v19, 1, v18
	ds_read_u16 v18, v19
	s_waitcnt lgkmcnt(0)
	v_add_u16_e32 v20, 1, v18
	ds_write_b16 v19, v20
	s_waitcnt lgkmcnt(0)
	s_barrier
	ds_read2_b64 v[20:23], v3 offset1:1
	ds_read2_b64 v[24:27], v3 offset0:2 offset1:3
	s_waitcnt lgkmcnt(1)
	v_add_u32_e32 v20, v21, v20
	v_add3_u32 v20, v20, v22, v23
	s_waitcnt lgkmcnt(0)
	v_add3_u32 v20, v20, v24, v25
	v_add3_u32 v20, v20, v26, v27
	s_nop 1
	v_mov_b32_dpp v21, v20 row_shr:1 row_mask:0xf bank_mask:0xf
	v_cndmask_b32_e64 v21, v21, 0, s[8:9]
	v_add_u32_e32 v20, v21, v20
	s_nop 1
	v_mov_b32_dpp v21, v20 row_shr:2 row_mask:0xf bank_mask:0xf
	v_cndmask_b32_e64 v21, 0, v21, s[10:11]
	v_add_u32_e32 v20, v20, v21
	;; [unrolled: 4-line block ×4, first 2 shown]
	s_nop 1
	v_mov_b32_dpp v21, v20 row_bcast:15 row_mask:0xf bank_mask:0xf
	v_cndmask_b32_e64 v21, v21, 0, s[16:17]
	v_add_u32_e32 v20, v20, v21
	s_nop 1
	v_mov_b32_dpp v21, v20 row_bcast:31 row_mask:0xf bank_mask:0xf
	v_cndmask_b32_e64 v21, 0, v21, s[2:3]
	v_add_u32_e32 v20, v20, v21
	s_and_saveexec_b64 s[24:25], s[4:5]
; %bb.7:                                ;   in Loop: Header=BB33_4 Depth=2
	ds_write_b32 v5, v20 offset:16384
; %bb.8:                                ;   in Loop: Header=BB33_4 Depth=2
	s_or_b64 exec, exec, s[24:25]
	s_waitcnt lgkmcnt(0)
	s_barrier
	s_and_saveexec_b64 s[24:25], vcc
	s_cbranch_execz .LBB33_10
; %bb.9:                                ;   in Loop: Header=BB33_4 Depth=2
	ds_read_b32 v21, v11 offset:16384
	s_waitcnt lgkmcnt(0)
	s_nop 0
	v_mov_b32_dpp v22, v21 row_shr:1 row_mask:0xf bank_mask:0xf
	v_cndmask_b32_e64 v22, v22, 0, s[18:19]
	v_add_u32_e32 v21, v22, v21
	s_nop 1
	v_mov_b32_dpp v22, v21 row_shr:2 row_mask:0xf bank_mask:0xf
	v_cndmask_b32_e64 v22, 0, v22, s[20:21]
	v_add_u32_e32 v21, v21, v22
	;; [unrolled: 4-line block ×3, first 2 shown]
	ds_write_b32 v11, v21 offset:16384
.LBB33_10:                              ;   in Loop: Header=BB33_4 Depth=2
	s_or_b64 exec, exec, s[24:25]
	v_mov_b32_e32 v21, 0
	s_waitcnt lgkmcnt(0)
	s_barrier
	s_and_saveexec_b64 s[24:25], s[0:1]
	s_cbranch_execz .LBB33_3
; %bb.11:                               ;   in Loop: Header=BB33_4 Depth=2
	ds_read_b32 v21, v5 offset:16380
	s_branch .LBB33_3
.LBB33_12:
	ds_read_u16 v0, v13
	ds_read_u16 v1, v15
	;; [unrolled: 1-line block ×4, first 2 shown]
	s_add_u32 s0, s26, s28
	s_waitcnt lgkmcnt(3)
	v_add_u32_sdwa v3, v0, v12 dst_sel:DWORD dst_unused:UNUSED_PAD src0_sel:DWORD src1_sel:WORD_0
	s_waitcnt lgkmcnt(2)
	v_add_u32_sdwa v4, v1, v14 dst_sel:DWORD dst_unused:UNUSED_PAD src0_sel:DWORD src1_sel:WORD_0
	;; [unrolled: 2-line block ×4, first 2 shown]
	s_addc_u32 s1, s27, s29
	v_lshlrev_b32_e32 v0, 2, v2
	global_store_dwordx4 v0, v[3:6], s[0:1]
	s_endpgm
	.section	.rodata,"a",@progbits
	.p2align	6, 0x0
	.amdhsa_kernel _Z11rank_kernelIiLj4ELb0EL18RadixRankAlgorithm0ELj512ELj4ELj10EEvPKT_Pi
		.amdhsa_group_segment_fixed_size 16416
		.amdhsa_private_segment_fixed_size 0
		.amdhsa_kernarg_size 16
		.amdhsa_user_sgpr_count 6
		.amdhsa_user_sgpr_private_segment_buffer 1
		.amdhsa_user_sgpr_dispatch_ptr 0
		.amdhsa_user_sgpr_queue_ptr 0
		.amdhsa_user_sgpr_kernarg_segment_ptr 1
		.amdhsa_user_sgpr_dispatch_id 0
		.amdhsa_user_sgpr_flat_scratch_init 0
		.amdhsa_user_sgpr_private_segment_size 0
		.amdhsa_uses_dynamic_stack 0
		.amdhsa_system_sgpr_private_segment_wavefront_offset 0
		.amdhsa_system_sgpr_workgroup_id_x 1
		.amdhsa_system_sgpr_workgroup_id_y 0
		.amdhsa_system_sgpr_workgroup_id_z 0
		.amdhsa_system_sgpr_workgroup_info 0
		.amdhsa_system_vgpr_workitem_id 0
		.amdhsa_next_free_vgpr 37
		.amdhsa_next_free_sgpr 93
		.amdhsa_reserve_vcc 1
		.amdhsa_reserve_flat_scratch 0
		.amdhsa_float_round_mode_32 0
		.amdhsa_float_round_mode_16_64 0
		.amdhsa_float_denorm_mode_32 3
		.amdhsa_float_denorm_mode_16_64 3
		.amdhsa_dx10_clamp 1
		.amdhsa_ieee_mode 1
		.amdhsa_fp16_overflow 0
		.amdhsa_exception_fp_ieee_invalid_op 0
		.amdhsa_exception_fp_denorm_src 0
		.amdhsa_exception_fp_ieee_div_zero 0
		.amdhsa_exception_fp_ieee_overflow 0
		.amdhsa_exception_fp_ieee_underflow 0
		.amdhsa_exception_fp_ieee_inexact 0
		.amdhsa_exception_int_div_zero 0
	.end_amdhsa_kernel
	.section	.text._Z11rank_kernelIiLj4ELb0EL18RadixRankAlgorithm0ELj512ELj4ELj10EEvPKT_Pi,"axG",@progbits,_Z11rank_kernelIiLj4ELb0EL18RadixRankAlgorithm0ELj512ELj4ELj10EEvPKT_Pi,comdat
.Lfunc_end33:
	.size	_Z11rank_kernelIiLj4ELb0EL18RadixRankAlgorithm0ELj512ELj4ELj10EEvPKT_Pi, .Lfunc_end33-_Z11rank_kernelIiLj4ELb0EL18RadixRankAlgorithm0ELj512ELj4ELj10EEvPKT_Pi
                                        ; -- End function
	.set _Z11rank_kernelIiLj4ELb0EL18RadixRankAlgorithm0ELj512ELj4ELj10EEvPKT_Pi.num_vgpr, 29
	.set _Z11rank_kernelIiLj4ELb0EL18RadixRankAlgorithm0ELj512ELj4ELj10EEvPKT_Pi.num_agpr, 0
	.set _Z11rank_kernelIiLj4ELb0EL18RadixRankAlgorithm0ELj512ELj4ELj10EEvPKT_Pi.numbered_sgpr, 37
	.set _Z11rank_kernelIiLj4ELb0EL18RadixRankAlgorithm0ELj512ELj4ELj10EEvPKT_Pi.num_named_barrier, 0
	.set _Z11rank_kernelIiLj4ELb0EL18RadixRankAlgorithm0ELj512ELj4ELj10EEvPKT_Pi.private_seg_size, 0
	.set _Z11rank_kernelIiLj4ELb0EL18RadixRankAlgorithm0ELj512ELj4ELj10EEvPKT_Pi.uses_vcc, 1
	.set _Z11rank_kernelIiLj4ELb0EL18RadixRankAlgorithm0ELj512ELj4ELj10EEvPKT_Pi.uses_flat_scratch, 0
	.set _Z11rank_kernelIiLj4ELb0EL18RadixRankAlgorithm0ELj512ELj4ELj10EEvPKT_Pi.has_dyn_sized_stack, 0
	.set _Z11rank_kernelIiLj4ELb0EL18RadixRankAlgorithm0ELj512ELj4ELj10EEvPKT_Pi.has_recursion, 0
	.set _Z11rank_kernelIiLj4ELb0EL18RadixRankAlgorithm0ELj512ELj4ELj10EEvPKT_Pi.has_indirect_call, 0
	.section	.AMDGPU.csdata,"",@progbits
; Kernel info:
; codeLenInByte = 1200
; TotalNumSgprs: 41
; NumVgprs: 29
; ScratchSize: 0
; MemoryBound: 0
; FloatMode: 240
; IeeeMode: 1
; LDSByteSize: 16416 bytes/workgroup (compile time only)
; SGPRBlocks: 12
; VGPRBlocks: 9
; NumSGPRsForWavesPerEU: 97
; NumVGPRsForWavesPerEU: 37
; Occupancy: 6
; WaveLimiterHint : 0
; COMPUTE_PGM_RSRC2:SCRATCH_EN: 0
; COMPUTE_PGM_RSRC2:USER_SGPR: 6
; COMPUTE_PGM_RSRC2:TRAP_HANDLER: 0
; COMPUTE_PGM_RSRC2:TGID_X_EN: 1
; COMPUTE_PGM_RSRC2:TGID_Y_EN: 0
; COMPUTE_PGM_RSRC2:TGID_Z_EN: 0
; COMPUTE_PGM_RSRC2:TIDIG_COMP_CNT: 0
	.section	.text._Z11rank_kernelIiLj4ELb0EL18RadixRankAlgorithm1ELj512ELj4ELj10EEvPKT_Pi,"axG",@progbits,_Z11rank_kernelIiLj4ELb0EL18RadixRankAlgorithm1ELj512ELj4ELj10EEvPKT_Pi,comdat
	.protected	_Z11rank_kernelIiLj4ELb0EL18RadixRankAlgorithm1ELj512ELj4ELj10EEvPKT_Pi ; -- Begin function _Z11rank_kernelIiLj4ELb0EL18RadixRankAlgorithm1ELj512ELj4ELj10EEvPKT_Pi
	.globl	_Z11rank_kernelIiLj4ELb0EL18RadixRankAlgorithm1ELj512ELj4ELj10EEvPKT_Pi
	.p2align	8
	.type	_Z11rank_kernelIiLj4ELb0EL18RadixRankAlgorithm1ELj512ELj4ELj10EEvPKT_Pi,@function
_Z11rank_kernelIiLj4ELb0EL18RadixRankAlgorithm1ELj512ELj4ELj10EEvPKT_Pi: ; @_Z11rank_kernelIiLj4ELb0EL18RadixRankAlgorithm1ELj512ELj4ELj10EEvPKT_Pi
; %bb.0:
	s_load_dwordx4 s[24:27], s[4:5], 0x0
	s_lshl_b32 s30, s6, 11
	s_mov_b32 s31, 0
	s_lshl_b64 s[28:29], s[30:31], 2
	v_lshlrev_b32_e32 v1, 4, v0
	s_waitcnt lgkmcnt(0)
	s_add_u32 s0, s24, s28
	s_addc_u32 s1, s25, s29
	global_load_dwordx4 v[1:4], v1, s[0:1]
	v_mbcnt_lo_u32_b32 v5, -1, 0
	v_mbcnt_hi_u32_b32 v5, -1, v5
	v_or_b32_e32 v6, 63, v0
	v_cmp_eq_u32_e64 s[4:5], v0, v6
	v_subrev_co_u32_e64 v6, s[6:7], 1, v5
	v_and_b32_e32 v16, 64, v5
	v_lshrrev_b32_e32 v7, 4, v0
	v_cmp_lt_i32_e64 s[18:19], v6, v16
	v_lshlrev_b32_e32 v11, 5, v0
	v_mul_i32_i24_e32 v8, 0xffffffe4, v0
	v_and_b32_e32 v14, 15, v5
	v_and_b32_e32 v15, 16, v5
	v_cmp_lt_u32_e64 s[2:3], 31, v5
	v_and_b32_e32 v13, 28, v7
	v_and_b32_e32 v7, 7, v5
	v_cndmask_b32_e64 v5, v6, v5, s[18:19]
	v_mov_b32_e32 v9, 0
	s_movk_i32 s30, 0xdff
	s_movk_i32 s33, 0xe00
	v_lshlrev_b32_e32 v10, 2, v0
	v_cmp_gt_u32_e32 vcc, 8, v0
	v_cmp_lt_u32_e64 s[0:1], 63, v0
	v_or_b32_e32 v12, 0xfffffe00, v0
	v_cmp_eq_u32_e64 s[8:9], 0, v14
	v_cmp_lt_u32_e64 s[10:11], 1, v14
	v_cmp_lt_u32_e64 s[12:13], 3, v14
	;; [unrolled: 1-line block ×3, first 2 shown]
	v_cmp_eq_u32_e64 s[16:17], 0, v15
	v_cmp_eq_u32_e64 s[18:19], 0, v7
	v_cmp_lt_u32_e64 s[20:21], 1, v7
	v_cmp_lt_u32_e64 s[22:23], 3, v7
	v_lshlrev_b32_e32 v14, 2, v5
	v_add_u32_e32 v19, v11, v8
	s_waitcnt vmcnt(0)
	v_xor_b32_e32 v15, 0x80000000, v1
	v_xor_b32_e32 v16, 0x80000000, v2
	;; [unrolled: 1-line block ×4, first 2 shown]
	s_branch .LBB34_2
.LBB34_1:                               ;   in Loop: Header=BB34_2 Depth=1
	s_add_i32 s31, s31, 1
	s_cmp_eq_u32 s31, 10
	s_cbranch_scc1 .LBB34_12
.LBB34_2:                               ; =>This Loop Header: Depth=1
                                        ;     Child Loop BB34_4 Depth 2
                                        ;       Child Loop BB34_5 Depth 3
	s_mov_b32 s36, 0
	s_branch .LBB34_4
.LBB34_3:                               ;   in Loop: Header=BB34_4 Depth=2
	s_or_b64 exec, exec, s[24:25]
	s_waitcnt lgkmcnt(0)
	v_add_u32_e32 v4, v28, v4
	ds_bpermute_b32 v4, v14, v4
	ds_read_b32 v29, v9 offset:16412
	s_add_i32 s24, s36, 4
	s_cmp_lt_u32 s36, 28
	s_mov_b32 s36, s24
	s_waitcnt lgkmcnt(1)
	v_cndmask_b32_e64 v4, v4, v28, s[6:7]
	s_waitcnt lgkmcnt(0)
	v_lshl_add_u32 v4, v29, 16, v4
	v_add_u32_e32 v5, v4, v5
	v_add_u32_e32 v6, v5, v6
	;; [unrolled: 1-line block ×7, first 2 shown]
	ds_write2_b64 v11, v[4:5], v[6:7] offset1:1
	ds_write2_b64 v11, v[28:29], v[1:2] offset0:2 offset1:3
	s_waitcnt lgkmcnt(0)
	s_barrier
	s_cbranch_scc0 .LBB34_1
.LBB34_4:                               ;   Parent Loop BB34_2 Depth=1
                                        ; =>  This Loop Header: Depth=2
                                        ;       Child Loop BB34_5 Depth 3
	s_mov_b64 s[34:35], 0
	v_mov_b32_e32 v1, v12
	v_mov_b32_e32 v2, v10
.LBB34_5:                               ;   Parent Loop BB34_2 Depth=1
                                        ;     Parent Loop BB34_4 Depth=2
                                        ; =>    This Inner Loop Header: Depth=3
	v_add_u32_e32 v1, 0x200, v1
	v_cmp_lt_u32_e64 s[24:25], s30, v1
	ds_write_b32 v2, v9
	s_or_b64 s[34:35], s[24:25], s[34:35]
	v_add_u32_e32 v2, 0x800, v2
	s_andn2_b64 exec, exec, s[34:35]
	s_cbranch_execnz .LBB34_5
; %bb.6:                                ;   in Loop: Header=BB34_4 Depth=2
	s_or_b64 exec, exec, s[34:35]
	s_sub_i32 s24, 28, s36
	v_lshlrev_b32_e32 v1, s24, v15
	v_lshrrev_b32_e32 v2, 19, v1
	v_and_or_b32 v2, v2, s33, v0
	v_alignbit_b32 v1, v2, v1, 31
	v_lshlrev_b32_e32 v21, 1, v1
	ds_read_u16 v20, v21
	v_lshlrev_b32_e32 v1, s24, v16
	v_lshrrev_b32_e32 v2, 19, v1
	v_and_or_b32 v2, v2, s33, v0
	v_alignbit_b32 v1, v2, v1, 31
	s_waitcnt lgkmcnt(0)
	v_add_u16_e32 v2, 1, v20
	ds_write_b16 v21, v2
	v_lshlrev_b32_e32 v23, 1, v1
	ds_read_u16 v22, v23
	v_lshlrev_b32_e32 v1, s24, v17
	v_lshrrev_b32_e32 v2, 19, v1
	v_and_or_b32 v2, v2, s33, v0
	v_alignbit_b32 v1, v2, v1, 31
	s_waitcnt lgkmcnt(0)
	v_add_u16_e32 v3, 1, v22
	ds_write_b16 v23, v3
	;; [unrolled: 9-line block ×3, first 2 shown]
	v_lshlrev_b32_e32 v27, 1, v1
	ds_read_u16 v26, v27
	s_waitcnt lgkmcnt(0)
	v_add_u16_e32 v1, 1, v26
	ds_write_b16 v27, v1
	s_waitcnt lgkmcnt(0)
	s_barrier
	ds_read2_b64 v[5:8], v11 offset1:1
	ds_read2_b64 v[1:4], v11 offset0:2 offset1:3
	s_waitcnt lgkmcnt(1)
	v_add_u32_e32 v28, v6, v5
	v_add3_u32 v28, v28, v7, v8
	s_waitcnt lgkmcnt(0)
	v_add3_u32 v28, v28, v1, v2
	v_add3_u32 v4, v28, v3, v4
	s_nop 1
	v_mov_b32_dpp v28, v4 row_shr:1 row_mask:0xf bank_mask:0xf
	v_cndmask_b32_e64 v28, v28, 0, s[8:9]
	v_add_u32_e32 v4, v28, v4
	s_nop 1
	v_mov_b32_dpp v28, v4 row_shr:2 row_mask:0xf bank_mask:0xf
	v_cndmask_b32_e64 v28, 0, v28, s[10:11]
	v_add_u32_e32 v4, v4, v28
	;; [unrolled: 4-line block ×4, first 2 shown]
	s_nop 1
	v_mov_b32_dpp v28, v4 row_bcast:15 row_mask:0xf bank_mask:0xf
	v_cndmask_b32_e64 v28, v28, 0, s[16:17]
	v_add_u32_e32 v4, v4, v28
	s_nop 1
	v_mov_b32_dpp v28, v4 row_bcast:31 row_mask:0xf bank_mask:0xf
	v_cndmask_b32_e64 v28, 0, v28, s[2:3]
	v_add_u32_e32 v4, v4, v28
	s_and_saveexec_b64 s[24:25], s[4:5]
; %bb.7:                                ;   in Loop: Header=BB34_4 Depth=2
	ds_write_b32 v13, v4 offset:16384
; %bb.8:                                ;   in Loop: Header=BB34_4 Depth=2
	s_or_b64 exec, exec, s[24:25]
	s_waitcnt lgkmcnt(0)
	s_barrier
	s_and_saveexec_b64 s[24:25], vcc
	s_cbranch_execz .LBB34_10
; %bb.9:                                ;   in Loop: Header=BB34_4 Depth=2
	ds_read_b32 v28, v19 offset:16384
	s_waitcnt lgkmcnt(0)
	s_nop 0
	v_mov_b32_dpp v29, v28 row_shr:1 row_mask:0xf bank_mask:0xf
	v_cndmask_b32_e64 v29, v29, 0, s[18:19]
	v_add_u32_e32 v28, v29, v28
	s_nop 1
	v_mov_b32_dpp v29, v28 row_shr:2 row_mask:0xf bank_mask:0xf
	v_cndmask_b32_e64 v29, 0, v29, s[20:21]
	v_add_u32_e32 v28, v28, v29
	;; [unrolled: 4-line block ×3, first 2 shown]
	ds_write_b32 v19, v28 offset:16384
.LBB34_10:                              ;   in Loop: Header=BB34_4 Depth=2
	s_or_b64 exec, exec, s[24:25]
	v_mov_b32_e32 v28, 0
	s_waitcnt lgkmcnt(0)
	s_barrier
	s_and_saveexec_b64 s[24:25], s[0:1]
	s_cbranch_execz .LBB34_3
; %bb.11:                               ;   in Loop: Header=BB34_4 Depth=2
	ds_read_b32 v28, v13 offset:16380
	s_branch .LBB34_3
.LBB34_12:
	ds_read_u16 v0, v21
	ds_read_u16 v1, v23
	;; [unrolled: 1-line block ×4, first 2 shown]
	s_add_u32 s0, s26, s28
	s_waitcnt lgkmcnt(3)
	v_add_u32_sdwa v0, v0, v20 dst_sel:DWORD dst_unused:UNUSED_PAD src0_sel:DWORD src1_sel:WORD_0
	s_waitcnt lgkmcnt(2)
	v_add_u32_sdwa v1, v1, v22 dst_sel:DWORD dst_unused:UNUSED_PAD src0_sel:DWORD src1_sel:WORD_0
	;; [unrolled: 2-line block ×4, first 2 shown]
	s_addc_u32 s1, s27, s29
	v_lshlrev_b32_e32 v4, 2, v10
	global_store_dwordx4 v4, v[0:3], s[0:1]
	s_endpgm
	.section	.rodata,"a",@progbits
	.p2align	6, 0x0
	.amdhsa_kernel _Z11rank_kernelIiLj4ELb0EL18RadixRankAlgorithm1ELj512ELj4ELj10EEvPKT_Pi
		.amdhsa_group_segment_fixed_size 16416
		.amdhsa_private_segment_fixed_size 0
		.amdhsa_kernarg_size 16
		.amdhsa_user_sgpr_count 6
		.amdhsa_user_sgpr_private_segment_buffer 1
		.amdhsa_user_sgpr_dispatch_ptr 0
		.amdhsa_user_sgpr_queue_ptr 0
		.amdhsa_user_sgpr_kernarg_segment_ptr 1
		.amdhsa_user_sgpr_dispatch_id 0
		.amdhsa_user_sgpr_flat_scratch_init 0
		.amdhsa_user_sgpr_private_segment_size 0
		.amdhsa_uses_dynamic_stack 0
		.amdhsa_system_sgpr_private_segment_wavefront_offset 0
		.amdhsa_system_sgpr_workgroup_id_x 1
		.amdhsa_system_sgpr_workgroup_id_y 0
		.amdhsa_system_sgpr_workgroup_id_z 0
		.amdhsa_system_sgpr_workgroup_info 0
		.amdhsa_system_vgpr_workitem_id 0
		.amdhsa_next_free_vgpr 37
		.amdhsa_next_free_sgpr 93
		.amdhsa_reserve_vcc 1
		.amdhsa_reserve_flat_scratch 0
		.amdhsa_float_round_mode_32 0
		.amdhsa_float_round_mode_16_64 0
		.amdhsa_float_denorm_mode_32 3
		.amdhsa_float_denorm_mode_16_64 3
		.amdhsa_dx10_clamp 1
		.amdhsa_ieee_mode 1
		.amdhsa_fp16_overflow 0
		.amdhsa_exception_fp_ieee_invalid_op 0
		.amdhsa_exception_fp_denorm_src 0
		.amdhsa_exception_fp_ieee_div_zero 0
		.amdhsa_exception_fp_ieee_overflow 0
		.amdhsa_exception_fp_ieee_underflow 0
		.amdhsa_exception_fp_ieee_inexact 0
		.amdhsa_exception_int_div_zero 0
	.end_amdhsa_kernel
	.section	.text._Z11rank_kernelIiLj4ELb0EL18RadixRankAlgorithm1ELj512ELj4ELj10EEvPKT_Pi,"axG",@progbits,_Z11rank_kernelIiLj4ELb0EL18RadixRankAlgorithm1ELj512ELj4ELj10EEvPKT_Pi,comdat
.Lfunc_end34:
	.size	_Z11rank_kernelIiLj4ELb0EL18RadixRankAlgorithm1ELj512ELj4ELj10EEvPKT_Pi, .Lfunc_end34-_Z11rank_kernelIiLj4ELb0EL18RadixRankAlgorithm1ELj512ELj4ELj10EEvPKT_Pi
                                        ; -- End function
	.set _Z11rank_kernelIiLj4ELb0EL18RadixRankAlgorithm1ELj512ELj4ELj10EEvPKT_Pi.num_vgpr, 30
	.set _Z11rank_kernelIiLj4ELb0EL18RadixRankAlgorithm1ELj512ELj4ELj10EEvPKT_Pi.num_agpr, 0
	.set _Z11rank_kernelIiLj4ELb0EL18RadixRankAlgorithm1ELj512ELj4ELj10EEvPKT_Pi.numbered_sgpr, 37
	.set _Z11rank_kernelIiLj4ELb0EL18RadixRankAlgorithm1ELj512ELj4ELj10EEvPKT_Pi.num_named_barrier, 0
	.set _Z11rank_kernelIiLj4ELb0EL18RadixRankAlgorithm1ELj512ELj4ELj10EEvPKT_Pi.private_seg_size, 0
	.set _Z11rank_kernelIiLj4ELb0EL18RadixRankAlgorithm1ELj512ELj4ELj10EEvPKT_Pi.uses_vcc, 1
	.set _Z11rank_kernelIiLj4ELb0EL18RadixRankAlgorithm1ELj512ELj4ELj10EEvPKT_Pi.uses_flat_scratch, 0
	.set _Z11rank_kernelIiLj4ELb0EL18RadixRankAlgorithm1ELj512ELj4ELj10EEvPKT_Pi.has_dyn_sized_stack, 0
	.set _Z11rank_kernelIiLj4ELb0EL18RadixRankAlgorithm1ELj512ELj4ELj10EEvPKT_Pi.has_recursion, 0
	.set _Z11rank_kernelIiLj4ELb0EL18RadixRankAlgorithm1ELj512ELj4ELj10EEvPKT_Pi.has_indirect_call, 0
	.section	.AMDGPU.csdata,"",@progbits
; Kernel info:
; codeLenInByte = 1168
; TotalNumSgprs: 41
; NumVgprs: 30
; ScratchSize: 0
; MemoryBound: 0
; FloatMode: 240
; IeeeMode: 1
; LDSByteSize: 16416 bytes/workgroup (compile time only)
; SGPRBlocks: 12
; VGPRBlocks: 9
; NumSGPRsForWavesPerEU: 97
; NumVGPRsForWavesPerEU: 37
; Occupancy: 6
; WaveLimiterHint : 0
; COMPUTE_PGM_RSRC2:SCRATCH_EN: 0
; COMPUTE_PGM_RSRC2:USER_SGPR: 6
; COMPUTE_PGM_RSRC2:TRAP_HANDLER: 0
; COMPUTE_PGM_RSRC2:TGID_X_EN: 1
; COMPUTE_PGM_RSRC2:TGID_Y_EN: 0
; COMPUTE_PGM_RSRC2:TGID_Z_EN: 0
; COMPUTE_PGM_RSRC2:TIDIG_COMP_CNT: 0
	.section	.text._Z11rank_kernelIiLj4ELb0EL18RadixRankAlgorithm2ELj512ELj4ELj10EEvPKT_Pi,"axG",@progbits,_Z11rank_kernelIiLj4ELb0EL18RadixRankAlgorithm2ELj512ELj4ELj10EEvPKT_Pi,comdat
	.protected	_Z11rank_kernelIiLj4ELb0EL18RadixRankAlgorithm2ELj512ELj4ELj10EEvPKT_Pi ; -- Begin function _Z11rank_kernelIiLj4ELb0EL18RadixRankAlgorithm2ELj512ELj4ELj10EEvPKT_Pi
	.globl	_Z11rank_kernelIiLj4ELb0EL18RadixRankAlgorithm2ELj512ELj4ELj10EEvPKT_Pi
	.p2align	8
	.type	_Z11rank_kernelIiLj4ELb0EL18RadixRankAlgorithm2ELj512ELj4ELj10EEvPKT_Pi,@function
_Z11rank_kernelIiLj4ELb0EL18RadixRankAlgorithm2ELj512ELj4ELj10EEvPKT_Pi: ; @_Z11rank_kernelIiLj4ELb0EL18RadixRankAlgorithm2ELj512ELj4ELj10EEvPKT_Pi
; %bb.0:
	s_load_dwordx4 s[28:31], s[4:5], 0x0
	s_load_dword s22, s[4:5], 0x1c
	s_lshl_b32 s36, s6, 11
	s_mov_b32 s37, 0
	s_lshl_b64 s[34:35], s[36:37], 2
	s_waitcnt lgkmcnt(0)
	s_add_u32 s0, s28, s34
	s_addc_u32 s1, s29, s35
	v_lshlrev_b32_e32 v3, 4, v0
	global_load_dwordx4 v[9:12], v3, s[0:1]
	s_lshr_b32 s23, s22, 16
	v_or_b32_e32 v6, 63, v0
	s_and_b32 s22, s22, 0xffff
	v_mad_u32_u24 v1, v2, s23, v1
	v_mbcnt_lo_u32_b32 v4, -1, 0
	v_lshlrev_b32_e32 v5, 2, v0
	v_cmp_gt_u32_e32 vcc, 8, v0
	v_cmp_lt_u32_e64 s[0:1], 63, v0
	v_lshrrev_b32_e32 v7, 4, v0
	v_cmp_eq_u32_e64 s[4:5], v0, v6
	v_mad_u64_u32 v[0:1], s[22:23], v1, s22, v[0:1]
	v_mbcnt_hi_u32_b32 v4, -1, v4
	v_subrev_co_u32_e64 v14, s[6:7], 1, v4
	v_and_b32_e32 v15, 64, v4
	v_cmp_lt_i32_e64 s[18:19], v14, v15
	v_and_b32_e32 v8, 15, v4
	v_and_b32_e32 v13, 16, v4
	v_cmp_lt_u32_e64 s[2:3], 31, v4
	v_and_b32_e32 v6, 28, v7
	v_and_b32_e32 v7, 7, v4
	v_cndmask_b32_e64 v4, v14, v4, s[18:19]
	v_lshrrev_b32_e32 v0, 4, v0
	v_mov_b32_e32 v3, 0
	v_cmp_eq_u32_e64 s[8:9], 0, v8
	v_cmp_lt_u32_e64 s[10:11], 1, v8
	v_cmp_lt_u32_e64 s[12:13], 3, v8
	;; [unrolled: 1-line block ×3, first 2 shown]
	v_cmp_eq_u32_e64 s[16:17], 0, v13
	v_cmp_eq_u32_e64 s[18:19], 0, v7
	v_cmp_lt_u32_e64 s[20:21], 1, v7
	v_cmp_lt_u32_e64 s[22:23], 3, v7
	v_add_u32_e32 v7, -4, v6
	v_lshlrev_b32_e32 v8, 2, v4
	v_and_b32_e32 v2, 0xffffffc, v0
	s_waitcnt vmcnt(0)
	v_xor_b32_e32 v9, 0x80000000, v9
	v_xor_b32_e32 v10, 0x80000000, v10
	;; [unrolled: 1-line block ×4, first 2 shown]
	s_branch .LBB35_2
.LBB35_1:                               ;   in Loop: Header=BB35_2 Depth=1
	s_add_i32 s37, s37, 1
	s_cmp_eq_u32 s37, 10
	s_cbranch_scc1 .LBB35_18
.LBB35_2:                               ; =>This Loop Header: Depth=1
                                        ;     Child Loop BB35_4 Depth 2
	s_mov_b32 s28, -4
	s_mov_b32 s29, 28
	s_branch .LBB35_4
.LBB35_3:                               ;   in Loop: Header=BB35_4 Depth=2
	s_or_b64 exec, exec, s[24:25]
	s_waitcnt lgkmcnt(0)
	v_add_u32_e32 v0, v1, v0
	ds_bpermute_b32 v0, v8, v0
	s_add_i32 s29, s29, -4
	s_add_i32 s28, s28, 4
	s_cmp_lt_u32 s28, 28
	s_waitcnt lgkmcnt(0)
	v_cndmask_b32_e64 v0, v0, v1, s[6:7]
	ds_write_b32 v5, v0 offset:32
	s_waitcnt lgkmcnt(0)
	s_barrier
	s_cbranch_scc0 .LBB35_1
.LBB35_4:                               ;   Parent Loop BB35_2 Depth=1
                                        ; =>  This Inner Loop Header: Depth=2
	v_lshlrev_b32_e32 v0, s29, v9
	v_lshrrev_b32_e32 v0, 28, v0
	v_and_b32_e32 v1, 1, v0
	v_add_co_u32_e64 v4, s[24:25], -1, v1
	v_addc_co_u32_e64 v14, s[24:25], 0, -1, s[24:25]
	v_cmp_ne_u32_e64 s[24:25], 0, v1
	v_xor_b32_e32 v4, s24, v4
	v_xor_b32_e32 v1, s25, v14
	v_and_b32_e32 v14, exec_lo, v4
	v_lshlrev_b32_e32 v4, 30, v0
	v_cmp_gt_i64_e64 s[24:25], 0, v[3:4]
	v_not_b32_e32 v4, v4
	v_ashrrev_i32_e32 v4, 31, v4
	v_xor_b32_e32 v15, s25, v4
	v_xor_b32_e32 v4, s24, v4
	v_and_b32_e32 v14, v14, v4
	v_lshlrev_b32_e32 v4, 29, v0
	v_cmp_gt_i64_e64 s[24:25], 0, v[3:4]
	v_not_b32_e32 v4, v4
	v_and_b32_e32 v1, exec_hi, v1
	v_ashrrev_i32_e32 v4, 31, v4
	v_and_b32_e32 v1, v1, v15
	v_xor_b32_e32 v15, s25, v4
	v_xor_b32_e32 v4, s24, v4
	v_and_b32_e32 v14, v14, v4
	v_lshlrev_b32_e32 v4, 28, v0
	v_mul_u32_u24_e32 v13, 36, v0
	v_cmp_gt_i64_e64 s[24:25], 0, v[3:4]
	v_not_b32_e32 v0, v4
	v_ashrrev_i32_e32 v0, 31, v0
	v_xor_b32_e32 v4, s25, v0
	v_xor_b32_e32 v0, s24, v0
	v_and_b32_e32 v1, v1, v15
	v_and_b32_e32 v0, v14, v0
	;; [unrolled: 1-line block ×3, first 2 shown]
	v_mbcnt_lo_u32_b32 v4, v0, 0
	v_mbcnt_hi_u32_b32 v14, v1, v4
	v_cmp_ne_u64_e64 s[24:25], 0, v[0:1]
	v_cmp_eq_u32_e64 s[26:27], 0, v14
	s_and_b64 s[26:27], s[24:25], s[26:27]
	ds_write_b32 v5, v3 offset:32
	s_waitcnt lgkmcnt(0)
	s_barrier
	; wave barrier
	s_and_saveexec_b64 s[24:25], s[26:27]
; %bb.5:                                ;   in Loop: Header=BB35_4 Depth=2
	v_bcnt_u32_b32 v0, v0, 0
	v_bcnt_u32_b32 v0, v1, v0
	v_add_u32_e32 v1, v2, v13
	ds_write_b32 v1, v0 offset:32
; %bb.6:                                ;   in Loop: Header=BB35_4 Depth=2
	s_or_b64 exec, exec, s[24:25]
	v_lshlrev_b32_e32 v0, s29, v10
	v_lshrrev_b32_e32 v0, 28, v0
	v_mad_u32_u24 v1, v0, 36, v2
	; wave barrier
	ds_read_b32 v15, v1 offset:32
	v_and_b32_e32 v1, 1, v0
	v_add_co_u32_e64 v4, s[24:25], -1, v1
	v_addc_co_u32_e64 v17, s[24:25], 0, -1, s[24:25]
	v_cmp_ne_u32_e64 s[24:25], 0, v1
	v_xor_b32_e32 v4, s24, v4
	v_xor_b32_e32 v1, s25, v17
	v_and_b32_e32 v17, exec_lo, v4
	v_lshlrev_b32_e32 v4, 30, v0
	v_cmp_gt_i64_e64 s[24:25], 0, v[3:4]
	v_not_b32_e32 v4, v4
	v_ashrrev_i32_e32 v4, 31, v4
	v_xor_b32_e32 v18, s25, v4
	v_xor_b32_e32 v4, s24, v4
	v_and_b32_e32 v17, v17, v4
	v_lshlrev_b32_e32 v4, 29, v0
	v_cmp_gt_i64_e64 s[24:25], 0, v[3:4]
	v_not_b32_e32 v4, v4
	v_and_b32_e32 v1, exec_hi, v1
	v_ashrrev_i32_e32 v4, 31, v4
	v_and_b32_e32 v1, v1, v18
	v_xor_b32_e32 v18, s25, v4
	v_xor_b32_e32 v4, s24, v4
	v_and_b32_e32 v17, v17, v4
	v_lshlrev_b32_e32 v4, 28, v0
	v_mul_u32_u24_e32 v16, 36, v0
	v_cmp_gt_i64_e64 s[24:25], 0, v[3:4]
	v_not_b32_e32 v0, v4
	v_ashrrev_i32_e32 v0, 31, v0
	v_xor_b32_e32 v4, s25, v0
	v_xor_b32_e32 v0, s24, v0
	v_and_b32_e32 v1, v1, v18
	v_and_b32_e32 v0, v17, v0
	;; [unrolled: 1-line block ×3, first 2 shown]
	v_mbcnt_lo_u32_b32 v4, v0, 0
	v_mbcnt_hi_u32_b32 v17, v1, v4
	v_cmp_ne_u64_e64 s[24:25], 0, v[0:1]
	v_cmp_eq_u32_e64 s[26:27], 0, v17
	s_and_b64 s[26:27], s[24:25], s[26:27]
	; wave barrier
	s_and_saveexec_b64 s[24:25], s[26:27]
	s_cbranch_execz .LBB35_8
; %bb.7:                                ;   in Loop: Header=BB35_4 Depth=2
	v_bcnt_u32_b32 v0, v0, 0
	v_bcnt_u32_b32 v0, v1, v0
	s_waitcnt lgkmcnt(0)
	v_add_u32_e32 v0, v15, v0
	v_add_u32_e32 v1, v2, v16
	ds_write_b32 v1, v0 offset:32
.LBB35_8:                               ;   in Loop: Header=BB35_4 Depth=2
	s_or_b64 exec, exec, s[24:25]
	v_lshlrev_b32_e32 v0, s29, v11
	v_lshrrev_b32_e32 v0, 28, v0
	v_mad_u32_u24 v1, v0, 36, v2
	; wave barrier
	ds_read_b32 v18, v1 offset:32
	v_and_b32_e32 v1, 1, v0
	v_add_co_u32_e64 v4, s[24:25], -1, v1
	v_addc_co_u32_e64 v20, s[24:25], 0, -1, s[24:25]
	v_cmp_ne_u32_e64 s[24:25], 0, v1
	v_xor_b32_e32 v4, s24, v4
	v_xor_b32_e32 v1, s25, v20
	v_and_b32_e32 v20, exec_lo, v4
	v_lshlrev_b32_e32 v4, 30, v0
	v_cmp_gt_i64_e64 s[24:25], 0, v[3:4]
	v_not_b32_e32 v4, v4
	v_ashrrev_i32_e32 v4, 31, v4
	v_xor_b32_e32 v21, s25, v4
	v_xor_b32_e32 v4, s24, v4
	v_and_b32_e32 v20, v20, v4
	v_lshlrev_b32_e32 v4, 29, v0
	v_cmp_gt_i64_e64 s[24:25], 0, v[3:4]
	v_not_b32_e32 v4, v4
	v_and_b32_e32 v1, exec_hi, v1
	v_ashrrev_i32_e32 v4, 31, v4
	v_and_b32_e32 v1, v1, v21
	v_xor_b32_e32 v21, s25, v4
	v_xor_b32_e32 v4, s24, v4
	v_and_b32_e32 v20, v20, v4
	v_lshlrev_b32_e32 v4, 28, v0
	v_mul_u32_u24_e32 v19, 36, v0
	v_cmp_gt_i64_e64 s[24:25], 0, v[3:4]
	v_not_b32_e32 v0, v4
	v_ashrrev_i32_e32 v0, 31, v0
	v_xor_b32_e32 v4, s25, v0
	v_xor_b32_e32 v0, s24, v0
	v_and_b32_e32 v1, v1, v21
	v_and_b32_e32 v0, v20, v0
	;; [unrolled: 1-line block ×3, first 2 shown]
	v_mbcnt_lo_u32_b32 v4, v0, 0
	v_mbcnt_hi_u32_b32 v20, v1, v4
	v_cmp_ne_u64_e64 s[24:25], 0, v[0:1]
	v_cmp_eq_u32_e64 s[26:27], 0, v20
	s_and_b64 s[26:27], s[24:25], s[26:27]
	; wave barrier
	s_and_saveexec_b64 s[24:25], s[26:27]
	s_cbranch_execz .LBB35_10
; %bb.9:                                ;   in Loop: Header=BB35_4 Depth=2
	v_bcnt_u32_b32 v0, v0, 0
	v_bcnt_u32_b32 v0, v1, v0
	s_waitcnt lgkmcnt(0)
	v_add_u32_e32 v0, v18, v0
	v_add_u32_e32 v1, v2, v19
	ds_write_b32 v1, v0 offset:32
.LBB35_10:                              ;   in Loop: Header=BB35_4 Depth=2
	s_or_b64 exec, exec, s[24:25]
	v_lshlrev_b32_e32 v0, s29, v12
	v_lshrrev_b32_e32 v0, 28, v0
	v_mad_u32_u24 v1, v0, 36, v2
	; wave barrier
	ds_read_b32 v21, v1 offset:32
	v_and_b32_e32 v1, 1, v0
	v_add_co_u32_e64 v4, s[24:25], -1, v1
	v_addc_co_u32_e64 v23, s[24:25], 0, -1, s[24:25]
	v_cmp_ne_u32_e64 s[24:25], 0, v1
	v_xor_b32_e32 v4, s24, v4
	v_xor_b32_e32 v1, s25, v23
	v_and_b32_e32 v23, exec_lo, v4
	v_lshlrev_b32_e32 v4, 30, v0
	v_cmp_gt_i64_e64 s[24:25], 0, v[3:4]
	v_not_b32_e32 v4, v4
	v_ashrrev_i32_e32 v4, 31, v4
	v_xor_b32_e32 v24, s25, v4
	v_xor_b32_e32 v4, s24, v4
	v_and_b32_e32 v23, v23, v4
	v_lshlrev_b32_e32 v4, 29, v0
	v_cmp_gt_i64_e64 s[24:25], 0, v[3:4]
	v_not_b32_e32 v4, v4
	v_and_b32_e32 v1, exec_hi, v1
	v_ashrrev_i32_e32 v4, 31, v4
	v_and_b32_e32 v1, v1, v24
	v_xor_b32_e32 v24, s25, v4
	v_xor_b32_e32 v4, s24, v4
	v_and_b32_e32 v23, v23, v4
	v_lshlrev_b32_e32 v4, 28, v0
	v_mul_u32_u24_e32 v22, 36, v0
	v_cmp_gt_i64_e64 s[24:25], 0, v[3:4]
	v_not_b32_e32 v0, v4
	v_ashrrev_i32_e32 v0, 31, v0
	v_xor_b32_e32 v4, s25, v0
	v_xor_b32_e32 v0, s24, v0
	v_and_b32_e32 v1, v1, v24
	v_and_b32_e32 v0, v23, v0
	;; [unrolled: 1-line block ×3, first 2 shown]
	v_mbcnt_lo_u32_b32 v4, v0, 0
	v_mbcnt_hi_u32_b32 v4, v1, v4
	v_cmp_ne_u64_e64 s[24:25], 0, v[0:1]
	v_cmp_eq_u32_e64 s[26:27], 0, v4
	s_and_b64 s[26:27], s[24:25], s[26:27]
	; wave barrier
	s_and_saveexec_b64 s[24:25], s[26:27]
	s_cbranch_execz .LBB35_12
; %bb.11:                               ;   in Loop: Header=BB35_4 Depth=2
	v_bcnt_u32_b32 v0, v0, 0
	v_bcnt_u32_b32 v0, v1, v0
	s_waitcnt lgkmcnt(0)
	v_add_u32_e32 v0, v21, v0
	v_add_u32_e32 v1, v2, v22
	ds_write_b32 v1, v0 offset:32
.LBB35_12:                              ;   in Loop: Header=BB35_4 Depth=2
	s_or_b64 exec, exec, s[24:25]
	; wave barrier
	s_waitcnt lgkmcnt(0)
	s_barrier
	ds_read_b32 v0, v5 offset:32
	s_waitcnt lgkmcnt(0)
	s_nop 0
	v_mov_b32_dpp v1, v0 row_shr:1 row_mask:0xf bank_mask:0xf
	v_cndmask_b32_e64 v1, v1, 0, s[8:9]
	v_add_u32_e32 v0, v1, v0
	s_nop 1
	v_mov_b32_dpp v1, v0 row_shr:2 row_mask:0xf bank_mask:0xf
	v_cndmask_b32_e64 v1, 0, v1, s[10:11]
	v_add_u32_e32 v0, v0, v1
	;; [unrolled: 4-line block ×4, first 2 shown]
	s_nop 1
	v_mov_b32_dpp v1, v0 row_bcast:15 row_mask:0xf bank_mask:0xf
	v_cndmask_b32_e64 v1, v1, 0, s[16:17]
	v_add_u32_e32 v0, v0, v1
	s_nop 1
	v_mov_b32_dpp v1, v0 row_bcast:31 row_mask:0xf bank_mask:0xf
	v_cndmask_b32_e64 v1, 0, v1, s[2:3]
	v_add_u32_e32 v0, v0, v1
	s_and_saveexec_b64 s[24:25], s[4:5]
; %bb.13:                               ;   in Loop: Header=BB35_4 Depth=2
	ds_write_b32 v6, v0
; %bb.14:                               ;   in Loop: Header=BB35_4 Depth=2
	s_or_b64 exec, exec, s[24:25]
	s_waitcnt lgkmcnt(0)
	s_barrier
	s_and_saveexec_b64 s[24:25], vcc
	s_cbranch_execz .LBB35_16
; %bb.15:                               ;   in Loop: Header=BB35_4 Depth=2
	ds_read_b32 v1, v5
	s_waitcnt lgkmcnt(0)
	s_nop 0
	v_mov_b32_dpp v23, v1 row_shr:1 row_mask:0xf bank_mask:0xf
	v_cndmask_b32_e64 v23, v23, 0, s[18:19]
	v_add_u32_e32 v1, v23, v1
	s_nop 1
	v_mov_b32_dpp v23, v1 row_shr:2 row_mask:0xf bank_mask:0xf
	v_cndmask_b32_e64 v23, 0, v23, s[20:21]
	v_add_u32_e32 v1, v1, v23
	;; [unrolled: 4-line block ×3, first 2 shown]
	ds_write_b32 v5, v1
.LBB35_16:                              ;   in Loop: Header=BB35_4 Depth=2
	s_or_b64 exec, exec, s[24:25]
	v_mov_b32_e32 v1, 0
	s_waitcnt lgkmcnt(0)
	s_barrier
	s_and_saveexec_b64 s[24:25], s[0:1]
	s_cbranch_execz .LBB35_3
; %bb.17:                               ;   in Loop: Header=BB35_4 Depth=2
	ds_read_b32 v1, v7
	s_branch .LBB35_3
.LBB35_18:
	v_add_u32_e32 v0, v2, v22
	v_add_u32_e32 v1, v2, v19
	;; [unrolled: 1-line block ×4, first 2 shown]
	ds_read_b32 v2, v2 offset:32
	ds_read_b32 v3, v3 offset:32
	;; [unrolled: 1-line block ×4, first 2 shown]
	s_add_u32 s0, s30, s34
	s_waitcnt lgkmcnt(3)
	v_add_u32_e32 v0, v2, v14
	s_waitcnt lgkmcnt(2)
	v_add3_u32 v1, v17, v15, v3
	s_waitcnt lgkmcnt(1)
	v_add3_u32 v2, v20, v18, v6
	;; [unrolled: 2-line block ×3, first 2 shown]
	s_addc_u32 s1, s31, s35
	v_lshlrev_b32_e32 v4, 2, v5
	global_store_dwordx4 v4, v[0:3], s[0:1]
	s_endpgm
	.section	.rodata,"a",@progbits
	.p2align	6, 0x0
	.amdhsa_kernel _Z11rank_kernelIiLj4ELb0EL18RadixRankAlgorithm2ELj512ELj4ELj10EEvPKT_Pi
		.amdhsa_group_segment_fixed_size 2080
		.amdhsa_private_segment_fixed_size 0
		.amdhsa_kernarg_size 272
		.amdhsa_user_sgpr_count 6
		.amdhsa_user_sgpr_private_segment_buffer 1
		.amdhsa_user_sgpr_dispatch_ptr 0
		.amdhsa_user_sgpr_queue_ptr 0
		.amdhsa_user_sgpr_kernarg_segment_ptr 1
		.amdhsa_user_sgpr_dispatch_id 0
		.amdhsa_user_sgpr_flat_scratch_init 0
		.amdhsa_user_sgpr_private_segment_size 0
		.amdhsa_uses_dynamic_stack 0
		.amdhsa_system_sgpr_private_segment_wavefront_offset 0
		.amdhsa_system_sgpr_workgroup_id_x 1
		.amdhsa_system_sgpr_workgroup_id_y 0
		.amdhsa_system_sgpr_workgroup_id_z 0
		.amdhsa_system_sgpr_workgroup_info 0
		.amdhsa_system_vgpr_workitem_id 2
		.amdhsa_next_free_vgpr 25
		.amdhsa_next_free_sgpr 38
		.amdhsa_reserve_vcc 1
		.amdhsa_reserve_flat_scratch 0
		.amdhsa_float_round_mode_32 0
		.amdhsa_float_round_mode_16_64 0
		.amdhsa_float_denorm_mode_32 3
		.amdhsa_float_denorm_mode_16_64 3
		.amdhsa_dx10_clamp 1
		.amdhsa_ieee_mode 1
		.amdhsa_fp16_overflow 0
		.amdhsa_exception_fp_ieee_invalid_op 0
		.amdhsa_exception_fp_denorm_src 0
		.amdhsa_exception_fp_ieee_div_zero 0
		.amdhsa_exception_fp_ieee_overflow 0
		.amdhsa_exception_fp_ieee_underflow 0
		.amdhsa_exception_fp_ieee_inexact 0
		.amdhsa_exception_int_div_zero 0
	.end_amdhsa_kernel
	.section	.text._Z11rank_kernelIiLj4ELb0EL18RadixRankAlgorithm2ELj512ELj4ELj10EEvPKT_Pi,"axG",@progbits,_Z11rank_kernelIiLj4ELb0EL18RadixRankAlgorithm2ELj512ELj4ELj10EEvPKT_Pi,comdat
.Lfunc_end35:
	.size	_Z11rank_kernelIiLj4ELb0EL18RadixRankAlgorithm2ELj512ELj4ELj10EEvPKT_Pi, .Lfunc_end35-_Z11rank_kernelIiLj4ELb0EL18RadixRankAlgorithm2ELj512ELj4ELj10EEvPKT_Pi
                                        ; -- End function
	.set _Z11rank_kernelIiLj4ELb0EL18RadixRankAlgorithm2ELj512ELj4ELj10EEvPKT_Pi.num_vgpr, 25
	.set _Z11rank_kernelIiLj4ELb0EL18RadixRankAlgorithm2ELj512ELj4ELj10EEvPKT_Pi.num_agpr, 0
	.set _Z11rank_kernelIiLj4ELb0EL18RadixRankAlgorithm2ELj512ELj4ELj10EEvPKT_Pi.numbered_sgpr, 38
	.set _Z11rank_kernelIiLj4ELb0EL18RadixRankAlgorithm2ELj512ELj4ELj10EEvPKT_Pi.num_named_barrier, 0
	.set _Z11rank_kernelIiLj4ELb0EL18RadixRankAlgorithm2ELj512ELj4ELj10EEvPKT_Pi.private_seg_size, 0
	.set _Z11rank_kernelIiLj4ELb0EL18RadixRankAlgorithm2ELj512ELj4ELj10EEvPKT_Pi.uses_vcc, 1
	.set _Z11rank_kernelIiLj4ELb0EL18RadixRankAlgorithm2ELj512ELj4ELj10EEvPKT_Pi.uses_flat_scratch, 0
	.set _Z11rank_kernelIiLj4ELb0EL18RadixRankAlgorithm2ELj512ELj4ELj10EEvPKT_Pi.has_dyn_sized_stack, 0
	.set _Z11rank_kernelIiLj4ELb0EL18RadixRankAlgorithm2ELj512ELj4ELj10EEvPKT_Pi.has_recursion, 0
	.set _Z11rank_kernelIiLj4ELb0EL18RadixRankAlgorithm2ELj512ELj4ELj10EEvPKT_Pi.has_indirect_call, 0
	.section	.AMDGPU.csdata,"",@progbits
; Kernel info:
; codeLenInByte = 1880
; TotalNumSgprs: 42
; NumVgprs: 25
; ScratchSize: 0
; MemoryBound: 0
; FloatMode: 240
; IeeeMode: 1
; LDSByteSize: 2080 bytes/workgroup (compile time only)
; SGPRBlocks: 5
; VGPRBlocks: 6
; NumSGPRsForWavesPerEU: 42
; NumVGPRsForWavesPerEU: 25
; Occupancy: 9
; WaveLimiterHint : 0
; COMPUTE_PGM_RSRC2:SCRATCH_EN: 0
; COMPUTE_PGM_RSRC2:USER_SGPR: 6
; COMPUTE_PGM_RSRC2:TRAP_HANDLER: 0
; COMPUTE_PGM_RSRC2:TGID_X_EN: 1
; COMPUTE_PGM_RSRC2:TGID_Y_EN: 0
; COMPUTE_PGM_RSRC2:TGID_Z_EN: 0
; COMPUTE_PGM_RSRC2:TIDIG_COMP_CNT: 2
	.section	.text._Z11rank_kernelIiLj4ELb0EL18RadixRankAlgorithm0ELj512ELj8ELj10EEvPKT_Pi,"axG",@progbits,_Z11rank_kernelIiLj4ELb0EL18RadixRankAlgorithm0ELj512ELj8ELj10EEvPKT_Pi,comdat
	.protected	_Z11rank_kernelIiLj4ELb0EL18RadixRankAlgorithm0ELj512ELj8ELj10EEvPKT_Pi ; -- Begin function _Z11rank_kernelIiLj4ELb0EL18RadixRankAlgorithm0ELj512ELj8ELj10EEvPKT_Pi
	.globl	_Z11rank_kernelIiLj4ELb0EL18RadixRankAlgorithm0ELj512ELj8ELj10EEvPKT_Pi
	.p2align	8
	.type	_Z11rank_kernelIiLj4ELb0EL18RadixRankAlgorithm0ELj512ELj8ELj10EEvPKT_Pi,@function
_Z11rank_kernelIiLj4ELb0EL18RadixRankAlgorithm0ELj512ELj8ELj10EEvPKT_Pi: ; @_Z11rank_kernelIiLj4ELb0EL18RadixRankAlgorithm0ELj512ELj8ELj10EEvPKT_Pi
; %bb.0:
	s_load_dwordx4 s[24:27], s[4:5], 0x0
	s_lshl_b32 s30, s6, 12
	s_mov_b32 s31, 0
	s_lshl_b64 s[28:29], s[30:31], 2
	v_lshlrev_b32_e32 v1, 5, v0
	s_waitcnt lgkmcnt(0)
	s_add_u32 s0, s24, s28
	s_addc_u32 s1, s25, s29
	global_load_dwordx4 v[8:11], v1, s[0:1]
	global_load_dwordx4 v[12:15], v1, s[0:1] offset:16
	v_mbcnt_lo_u32_b32 v4, -1, 0
	v_mbcnt_hi_u32_b32 v7, -1, v4
	v_subrev_co_u32_e64 v20, s[6:7], 1, v7
	v_and_b32_e32 v21, 64, v7
	v_or_b32_e32 v6, 63, v0
	v_lshrrev_b32_e32 v16, 4, v0
	v_cmp_lt_i32_e64 s[18:19], v20, v21
	v_mul_i32_i24_e32 v17, 0xffffffe4, v0
	v_and_b32_e32 v18, 15, v7
	v_and_b32_e32 v19, 16, v7
	v_cmp_lt_u32_e64 s[2:3], 31, v7
	v_cmp_eq_u32_e64 s[4:5], v0, v6
	v_and_b32_e32 v6, 28, v16
	v_and_b32_e32 v16, 7, v7
	v_cndmask_b32_e64 v7, v20, v7, s[18:19]
	v_mov_b32_e32 v2, 0
	s_movk_i32 s30, 0xdff
	s_movk_i32 s33, 0xe00
	v_lshlrev_b32_e32 v3, 3, v0
	v_cmp_gt_u32_e32 vcc, 8, v0
	v_cmp_lt_u32_e64 s[0:1], 63, v0
	v_lshlrev_b32_e32 v4, 2, v0
	v_or_b32_e32 v5, 0xfffffe00, v0
	v_cmp_eq_u32_e64 s[8:9], 0, v18
	v_cmp_lt_u32_e64 s[10:11], 1, v18
	v_cmp_lt_u32_e64 s[12:13], 3, v18
	;; [unrolled: 1-line block ×3, first 2 shown]
	v_cmp_eq_u32_e64 s[16:17], 0, v19
	v_cmp_eq_u32_e64 s[18:19], 0, v16
	v_cmp_lt_u32_e64 s[20:21], 1, v16
	v_cmp_lt_u32_e64 s[22:23], 3, v16
	v_lshlrev_b32_e32 v7, 2, v7
	v_add_u32_e32 v16, v1, v17
	s_waitcnt vmcnt(1)
	v_xor_b32_e32 v8, 0x80000000, v8
	v_xor_b32_e32 v9, 0x80000000, v9
	;; [unrolled: 1-line block ×4, first 2 shown]
	s_waitcnt vmcnt(0)
	v_xor_b32_e32 v12, 0x80000000, v12
	v_xor_b32_e32 v13, 0x80000000, v13
	;; [unrolled: 1-line block ×4, first 2 shown]
	s_branch .LBB36_2
.LBB36_1:                               ;   in Loop: Header=BB36_2 Depth=1
	s_add_i32 s31, s31, 1
	s_cmp_eq_u32 s31, 10
	s_cbranch_scc1 .LBB36_12
.LBB36_2:                               ; =>This Loop Header: Depth=1
                                        ;     Child Loop BB36_4 Depth 2
                                        ;       Child Loop BB36_5 Depth 3
	s_mov_b32 s36, 0
	s_branch .LBB36_4
.LBB36_3:                               ;   in Loop: Header=BB36_4 Depth=2
	s_or_b64 exec, exec, s[24:25]
	s_waitcnt lgkmcnt(0)
	v_add_u32_e32 v33, v34, v33
	ds_bpermute_b32 v33, v7, v33
	s_add_i32 s24, s36, 4
	s_cmp_lt_u32 s36, 28
	s_mov_b32 s36, s24
	s_waitcnt lgkmcnt(0)
	v_cndmask_b32_e64 v33, v33, v34, s[6:7]
	ds_read_b32 v34, v2 offset:16412
	s_waitcnt lgkmcnt(0)
	v_lshl_add_u32 v37, v34, 16, v33
	ds_read2_b64 v[33:36], v1 offset1:1
	s_waitcnt lgkmcnt(0)
	v_add_u32_e32 v38, v37, v33
	v_add_u32_e32 v33, v34, v38
	;; [unrolled: 1-line block ×3, first 2 shown]
	ds_write2_b64 v1, v[37:38], v[33:34] offset1:1
	v_add_u32_e32 v33, v36, v34
	ds_read_b64 v[34:35], v1 offset:16
	ds_read_b32 v36, v1 offset:24
	s_waitcnt lgkmcnt(1)
	v_add_u32_e32 v34, v34, v33
	v_add_u32_e32 v35, v35, v34
	s_waitcnt lgkmcnt(0)
	v_add_u32_e32 v36, v36, v35
	ds_write2_b64 v1, v[33:34], v[35:36] offset0:2 offset1:3
	s_waitcnt lgkmcnt(0)
	s_barrier
	s_cbranch_scc0 .LBB36_1
.LBB36_4:                               ;   Parent Loop BB36_2 Depth=1
                                        ; =>  This Loop Header: Depth=2
                                        ;       Child Loop BB36_5 Depth 3
	s_mov_b64 s[34:35], 0
	v_mov_b32_e32 v17, v5
	v_mov_b32_e32 v18, v4
.LBB36_5:                               ;   Parent Loop BB36_2 Depth=1
                                        ;     Parent Loop BB36_4 Depth=2
                                        ; =>    This Inner Loop Header: Depth=3
	v_add_u32_e32 v17, 0x200, v17
	v_cmp_lt_u32_e64 s[24:25], s30, v17
	ds_write_b32 v18, v2
	s_or_b64 s[34:35], s[24:25], s[34:35]
	v_add_u32_e32 v18, 0x800, v18
	s_andn2_b64 exec, exec, s[34:35]
	s_cbranch_execnz .LBB36_5
; %bb.6:                                ;   in Loop: Header=BB36_4 Depth=2
	s_or_b64 exec, exec, s[34:35]
	s_sub_i32 s24, 28, s36
	v_lshlrev_b32_e32 v17, s24, v8
	v_lshrrev_b32_e32 v18, 19, v17
	v_and_or_b32 v18, v18, s33, v0
	v_alignbit_b32 v17, v18, v17, 31
	v_lshlrev_b32_e32 v18, 1, v17
	ds_read_u16 v17, v18
	s_waitcnt lgkmcnt(0)
	v_add_u16_e32 v19, 1, v17
	ds_write_b16 v18, v19
	v_lshlrev_b32_e32 v19, s24, v9
	v_lshrrev_b32_e32 v20, 19, v19
	v_and_or_b32 v20, v20, s33, v0
	v_alignbit_b32 v19, v20, v19, 31
	v_lshlrev_b32_e32 v20, 1, v19
	ds_read_u16 v19, v20
	s_waitcnt lgkmcnt(0)
	v_add_u16_e32 v21, 1, v19
	ds_write_b16 v20, v21
	;; [unrolled: 9-line block ×8, first 2 shown]
	s_waitcnt lgkmcnt(0)
	s_barrier
	ds_read2_b64 v[33:36], v1 offset1:1
	s_waitcnt lgkmcnt(0)
	v_add_u32_e32 v33, v34, v33
	v_add3_u32 v37, v33, v35, v36
	ds_read2_b64 v[33:36], v1 offset0:2 offset1:3
	s_waitcnt lgkmcnt(0)
	v_add3_u32 v33, v37, v33, v34
	v_add3_u32 v33, v33, v35, v36
	s_nop 1
	v_mov_b32_dpp v34, v33 row_shr:1 row_mask:0xf bank_mask:0xf
	v_cndmask_b32_e64 v34, v34, 0, s[8:9]
	v_add_u32_e32 v33, v34, v33
	s_nop 1
	v_mov_b32_dpp v34, v33 row_shr:2 row_mask:0xf bank_mask:0xf
	v_cndmask_b32_e64 v34, 0, v34, s[10:11]
	v_add_u32_e32 v33, v33, v34
	;; [unrolled: 4-line block ×4, first 2 shown]
	s_nop 1
	v_mov_b32_dpp v34, v33 row_bcast:15 row_mask:0xf bank_mask:0xf
	v_cndmask_b32_e64 v34, v34, 0, s[16:17]
	v_add_u32_e32 v33, v33, v34
	s_nop 1
	v_mov_b32_dpp v34, v33 row_bcast:31 row_mask:0xf bank_mask:0xf
	v_cndmask_b32_e64 v34, 0, v34, s[2:3]
	v_add_u32_e32 v33, v33, v34
	s_and_saveexec_b64 s[24:25], s[4:5]
; %bb.7:                                ;   in Loop: Header=BB36_4 Depth=2
	ds_write_b32 v6, v33 offset:16384
; %bb.8:                                ;   in Loop: Header=BB36_4 Depth=2
	s_or_b64 exec, exec, s[24:25]
	s_waitcnt lgkmcnt(0)
	s_barrier
	s_and_saveexec_b64 s[24:25], vcc
	s_cbranch_execz .LBB36_10
; %bb.9:                                ;   in Loop: Header=BB36_4 Depth=2
	ds_read_b32 v34, v16 offset:16384
	s_waitcnt lgkmcnt(0)
	s_nop 0
	v_mov_b32_dpp v35, v34 row_shr:1 row_mask:0xf bank_mask:0xf
	v_cndmask_b32_e64 v35, v35, 0, s[18:19]
	v_add_u32_e32 v34, v35, v34
	s_nop 1
	v_mov_b32_dpp v35, v34 row_shr:2 row_mask:0xf bank_mask:0xf
	v_cndmask_b32_e64 v35, 0, v35, s[20:21]
	v_add_u32_e32 v34, v34, v35
	;; [unrolled: 4-line block ×3, first 2 shown]
	ds_write_b32 v16, v34 offset:16384
.LBB36_10:                              ;   in Loop: Header=BB36_4 Depth=2
	s_or_b64 exec, exec, s[24:25]
	v_mov_b32_e32 v34, 0
	s_waitcnt lgkmcnt(0)
	s_barrier
	s_and_saveexec_b64 s[24:25], s[0:1]
	s_cbranch_execz .LBB36_3
; %bb.11:                               ;   in Loop: Header=BB36_4 Depth=2
	ds_read_b32 v34, v6 offset:16380
	s_branch .LBB36_3
.LBB36_12:
	ds_read_u16 v0, v24
	ds_read_u16 v1, v22
	;; [unrolled: 1-line block ×8, first 2 shown]
	s_add_u32 s0, s26, s28
	s_waitcnt lgkmcnt(4)
	v_add_u32_sdwa v4, v4, v17 dst_sel:DWORD dst_unused:UNUSED_PAD src0_sel:DWORD src1_sel:WORD_0
	v_add_u32_sdwa v5, v2, v19 dst_sel:DWORD dst_unused:UNUSED_PAD src0_sel:DWORD src1_sel:WORD_0
	;; [unrolled: 1-line block ×4, first 2 shown]
	s_addc_u32 s1, s27, s29
	v_lshlrev_b32_e32 v0, 2, v3
	s_waitcnt lgkmcnt(0)
	v_add_u32_sdwa v8, v8, v25 dst_sel:DWORD dst_unused:UNUSED_PAD src0_sel:DWORD src1_sel:WORD_0
	v_add_u32_sdwa v9, v9, v27 dst_sel:DWORD dst_unused:UNUSED_PAD src0_sel:DWORD src1_sel:WORD_0
	;; [unrolled: 1-line block ×4, first 2 shown]
	global_store_dwordx4 v0, v[4:7], s[0:1]
	global_store_dwordx4 v0, v[8:11], s[0:1] offset:16
	s_endpgm
	.section	.rodata,"a",@progbits
	.p2align	6, 0x0
	.amdhsa_kernel _Z11rank_kernelIiLj4ELb0EL18RadixRankAlgorithm0ELj512ELj8ELj10EEvPKT_Pi
		.amdhsa_group_segment_fixed_size 16416
		.amdhsa_private_segment_fixed_size 0
		.amdhsa_kernarg_size 16
		.amdhsa_user_sgpr_count 6
		.amdhsa_user_sgpr_private_segment_buffer 1
		.amdhsa_user_sgpr_dispatch_ptr 0
		.amdhsa_user_sgpr_queue_ptr 0
		.amdhsa_user_sgpr_kernarg_segment_ptr 1
		.amdhsa_user_sgpr_dispatch_id 0
		.amdhsa_user_sgpr_flat_scratch_init 0
		.amdhsa_user_sgpr_private_segment_size 0
		.amdhsa_uses_dynamic_stack 0
		.amdhsa_system_sgpr_private_segment_wavefront_offset 0
		.amdhsa_system_sgpr_workgroup_id_x 1
		.amdhsa_system_sgpr_workgroup_id_y 0
		.amdhsa_system_sgpr_workgroup_id_z 0
		.amdhsa_system_sgpr_workgroup_info 0
		.amdhsa_system_vgpr_workitem_id 0
		.amdhsa_next_free_vgpr 39
		.amdhsa_next_free_sgpr 93
		.amdhsa_reserve_vcc 1
		.amdhsa_reserve_flat_scratch 0
		.amdhsa_float_round_mode_32 0
		.amdhsa_float_round_mode_16_64 0
		.amdhsa_float_denorm_mode_32 3
		.amdhsa_float_denorm_mode_16_64 3
		.amdhsa_dx10_clamp 1
		.amdhsa_ieee_mode 1
		.amdhsa_fp16_overflow 0
		.amdhsa_exception_fp_ieee_invalid_op 0
		.amdhsa_exception_fp_denorm_src 0
		.amdhsa_exception_fp_ieee_div_zero 0
		.amdhsa_exception_fp_ieee_overflow 0
		.amdhsa_exception_fp_ieee_underflow 0
		.amdhsa_exception_fp_ieee_inexact 0
		.amdhsa_exception_int_div_zero 0
	.end_amdhsa_kernel
	.section	.text._Z11rank_kernelIiLj4ELb0EL18RadixRankAlgorithm0ELj512ELj8ELj10EEvPKT_Pi,"axG",@progbits,_Z11rank_kernelIiLj4ELb0EL18RadixRankAlgorithm0ELj512ELj8ELj10EEvPKT_Pi,comdat
.Lfunc_end36:
	.size	_Z11rank_kernelIiLj4ELb0EL18RadixRankAlgorithm0ELj512ELj8ELj10EEvPKT_Pi, .Lfunc_end36-_Z11rank_kernelIiLj4ELb0EL18RadixRankAlgorithm0ELj512ELj8ELj10EEvPKT_Pi
                                        ; -- End function
	.set _Z11rank_kernelIiLj4ELb0EL18RadixRankAlgorithm0ELj512ELj8ELj10EEvPKT_Pi.num_vgpr, 39
	.set _Z11rank_kernelIiLj4ELb0EL18RadixRankAlgorithm0ELj512ELj8ELj10EEvPKT_Pi.num_agpr, 0
	.set _Z11rank_kernelIiLj4ELb0EL18RadixRankAlgorithm0ELj512ELj8ELj10EEvPKT_Pi.numbered_sgpr, 37
	.set _Z11rank_kernelIiLj4ELb0EL18RadixRankAlgorithm0ELj512ELj8ELj10EEvPKT_Pi.num_named_barrier, 0
	.set _Z11rank_kernelIiLj4ELb0EL18RadixRankAlgorithm0ELj512ELj8ELj10EEvPKT_Pi.private_seg_size, 0
	.set _Z11rank_kernelIiLj4ELb0EL18RadixRankAlgorithm0ELj512ELj8ELj10EEvPKT_Pi.uses_vcc, 1
	.set _Z11rank_kernelIiLj4ELb0EL18RadixRankAlgorithm0ELj512ELj8ELj10EEvPKT_Pi.uses_flat_scratch, 0
	.set _Z11rank_kernelIiLj4ELb0EL18RadixRankAlgorithm0ELj512ELj8ELj10EEvPKT_Pi.has_dyn_sized_stack, 0
	.set _Z11rank_kernelIiLj4ELb0EL18RadixRankAlgorithm0ELj512ELj8ELj10EEvPKT_Pi.has_recursion, 0
	.set _Z11rank_kernelIiLj4ELb0EL18RadixRankAlgorithm0ELj512ELj8ELj10EEvPKT_Pi.has_indirect_call, 0
	.section	.AMDGPU.csdata,"",@progbits
; Kernel info:
; codeLenInByte = 1520
; TotalNumSgprs: 41
; NumVgprs: 39
; ScratchSize: 0
; MemoryBound: 0
; FloatMode: 240
; IeeeMode: 1
; LDSByteSize: 16416 bytes/workgroup (compile time only)
; SGPRBlocks: 12
; VGPRBlocks: 9
; NumSGPRsForWavesPerEU: 97
; NumVGPRsForWavesPerEU: 39
; Occupancy: 6
; WaveLimiterHint : 0
; COMPUTE_PGM_RSRC2:SCRATCH_EN: 0
; COMPUTE_PGM_RSRC2:USER_SGPR: 6
; COMPUTE_PGM_RSRC2:TRAP_HANDLER: 0
; COMPUTE_PGM_RSRC2:TGID_X_EN: 1
; COMPUTE_PGM_RSRC2:TGID_Y_EN: 0
; COMPUTE_PGM_RSRC2:TGID_Z_EN: 0
; COMPUTE_PGM_RSRC2:TIDIG_COMP_CNT: 0
	.section	.text._Z11rank_kernelIiLj4ELb0EL18RadixRankAlgorithm1ELj512ELj8ELj10EEvPKT_Pi,"axG",@progbits,_Z11rank_kernelIiLj4ELb0EL18RadixRankAlgorithm1ELj512ELj8ELj10EEvPKT_Pi,comdat
	.protected	_Z11rank_kernelIiLj4ELb0EL18RadixRankAlgorithm1ELj512ELj8ELj10EEvPKT_Pi ; -- Begin function _Z11rank_kernelIiLj4ELb0EL18RadixRankAlgorithm1ELj512ELj8ELj10EEvPKT_Pi
	.globl	_Z11rank_kernelIiLj4ELb0EL18RadixRankAlgorithm1ELj512ELj8ELj10EEvPKT_Pi
	.p2align	8
	.type	_Z11rank_kernelIiLj4ELb0EL18RadixRankAlgorithm1ELj512ELj8ELj10EEvPKT_Pi,@function
_Z11rank_kernelIiLj4ELb0EL18RadixRankAlgorithm1ELj512ELj8ELj10EEvPKT_Pi: ; @_Z11rank_kernelIiLj4ELb0EL18RadixRankAlgorithm1ELj512ELj8ELj10EEvPKT_Pi
; %bb.0:
	s_load_dwordx4 s[24:27], s[4:5], 0x0
	s_lshl_b32 s30, s6, 12
	s_mov_b32 s31, 0
	s_lshl_b64 s[28:29], s[30:31], 2
	v_lshlrev_b32_e32 v9, 5, v0
	s_waitcnt lgkmcnt(0)
	s_add_u32 s0, s24, s28
	s_addc_u32 s1, s25, s29
	global_load_dwordx4 v[1:4], v9, s[0:1]
	global_load_dwordx4 v[5:8], v9, s[0:1] offset:16
	v_mbcnt_lo_u32_b32 v12, -1, 0
	v_mbcnt_hi_u32_b32 v15, -1, v12
	v_subrev_co_u32_e64 v19, s[6:7], 1, v15
	v_and_b32_e32 v20, 64, v15
	v_or_b32_e32 v14, 63, v0
	v_lshrrev_b32_e32 v16, 4, v0
	v_cmp_lt_i32_e64 s[18:19], v19, v20
	v_mul_i32_i24_e32 v24, 0xffffffe4, v0
	v_and_b32_e32 v17, 15, v15
	v_and_b32_e32 v18, 16, v15
	v_cmp_lt_u32_e64 s[2:3], 31, v15
	v_cmp_eq_u32_e64 s[4:5], v0, v14
	v_and_b32_e32 v14, 28, v16
	v_and_b32_e32 v16, 7, v15
	v_cndmask_b32_e64 v15, v19, v15, s[18:19]
	v_mov_b32_e32 v10, 0
	s_movk_i32 s30, 0xdff
	s_movk_i32 s33, 0xe00
	v_lshlrev_b32_e32 v11, 3, v0
	v_cmp_gt_u32_e32 vcc, 8, v0
	v_cmp_lt_u32_e64 s[0:1], 63, v0
	v_lshlrev_b32_e32 v12, 2, v0
	v_or_b32_e32 v13, 0xfffffe00, v0
	v_cmp_eq_u32_e64 s[8:9], 0, v17
	v_cmp_lt_u32_e64 s[10:11], 1, v17
	v_cmp_lt_u32_e64 s[12:13], 3, v17
	;; [unrolled: 1-line block ×3, first 2 shown]
	v_cmp_eq_u32_e64 s[16:17], 0, v18
	v_cmp_eq_u32_e64 s[18:19], 0, v16
	v_cmp_lt_u32_e64 s[20:21], 1, v16
	v_cmp_lt_u32_e64 s[22:23], 3, v16
	v_lshlrev_b32_e32 v15, 2, v15
	v_add_u32_e32 v24, v9, v24
	s_waitcnt vmcnt(1)
	v_xor_b32_e32 v16, 0x80000000, v1
	v_xor_b32_e32 v17, 0x80000000, v2
	;; [unrolled: 1-line block ×4, first 2 shown]
	s_waitcnt vmcnt(0)
	v_xor_b32_e32 v20, 0x80000000, v5
	v_xor_b32_e32 v21, 0x80000000, v6
	;; [unrolled: 1-line block ×4, first 2 shown]
	s_branch .LBB37_2
.LBB37_1:                               ;   in Loop: Header=BB37_2 Depth=1
	s_add_i32 s31, s31, 1
	s_cmp_eq_u32 s31, 10
	s_cbranch_scc1 .LBB37_12
.LBB37_2:                               ; =>This Loop Header: Depth=1
                                        ;     Child Loop BB37_4 Depth 2
                                        ;       Child Loop BB37_5 Depth 3
	s_mov_b32 s36, 0
	s_branch .LBB37_4
.LBB37_3:                               ;   in Loop: Header=BB37_4 Depth=2
	s_or_b64 exec, exec, s[24:25]
	s_waitcnt lgkmcnt(0)
	v_add_u32_e32 v4, v41, v4
	ds_bpermute_b32 v4, v15, v4
	ds_read_b32 v42, v10 offset:16412
	s_add_i32 s24, s36, 4
	s_cmp_lt_u32 s36, 28
	s_mov_b32 s36, s24
	s_waitcnt lgkmcnt(1)
	v_cndmask_b32_e64 v4, v4, v41, s[6:7]
	s_waitcnt lgkmcnt(0)
	v_lshl_add_u32 v4, v42, 16, v4
	v_add_u32_e32 v5, v4, v5
	v_add_u32_e32 v6, v5, v6
	;; [unrolled: 1-line block ×7, first 2 shown]
	ds_write2_b64 v9, v[4:5], v[6:7] offset1:1
	ds_write2_b64 v9, v[41:42], v[1:2] offset0:2 offset1:3
	s_waitcnt lgkmcnt(0)
	s_barrier
	s_cbranch_scc0 .LBB37_1
.LBB37_4:                               ;   Parent Loop BB37_2 Depth=1
                                        ; =>  This Loop Header: Depth=2
                                        ;       Child Loop BB37_5 Depth 3
	s_mov_b64 s[34:35], 0
	v_mov_b32_e32 v1, v13
	v_mov_b32_e32 v2, v12
.LBB37_5:                               ;   Parent Loop BB37_2 Depth=1
                                        ;     Parent Loop BB37_4 Depth=2
                                        ; =>    This Inner Loop Header: Depth=3
	v_add_u32_e32 v1, 0x200, v1
	v_cmp_lt_u32_e64 s[24:25], s30, v1
	ds_write_b32 v2, v10
	s_or_b64 s[34:35], s[24:25], s[34:35]
	v_add_u32_e32 v2, 0x800, v2
	s_andn2_b64 exec, exec, s[34:35]
	s_cbranch_execnz .LBB37_5
; %bb.6:                                ;   in Loop: Header=BB37_4 Depth=2
	s_or_b64 exec, exec, s[34:35]
	s_sub_i32 s24, 28, s36
	v_lshlrev_b32_e32 v1, s24, v16
	v_lshrrev_b32_e32 v2, 19, v1
	v_and_or_b32 v2, v2, s33, v0
	v_alignbit_b32 v1, v2, v1, 31
	v_lshlrev_b32_e32 v26, 1, v1
	ds_read_u16 v25, v26
	v_lshlrev_b32_e32 v1, s24, v17
	v_lshrrev_b32_e32 v2, 19, v1
	v_and_or_b32 v2, v2, s33, v0
	v_alignbit_b32 v1, v2, v1, 31
	s_waitcnt lgkmcnt(0)
	v_add_u16_e32 v2, 1, v25
	ds_write_b16 v26, v2
	v_lshlrev_b32_e32 v28, 1, v1
	ds_read_u16 v27, v28
	v_lshlrev_b32_e32 v1, s24, v18
	v_lshrrev_b32_e32 v2, 19, v1
	v_and_or_b32 v2, v2, s33, v0
	v_alignbit_b32 v1, v2, v1, 31
	s_waitcnt lgkmcnt(0)
	v_add_u16_e32 v3, 1, v27
	ds_write_b16 v28, v3
	;; [unrolled: 9-line block ×3, first 2 shown]
	v_lshlrev_b32_e32 v33, 1, v1
	ds_read_u16 v31, v33
	v_lshlrev_b32_e32 v1, s24, v20
	s_waitcnt lgkmcnt(0)
	v_add_u16_e32 v2, 1, v31
	ds_write_b16 v33, v2
	v_lshrrev_b32_e32 v2, 19, v1
	v_and_or_b32 v2, v2, s33, v0
	v_alignbit_b32 v1, v2, v1, 31
	v_lshlrev_b32_e32 v34, 1, v1
	ds_read_u16 v32, v34
	s_waitcnt lgkmcnt(0)
	v_add_u16_e32 v1, 1, v32
	ds_write_b16 v34, v1
	v_lshlrev_b32_e32 v1, s24, v21
	v_lshrrev_b32_e32 v2, 19, v1
	v_and_or_b32 v2, v2, s33, v0
	v_alignbit_b32 v1, v2, v1, 31
	v_lshlrev_b32_e32 v36, 1, v1
	ds_read_u16 v35, v36
	s_waitcnt lgkmcnt(0)
	v_add_u16_e32 v1, 1, v35
	ds_write_b16 v36, v1
	v_lshlrev_b32_e32 v1, s24, v22
	;; [unrolled: 9-line block ×3, first 2 shown]
	v_lshrrev_b32_e32 v2, 19, v1
	v_and_or_b32 v2, v2, s33, v0
	v_alignbit_b32 v1, v2, v1, 31
	v_lshlrev_b32_e32 v40, 1, v1
	ds_read_u16 v38, v40
	s_waitcnt lgkmcnt(0)
	v_add_u16_e32 v1, 1, v38
	ds_write_b16 v40, v1
	s_waitcnt lgkmcnt(0)
	s_barrier
	ds_read2_b64 v[5:8], v9 offset1:1
	ds_read2_b64 v[1:4], v9 offset0:2 offset1:3
	s_waitcnt lgkmcnt(1)
	v_add_u32_e32 v41, v6, v5
	v_add3_u32 v41, v41, v7, v8
	s_waitcnt lgkmcnt(0)
	v_add3_u32 v41, v41, v1, v2
	v_add3_u32 v4, v41, v3, v4
	s_nop 1
	v_mov_b32_dpp v41, v4 row_shr:1 row_mask:0xf bank_mask:0xf
	v_cndmask_b32_e64 v41, v41, 0, s[8:9]
	v_add_u32_e32 v4, v41, v4
	s_nop 1
	v_mov_b32_dpp v41, v4 row_shr:2 row_mask:0xf bank_mask:0xf
	v_cndmask_b32_e64 v41, 0, v41, s[10:11]
	v_add_u32_e32 v4, v4, v41
	;; [unrolled: 4-line block ×4, first 2 shown]
	s_nop 1
	v_mov_b32_dpp v41, v4 row_bcast:15 row_mask:0xf bank_mask:0xf
	v_cndmask_b32_e64 v41, v41, 0, s[16:17]
	v_add_u32_e32 v4, v4, v41
	s_nop 1
	v_mov_b32_dpp v41, v4 row_bcast:31 row_mask:0xf bank_mask:0xf
	v_cndmask_b32_e64 v41, 0, v41, s[2:3]
	v_add_u32_e32 v4, v4, v41
	s_and_saveexec_b64 s[24:25], s[4:5]
; %bb.7:                                ;   in Loop: Header=BB37_4 Depth=2
	ds_write_b32 v14, v4 offset:16384
; %bb.8:                                ;   in Loop: Header=BB37_4 Depth=2
	s_or_b64 exec, exec, s[24:25]
	s_waitcnt lgkmcnt(0)
	s_barrier
	s_and_saveexec_b64 s[24:25], vcc
	s_cbranch_execz .LBB37_10
; %bb.9:                                ;   in Loop: Header=BB37_4 Depth=2
	ds_read_b32 v41, v24 offset:16384
	s_waitcnt lgkmcnt(0)
	s_nop 0
	v_mov_b32_dpp v42, v41 row_shr:1 row_mask:0xf bank_mask:0xf
	v_cndmask_b32_e64 v42, v42, 0, s[18:19]
	v_add_u32_e32 v41, v42, v41
	s_nop 1
	v_mov_b32_dpp v42, v41 row_shr:2 row_mask:0xf bank_mask:0xf
	v_cndmask_b32_e64 v42, 0, v42, s[20:21]
	v_add_u32_e32 v41, v41, v42
	;; [unrolled: 4-line block ×3, first 2 shown]
	ds_write_b32 v24, v41 offset:16384
.LBB37_10:                              ;   in Loop: Header=BB37_4 Depth=2
	s_or_b64 exec, exec, s[24:25]
	v_mov_b32_e32 v41, 0
	s_waitcnt lgkmcnt(0)
	s_barrier
	s_and_saveexec_b64 s[24:25], s[0:1]
	s_cbranch_execz .LBB37_3
; %bb.11:                               ;   in Loop: Header=BB37_4 Depth=2
	ds_read_b32 v41, v14 offset:16380
	s_branch .LBB37_3
.LBB37_12:
	ds_read_u16 v3, v33
	ds_read_u16 v2, v30
	;; [unrolled: 1-line block ×8, first 2 shown]
	s_add_u32 s0, s26, s28
	s_waitcnt lgkmcnt(4)
	v_add_u32_sdwa v0, v0, v25 dst_sel:DWORD dst_unused:UNUSED_PAD src0_sel:DWORD src1_sel:WORD_0
	v_add_u32_sdwa v1, v1, v27 dst_sel:DWORD dst_unused:UNUSED_PAD src0_sel:DWORD src1_sel:WORD_0
	;; [unrolled: 1-line block ×4, first 2 shown]
	s_addc_u32 s1, s27, s29
	v_lshlrev_b32_e32 v8, 2, v11
	s_waitcnt lgkmcnt(0)
	v_add_u32_sdwa v4, v4, v32 dst_sel:DWORD dst_unused:UNUSED_PAD src0_sel:DWORD src1_sel:WORD_0
	v_add_u32_sdwa v5, v5, v35 dst_sel:DWORD dst_unused:UNUSED_PAD src0_sel:DWORD src1_sel:WORD_0
	;; [unrolled: 1-line block ×4, first 2 shown]
	global_store_dwordx4 v8, v[0:3], s[0:1]
	global_store_dwordx4 v8, v[4:7], s[0:1] offset:16
	s_endpgm
	.section	.rodata,"a",@progbits
	.p2align	6, 0x0
	.amdhsa_kernel _Z11rank_kernelIiLj4ELb0EL18RadixRankAlgorithm1ELj512ELj8ELj10EEvPKT_Pi
		.amdhsa_group_segment_fixed_size 16416
		.amdhsa_private_segment_fixed_size 0
		.amdhsa_kernarg_size 16
		.amdhsa_user_sgpr_count 6
		.amdhsa_user_sgpr_private_segment_buffer 1
		.amdhsa_user_sgpr_dispatch_ptr 0
		.amdhsa_user_sgpr_queue_ptr 0
		.amdhsa_user_sgpr_kernarg_segment_ptr 1
		.amdhsa_user_sgpr_dispatch_id 0
		.amdhsa_user_sgpr_flat_scratch_init 0
		.amdhsa_user_sgpr_private_segment_size 0
		.amdhsa_uses_dynamic_stack 0
		.amdhsa_system_sgpr_private_segment_wavefront_offset 0
		.amdhsa_system_sgpr_workgroup_id_x 1
		.amdhsa_system_sgpr_workgroup_id_y 0
		.amdhsa_system_sgpr_workgroup_id_z 0
		.amdhsa_system_sgpr_workgroup_info 0
		.amdhsa_system_vgpr_workitem_id 0
		.amdhsa_next_free_vgpr 43
		.amdhsa_next_free_sgpr 93
		.amdhsa_reserve_vcc 1
		.amdhsa_reserve_flat_scratch 0
		.amdhsa_float_round_mode_32 0
		.amdhsa_float_round_mode_16_64 0
		.amdhsa_float_denorm_mode_32 3
		.amdhsa_float_denorm_mode_16_64 3
		.amdhsa_dx10_clamp 1
		.amdhsa_ieee_mode 1
		.amdhsa_fp16_overflow 0
		.amdhsa_exception_fp_ieee_invalid_op 0
		.amdhsa_exception_fp_denorm_src 0
		.amdhsa_exception_fp_ieee_div_zero 0
		.amdhsa_exception_fp_ieee_overflow 0
		.amdhsa_exception_fp_ieee_underflow 0
		.amdhsa_exception_fp_ieee_inexact 0
		.amdhsa_exception_int_div_zero 0
	.end_amdhsa_kernel
	.section	.text._Z11rank_kernelIiLj4ELb0EL18RadixRankAlgorithm1ELj512ELj8ELj10EEvPKT_Pi,"axG",@progbits,_Z11rank_kernelIiLj4ELb0EL18RadixRankAlgorithm1ELj512ELj8ELj10EEvPKT_Pi,comdat
.Lfunc_end37:
	.size	_Z11rank_kernelIiLj4ELb0EL18RadixRankAlgorithm1ELj512ELj8ELj10EEvPKT_Pi, .Lfunc_end37-_Z11rank_kernelIiLj4ELb0EL18RadixRankAlgorithm1ELj512ELj8ELj10EEvPKT_Pi
                                        ; -- End function
	.set _Z11rank_kernelIiLj4ELb0EL18RadixRankAlgorithm1ELj512ELj8ELj10EEvPKT_Pi.num_vgpr, 43
	.set _Z11rank_kernelIiLj4ELb0EL18RadixRankAlgorithm1ELj512ELj8ELj10EEvPKT_Pi.num_agpr, 0
	.set _Z11rank_kernelIiLj4ELb0EL18RadixRankAlgorithm1ELj512ELj8ELj10EEvPKT_Pi.numbered_sgpr, 37
	.set _Z11rank_kernelIiLj4ELb0EL18RadixRankAlgorithm1ELj512ELj8ELj10EEvPKT_Pi.num_named_barrier, 0
	.set _Z11rank_kernelIiLj4ELb0EL18RadixRankAlgorithm1ELj512ELj8ELj10EEvPKT_Pi.private_seg_size, 0
	.set _Z11rank_kernelIiLj4ELb0EL18RadixRankAlgorithm1ELj512ELj8ELj10EEvPKT_Pi.uses_vcc, 1
	.set _Z11rank_kernelIiLj4ELb0EL18RadixRankAlgorithm1ELj512ELj8ELj10EEvPKT_Pi.uses_flat_scratch, 0
	.set _Z11rank_kernelIiLj4ELb0EL18RadixRankAlgorithm1ELj512ELj8ELj10EEvPKT_Pi.has_dyn_sized_stack, 0
	.set _Z11rank_kernelIiLj4ELb0EL18RadixRankAlgorithm1ELj512ELj8ELj10EEvPKT_Pi.has_recursion, 0
	.set _Z11rank_kernelIiLj4ELb0EL18RadixRankAlgorithm1ELj512ELj8ELj10EEvPKT_Pi.has_indirect_call, 0
	.section	.AMDGPU.csdata,"",@progbits
; Kernel info:
; codeLenInByte = 1484
; TotalNumSgprs: 41
; NumVgprs: 43
; ScratchSize: 0
; MemoryBound: 0
; FloatMode: 240
; IeeeMode: 1
; LDSByteSize: 16416 bytes/workgroup (compile time only)
; SGPRBlocks: 12
; VGPRBlocks: 10
; NumSGPRsForWavesPerEU: 97
; NumVGPRsForWavesPerEU: 43
; Occupancy: 5
; WaveLimiterHint : 0
; COMPUTE_PGM_RSRC2:SCRATCH_EN: 0
; COMPUTE_PGM_RSRC2:USER_SGPR: 6
; COMPUTE_PGM_RSRC2:TRAP_HANDLER: 0
; COMPUTE_PGM_RSRC2:TGID_X_EN: 1
; COMPUTE_PGM_RSRC2:TGID_Y_EN: 0
; COMPUTE_PGM_RSRC2:TGID_Z_EN: 0
; COMPUTE_PGM_RSRC2:TIDIG_COMP_CNT: 0
	.section	.text._Z11rank_kernelIiLj4ELb0EL18RadixRankAlgorithm2ELj512ELj8ELj10EEvPKT_Pi,"axG",@progbits,_Z11rank_kernelIiLj4ELb0EL18RadixRankAlgorithm2ELj512ELj8ELj10EEvPKT_Pi,comdat
	.protected	_Z11rank_kernelIiLj4ELb0EL18RadixRankAlgorithm2ELj512ELj8ELj10EEvPKT_Pi ; -- Begin function _Z11rank_kernelIiLj4ELb0EL18RadixRankAlgorithm2ELj512ELj8ELj10EEvPKT_Pi
	.globl	_Z11rank_kernelIiLj4ELb0EL18RadixRankAlgorithm2ELj512ELj8ELj10EEvPKT_Pi
	.p2align	8
	.type	_Z11rank_kernelIiLj4ELb0EL18RadixRankAlgorithm2ELj512ELj8ELj10EEvPKT_Pi,@function
_Z11rank_kernelIiLj4ELb0EL18RadixRankAlgorithm2ELj512ELj8ELj10EEvPKT_Pi: ; @_Z11rank_kernelIiLj4ELb0EL18RadixRankAlgorithm2ELj512ELj8ELj10EEvPKT_Pi
; %bb.0:
	s_load_dwordx4 s[28:31], s[4:5], 0x0
	s_load_dword s22, s[4:5], 0x1c
	s_lshl_b32 s36, s6, 12
	s_mov_b32 s37, 0
	s_lshl_b64 s[34:35], s[36:37], 2
	s_waitcnt lgkmcnt(0)
	s_add_u32 s0, s28, s34
	s_addc_u32 s1, s29, s35
	v_lshlrev_b32_e32 v3, 5, v0
	global_load_dwordx4 v[10:13], v3, s[0:1]
	global_load_dwordx4 v[14:17], v3, s[0:1] offset:16
	s_lshr_b32 s23, s22, 16
	v_or_b32_e32 v7, 63, v0
	s_and_b32 s22, s22, 0xffff
	v_mad_u32_u24 v1, v2, s23, v1
	v_mbcnt_lo_u32_b32 v4, -1, 0
	v_lshlrev_b32_e32 v5, 3, v0
	v_lshlrev_b32_e32 v6, 2, v0
	v_cmp_gt_u32_e32 vcc, 8, v0
	v_cmp_lt_u32_e64 s[0:1], 63, v0
	v_lshrrev_b32_e32 v8, 4, v0
	v_cmp_eq_u32_e64 s[2:3], v0, v7
	v_mad_u64_u32 v[0:1], s[22:23], v1, s22, v[0:1]
	v_mbcnt_hi_u32_b32 v4, -1, v4
	v_subrev_co_u32_e64 v19, s[6:7], 1, v4
	v_and_b32_e32 v20, 64, v4
	v_cmp_lt_i32_e64 s[18:19], v19, v20
	v_and_b32_e32 v9, 15, v4
	v_and_b32_e32 v18, 16, v4
	v_cmp_lt_u32_e64 s[4:5], 31, v4
	v_and_b32_e32 v7, 28, v8
	v_and_b32_e32 v8, 7, v4
	v_cndmask_b32_e64 v4, v19, v4, s[18:19]
	v_lshrrev_b32_e32 v0, 4, v0
	v_mov_b32_e32 v3, 0
	v_cmp_eq_u32_e64 s[8:9], 0, v9
	v_cmp_lt_u32_e64 s[10:11], 1, v9
	v_cmp_lt_u32_e64 s[12:13], 3, v9
	;; [unrolled: 1-line block ×3, first 2 shown]
	v_cmp_eq_u32_e64 s[16:17], 0, v18
	v_cmp_eq_u32_e64 s[18:19], 0, v8
	v_cmp_lt_u32_e64 s[20:21], 1, v8
	v_cmp_lt_u32_e64 s[22:23], 3, v8
	v_add_u32_e32 v8, -4, v7
	v_lshlrev_b32_e32 v9, 2, v4
	v_and_b32_e32 v2, 0xffffffc, v0
	s_waitcnt vmcnt(1)
	v_xor_b32_e32 v10, 0x80000000, v10
	v_xor_b32_e32 v11, 0x80000000, v11
	;; [unrolled: 1-line block ×4, first 2 shown]
	s_waitcnt vmcnt(0)
	v_xor_b32_e32 v14, 0x80000000, v14
	v_xor_b32_e32 v15, 0x80000000, v15
	v_xor_b32_e32 v16, 0x80000000, v16
	v_xor_b32_e32 v18, 0x80000000, v17
	s_branch .LBB38_2
.LBB38_1:                               ;   in Loop: Header=BB38_2 Depth=1
	s_add_i32 s37, s37, 1
	s_cmp_eq_u32 s37, 10
	s_cbranch_scc1 .LBB38_26
.LBB38_2:                               ; =>This Loop Header: Depth=1
                                        ;     Child Loop BB38_4 Depth 2
	s_mov_b32 s28, -4
	s_mov_b32 s29, 28
	s_branch .LBB38_4
.LBB38_3:                               ;   in Loop: Header=BB38_4 Depth=2
	s_or_b64 exec, exec, s[24:25]
	s_waitcnt lgkmcnt(0)
	v_add_u32_e32 v0, v1, v0
	ds_bpermute_b32 v0, v9, v0
	s_add_i32 s29, s29, -4
	s_add_i32 s28, s28, 4
	s_cmp_lt_u32 s28, 28
	s_waitcnt lgkmcnt(0)
	v_cndmask_b32_e64 v0, v0, v1, s[6:7]
	ds_write_b32 v6, v0 offset:32
	s_waitcnt lgkmcnt(0)
	s_barrier
	s_cbranch_scc0 .LBB38_1
.LBB38_4:                               ;   Parent Loop BB38_2 Depth=1
                                        ; =>  This Inner Loop Header: Depth=2
	v_lshlrev_b32_e32 v0, s29, v10
	v_lshrrev_b32_e32 v0, 28, v0
	v_and_b32_e32 v1, 1, v0
	v_add_co_u32_e64 v4, s[24:25], -1, v1
	v_addc_co_u32_e64 v19, s[24:25], 0, -1, s[24:25]
	v_cmp_ne_u32_e64 s[24:25], 0, v1
	v_xor_b32_e32 v4, s24, v4
	v_xor_b32_e32 v1, s25, v19
	v_and_b32_e32 v19, exec_lo, v4
	v_lshlrev_b32_e32 v4, 30, v0
	v_cmp_gt_i64_e64 s[24:25], 0, v[3:4]
	v_not_b32_e32 v4, v4
	v_ashrrev_i32_e32 v4, 31, v4
	v_xor_b32_e32 v20, s25, v4
	v_xor_b32_e32 v4, s24, v4
	v_and_b32_e32 v19, v19, v4
	v_lshlrev_b32_e32 v4, 29, v0
	v_cmp_gt_i64_e64 s[24:25], 0, v[3:4]
	v_not_b32_e32 v4, v4
	v_and_b32_e32 v1, exec_hi, v1
	v_ashrrev_i32_e32 v4, 31, v4
	v_and_b32_e32 v1, v1, v20
	v_xor_b32_e32 v20, s25, v4
	v_xor_b32_e32 v4, s24, v4
	v_and_b32_e32 v19, v19, v4
	v_lshlrev_b32_e32 v4, 28, v0
	v_mul_u32_u24_e32 v17, 36, v0
	v_cmp_gt_i64_e64 s[24:25], 0, v[3:4]
	v_not_b32_e32 v0, v4
	v_ashrrev_i32_e32 v0, 31, v0
	v_xor_b32_e32 v4, s25, v0
	v_xor_b32_e32 v0, s24, v0
	v_and_b32_e32 v1, v1, v20
	v_and_b32_e32 v0, v19, v0
	;; [unrolled: 1-line block ×3, first 2 shown]
	v_mbcnt_lo_u32_b32 v4, v0, 0
	v_mbcnt_hi_u32_b32 v19, v1, v4
	v_cmp_ne_u64_e64 s[24:25], 0, v[0:1]
	v_cmp_eq_u32_e64 s[26:27], 0, v19
	s_and_b64 s[26:27], s[24:25], s[26:27]
	ds_write_b32 v6, v3 offset:32
	s_waitcnt lgkmcnt(0)
	s_barrier
	; wave barrier
	s_and_saveexec_b64 s[24:25], s[26:27]
; %bb.5:                                ;   in Loop: Header=BB38_4 Depth=2
	v_bcnt_u32_b32 v0, v0, 0
	v_bcnt_u32_b32 v0, v1, v0
	v_add_u32_e32 v1, v2, v17
	ds_write_b32 v1, v0 offset:32
; %bb.6:                                ;   in Loop: Header=BB38_4 Depth=2
	s_or_b64 exec, exec, s[24:25]
	v_lshlrev_b32_e32 v0, s29, v11
	v_lshrrev_b32_e32 v0, 28, v0
	v_mad_u32_u24 v1, v0, 36, v2
	; wave barrier
	ds_read_b32 v20, v1 offset:32
	v_and_b32_e32 v1, 1, v0
	v_add_co_u32_e64 v4, s[24:25], -1, v1
	v_addc_co_u32_e64 v22, s[24:25], 0, -1, s[24:25]
	v_cmp_ne_u32_e64 s[24:25], 0, v1
	v_xor_b32_e32 v4, s24, v4
	v_xor_b32_e32 v1, s25, v22
	v_and_b32_e32 v22, exec_lo, v4
	v_lshlrev_b32_e32 v4, 30, v0
	v_cmp_gt_i64_e64 s[24:25], 0, v[3:4]
	v_not_b32_e32 v4, v4
	v_ashrrev_i32_e32 v4, 31, v4
	v_xor_b32_e32 v23, s25, v4
	v_xor_b32_e32 v4, s24, v4
	v_and_b32_e32 v22, v22, v4
	v_lshlrev_b32_e32 v4, 29, v0
	v_cmp_gt_i64_e64 s[24:25], 0, v[3:4]
	v_not_b32_e32 v4, v4
	v_and_b32_e32 v1, exec_hi, v1
	v_ashrrev_i32_e32 v4, 31, v4
	v_and_b32_e32 v1, v1, v23
	v_xor_b32_e32 v23, s25, v4
	v_xor_b32_e32 v4, s24, v4
	v_and_b32_e32 v22, v22, v4
	v_lshlrev_b32_e32 v4, 28, v0
	v_mul_u32_u24_e32 v21, 36, v0
	v_cmp_gt_i64_e64 s[24:25], 0, v[3:4]
	v_not_b32_e32 v0, v4
	v_ashrrev_i32_e32 v0, 31, v0
	v_xor_b32_e32 v4, s25, v0
	v_xor_b32_e32 v0, s24, v0
	v_and_b32_e32 v1, v1, v23
	v_and_b32_e32 v0, v22, v0
	;; [unrolled: 1-line block ×3, first 2 shown]
	v_mbcnt_lo_u32_b32 v4, v0, 0
	v_mbcnt_hi_u32_b32 v22, v1, v4
	v_cmp_ne_u64_e64 s[24:25], 0, v[0:1]
	v_cmp_eq_u32_e64 s[26:27], 0, v22
	s_and_b64 s[26:27], s[24:25], s[26:27]
	; wave barrier
	s_and_saveexec_b64 s[24:25], s[26:27]
	s_cbranch_execz .LBB38_8
; %bb.7:                                ;   in Loop: Header=BB38_4 Depth=2
	v_bcnt_u32_b32 v0, v0, 0
	v_bcnt_u32_b32 v0, v1, v0
	s_waitcnt lgkmcnt(0)
	v_add_u32_e32 v0, v20, v0
	v_add_u32_e32 v1, v2, v21
	ds_write_b32 v1, v0 offset:32
.LBB38_8:                               ;   in Loop: Header=BB38_4 Depth=2
	s_or_b64 exec, exec, s[24:25]
	v_lshlrev_b32_e32 v0, s29, v12
	v_lshrrev_b32_e32 v0, 28, v0
	v_mad_u32_u24 v1, v0, 36, v2
	; wave barrier
	ds_read_b32 v23, v1 offset:32
	v_and_b32_e32 v1, 1, v0
	v_add_co_u32_e64 v4, s[24:25], -1, v1
	v_addc_co_u32_e64 v25, s[24:25], 0, -1, s[24:25]
	v_cmp_ne_u32_e64 s[24:25], 0, v1
	v_xor_b32_e32 v4, s24, v4
	v_xor_b32_e32 v1, s25, v25
	v_and_b32_e32 v25, exec_lo, v4
	v_lshlrev_b32_e32 v4, 30, v0
	v_cmp_gt_i64_e64 s[24:25], 0, v[3:4]
	v_not_b32_e32 v4, v4
	v_ashrrev_i32_e32 v4, 31, v4
	v_xor_b32_e32 v26, s25, v4
	v_xor_b32_e32 v4, s24, v4
	v_and_b32_e32 v25, v25, v4
	v_lshlrev_b32_e32 v4, 29, v0
	v_cmp_gt_i64_e64 s[24:25], 0, v[3:4]
	v_not_b32_e32 v4, v4
	v_and_b32_e32 v1, exec_hi, v1
	v_ashrrev_i32_e32 v4, 31, v4
	v_and_b32_e32 v1, v1, v26
	v_xor_b32_e32 v26, s25, v4
	v_xor_b32_e32 v4, s24, v4
	v_and_b32_e32 v25, v25, v4
	v_lshlrev_b32_e32 v4, 28, v0
	v_mul_u32_u24_e32 v24, 36, v0
	v_cmp_gt_i64_e64 s[24:25], 0, v[3:4]
	v_not_b32_e32 v0, v4
	v_ashrrev_i32_e32 v0, 31, v0
	v_xor_b32_e32 v4, s25, v0
	v_xor_b32_e32 v0, s24, v0
	v_and_b32_e32 v1, v1, v26
	v_and_b32_e32 v0, v25, v0
	;; [unrolled: 1-line block ×3, first 2 shown]
	v_mbcnt_lo_u32_b32 v4, v0, 0
	v_mbcnt_hi_u32_b32 v25, v1, v4
	v_cmp_ne_u64_e64 s[24:25], 0, v[0:1]
	v_cmp_eq_u32_e64 s[26:27], 0, v25
	s_and_b64 s[26:27], s[24:25], s[26:27]
	; wave barrier
	s_and_saveexec_b64 s[24:25], s[26:27]
	s_cbranch_execz .LBB38_10
; %bb.9:                                ;   in Loop: Header=BB38_4 Depth=2
	v_bcnt_u32_b32 v0, v0, 0
	v_bcnt_u32_b32 v0, v1, v0
	s_waitcnt lgkmcnt(0)
	v_add_u32_e32 v0, v23, v0
	v_add_u32_e32 v1, v2, v24
	ds_write_b32 v1, v0 offset:32
.LBB38_10:                              ;   in Loop: Header=BB38_4 Depth=2
	s_or_b64 exec, exec, s[24:25]
	v_lshlrev_b32_e32 v0, s29, v13
	v_lshrrev_b32_e32 v0, 28, v0
	v_mad_u32_u24 v1, v0, 36, v2
	; wave barrier
	ds_read_b32 v26, v1 offset:32
	v_and_b32_e32 v1, 1, v0
	v_add_co_u32_e64 v4, s[24:25], -1, v1
	v_addc_co_u32_e64 v28, s[24:25], 0, -1, s[24:25]
	v_cmp_ne_u32_e64 s[24:25], 0, v1
	v_xor_b32_e32 v4, s24, v4
	v_xor_b32_e32 v1, s25, v28
	v_and_b32_e32 v28, exec_lo, v4
	v_lshlrev_b32_e32 v4, 30, v0
	v_cmp_gt_i64_e64 s[24:25], 0, v[3:4]
	v_not_b32_e32 v4, v4
	v_ashrrev_i32_e32 v4, 31, v4
	v_xor_b32_e32 v29, s25, v4
	v_xor_b32_e32 v4, s24, v4
	v_and_b32_e32 v28, v28, v4
	v_lshlrev_b32_e32 v4, 29, v0
	v_cmp_gt_i64_e64 s[24:25], 0, v[3:4]
	v_not_b32_e32 v4, v4
	v_and_b32_e32 v1, exec_hi, v1
	v_ashrrev_i32_e32 v4, 31, v4
	v_and_b32_e32 v1, v1, v29
	v_xor_b32_e32 v29, s25, v4
	v_xor_b32_e32 v4, s24, v4
	v_and_b32_e32 v28, v28, v4
	v_lshlrev_b32_e32 v4, 28, v0
	v_mul_u32_u24_e32 v27, 36, v0
	v_cmp_gt_i64_e64 s[24:25], 0, v[3:4]
	v_not_b32_e32 v0, v4
	v_ashrrev_i32_e32 v0, 31, v0
	v_xor_b32_e32 v4, s25, v0
	v_xor_b32_e32 v0, s24, v0
	v_and_b32_e32 v1, v1, v29
	v_and_b32_e32 v0, v28, v0
	v_and_b32_e32 v1, v1, v4
	v_mbcnt_lo_u32_b32 v4, v0, 0
	v_mbcnt_hi_u32_b32 v28, v1, v4
	v_cmp_ne_u64_e64 s[24:25], 0, v[0:1]
	v_cmp_eq_u32_e64 s[26:27], 0, v28
	s_and_b64 s[26:27], s[24:25], s[26:27]
	; wave barrier
	s_and_saveexec_b64 s[24:25], s[26:27]
	s_cbranch_execz .LBB38_12
; %bb.11:                               ;   in Loop: Header=BB38_4 Depth=2
	v_bcnt_u32_b32 v0, v0, 0
	v_bcnt_u32_b32 v0, v1, v0
	s_waitcnt lgkmcnt(0)
	v_add_u32_e32 v0, v26, v0
	v_add_u32_e32 v1, v2, v27
	ds_write_b32 v1, v0 offset:32
.LBB38_12:                              ;   in Loop: Header=BB38_4 Depth=2
	s_or_b64 exec, exec, s[24:25]
	v_lshlrev_b32_e32 v0, s29, v14
	v_lshrrev_b32_e32 v0, 28, v0
	v_mad_u32_u24 v1, v0, 36, v2
	; wave barrier
	ds_read_b32 v29, v1 offset:32
	v_and_b32_e32 v1, 1, v0
	v_add_co_u32_e64 v4, s[24:25], -1, v1
	v_addc_co_u32_e64 v31, s[24:25], 0, -1, s[24:25]
	v_cmp_ne_u32_e64 s[24:25], 0, v1
	v_xor_b32_e32 v4, s24, v4
	v_xor_b32_e32 v1, s25, v31
	v_and_b32_e32 v31, exec_lo, v4
	v_lshlrev_b32_e32 v4, 30, v0
	v_cmp_gt_i64_e64 s[24:25], 0, v[3:4]
	v_not_b32_e32 v4, v4
	v_ashrrev_i32_e32 v4, 31, v4
	v_xor_b32_e32 v32, s25, v4
	v_xor_b32_e32 v4, s24, v4
	v_and_b32_e32 v31, v31, v4
	v_lshlrev_b32_e32 v4, 29, v0
	v_cmp_gt_i64_e64 s[24:25], 0, v[3:4]
	v_not_b32_e32 v4, v4
	v_and_b32_e32 v1, exec_hi, v1
	v_ashrrev_i32_e32 v4, 31, v4
	v_and_b32_e32 v1, v1, v32
	v_xor_b32_e32 v32, s25, v4
	v_xor_b32_e32 v4, s24, v4
	v_and_b32_e32 v31, v31, v4
	v_lshlrev_b32_e32 v4, 28, v0
	v_mul_u32_u24_e32 v30, 36, v0
	v_cmp_gt_i64_e64 s[24:25], 0, v[3:4]
	v_not_b32_e32 v0, v4
	v_ashrrev_i32_e32 v0, 31, v0
	v_xor_b32_e32 v4, s25, v0
	v_xor_b32_e32 v0, s24, v0
	v_and_b32_e32 v1, v1, v32
	v_and_b32_e32 v0, v31, v0
	v_and_b32_e32 v1, v1, v4
	v_mbcnt_lo_u32_b32 v4, v0, 0
	v_mbcnt_hi_u32_b32 v31, v1, v4
	v_cmp_ne_u64_e64 s[24:25], 0, v[0:1]
	v_cmp_eq_u32_e64 s[26:27], 0, v31
	s_and_b64 s[26:27], s[24:25], s[26:27]
	; wave barrier
	s_and_saveexec_b64 s[24:25], s[26:27]
	s_cbranch_execz .LBB38_14
; %bb.13:                               ;   in Loop: Header=BB38_4 Depth=2
	v_bcnt_u32_b32 v0, v0, 0
	v_bcnt_u32_b32 v0, v1, v0
	s_waitcnt lgkmcnt(0)
	v_add_u32_e32 v0, v29, v0
	v_add_u32_e32 v1, v2, v30
	ds_write_b32 v1, v0 offset:32
.LBB38_14:                              ;   in Loop: Header=BB38_4 Depth=2
	;; [unrolled: 55-line block ×5, first 2 shown]
	s_or_b64 exec, exec, s[24:25]
	; wave barrier
	s_waitcnt lgkmcnt(0)
	s_barrier
	ds_read_b32 v0, v6 offset:32
	s_waitcnt lgkmcnt(0)
	s_nop 0
	v_mov_b32_dpp v1, v0 row_shr:1 row_mask:0xf bank_mask:0xf
	v_cndmask_b32_e64 v1, v1, 0, s[8:9]
	v_add_u32_e32 v0, v1, v0
	s_nop 1
	v_mov_b32_dpp v1, v0 row_shr:2 row_mask:0xf bank_mask:0xf
	v_cndmask_b32_e64 v1, 0, v1, s[10:11]
	v_add_u32_e32 v0, v0, v1
	;; [unrolled: 4-line block ×4, first 2 shown]
	s_nop 1
	v_mov_b32_dpp v1, v0 row_bcast:15 row_mask:0xf bank_mask:0xf
	v_cndmask_b32_e64 v1, v1, 0, s[16:17]
	v_add_u32_e32 v0, v0, v1
	s_nop 1
	v_mov_b32_dpp v1, v0 row_bcast:31 row_mask:0xf bank_mask:0xf
	v_cndmask_b32_e64 v1, 0, v1, s[4:5]
	v_add_u32_e32 v0, v0, v1
	s_and_saveexec_b64 s[24:25], s[2:3]
; %bb.21:                               ;   in Loop: Header=BB38_4 Depth=2
	ds_write_b32 v7, v0
; %bb.22:                               ;   in Loop: Header=BB38_4 Depth=2
	s_or_b64 exec, exec, s[24:25]
	s_waitcnt lgkmcnt(0)
	s_barrier
	s_and_saveexec_b64 s[24:25], vcc
	s_cbranch_execz .LBB38_24
; %bb.23:                               ;   in Loop: Header=BB38_4 Depth=2
	ds_read_b32 v1, v6
	s_waitcnt lgkmcnt(0)
	s_nop 0
	v_mov_b32_dpp v40, v1 row_shr:1 row_mask:0xf bank_mask:0xf
	v_cndmask_b32_e64 v40, v40, 0, s[18:19]
	v_add_u32_e32 v1, v40, v1
	s_nop 1
	v_mov_b32_dpp v40, v1 row_shr:2 row_mask:0xf bank_mask:0xf
	v_cndmask_b32_e64 v40, 0, v40, s[20:21]
	v_add_u32_e32 v1, v1, v40
	;; [unrolled: 4-line block ×3, first 2 shown]
	ds_write_b32 v6, v1
.LBB38_24:                              ;   in Loop: Header=BB38_4 Depth=2
	s_or_b64 exec, exec, s[24:25]
	v_mov_b32_e32 v1, 0
	s_waitcnt lgkmcnt(0)
	s_barrier
	s_and_saveexec_b64 s[24:25], s[0:1]
	s_cbranch_execz .LBB38_3
; %bb.25:                               ;   in Loop: Header=BB38_4 Depth=2
	ds_read_b32 v1, v8
	s_branch .LBB38_3
.LBB38_26:
	v_add_u32_e32 v0, v2, v24
	v_add_u32_e32 v1, v2, v21
	;; [unrolled: 1-line block ×3, first 2 shown]
	ds_read_b32 v1, v1 offset:32
	ds_read_b32 v3, v3 offset:32
	ds_read_b32 v0, v0 offset:32
	v_add_u32_e32 v9, v2, v33
	s_add_u32 s0, s30, s34
	s_addc_u32 s1, s31, s35
	s_waitcnt lgkmcnt(2)
	v_add3_u32 v7, v22, v20, v1
	v_add_u32_e32 v1, v2, v27
	s_waitcnt lgkmcnt(0)
	v_add3_u32 v8, v25, v23, v0
	v_add_u32_e32 v6, v3, v19
	v_add_u32_e32 v0, v2, v39
	;; [unrolled: 1-line block ×4, first 2 shown]
	ds_read_b32 v1, v1 offset:32
	ds_read_b32 v2, v2 offset:32
	;; [unrolled: 1-line block ×5, first 2 shown]
	s_waitcnt lgkmcnt(3)
	v_add3_u32 v0, v31, v29, v2
	v_add3_u32 v9, v28, v26, v1
	s_waitcnt lgkmcnt(1)
	v_add3_u32 v2, v37, v35, v3
	s_waitcnt lgkmcnt(0)
	v_add3_u32 v3, v4, v38, v11
	v_lshlrev_b32_e32 v4, 2, v5
	v_add3_u32 v1, v34, v32, v10
	global_store_dwordx4 v4, v[6:9], s[0:1]
	global_store_dwordx4 v4, v[0:3], s[0:1] offset:16
	s_endpgm
	.section	.rodata,"a",@progbits
	.p2align	6, 0x0
	.amdhsa_kernel _Z11rank_kernelIiLj4ELb0EL18RadixRankAlgorithm2ELj512ELj8ELj10EEvPKT_Pi
		.amdhsa_group_segment_fixed_size 2080
		.amdhsa_private_segment_fixed_size 0
		.amdhsa_kernarg_size 272
		.amdhsa_user_sgpr_count 6
		.amdhsa_user_sgpr_private_segment_buffer 1
		.amdhsa_user_sgpr_dispatch_ptr 0
		.amdhsa_user_sgpr_queue_ptr 0
		.amdhsa_user_sgpr_kernarg_segment_ptr 1
		.amdhsa_user_sgpr_dispatch_id 0
		.amdhsa_user_sgpr_flat_scratch_init 0
		.amdhsa_user_sgpr_private_segment_size 0
		.amdhsa_uses_dynamic_stack 0
		.amdhsa_system_sgpr_private_segment_wavefront_offset 0
		.amdhsa_system_sgpr_workgroup_id_x 1
		.amdhsa_system_sgpr_workgroup_id_y 0
		.amdhsa_system_sgpr_workgroup_id_z 0
		.amdhsa_system_sgpr_workgroup_info 0
		.amdhsa_system_vgpr_workitem_id 2
		.amdhsa_next_free_vgpr 42
		.amdhsa_next_free_sgpr 38
		.amdhsa_reserve_vcc 1
		.amdhsa_reserve_flat_scratch 0
		.amdhsa_float_round_mode_32 0
		.amdhsa_float_round_mode_16_64 0
		.amdhsa_float_denorm_mode_32 3
		.amdhsa_float_denorm_mode_16_64 3
		.amdhsa_dx10_clamp 1
		.amdhsa_ieee_mode 1
		.amdhsa_fp16_overflow 0
		.amdhsa_exception_fp_ieee_invalid_op 0
		.amdhsa_exception_fp_denorm_src 0
		.amdhsa_exception_fp_ieee_div_zero 0
		.amdhsa_exception_fp_ieee_overflow 0
		.amdhsa_exception_fp_ieee_underflow 0
		.amdhsa_exception_fp_ieee_inexact 0
		.amdhsa_exception_int_div_zero 0
	.end_amdhsa_kernel
	.section	.text._Z11rank_kernelIiLj4ELb0EL18RadixRankAlgorithm2ELj512ELj8ELj10EEvPKT_Pi,"axG",@progbits,_Z11rank_kernelIiLj4ELb0EL18RadixRankAlgorithm2ELj512ELj8ELj10EEvPKT_Pi,comdat
.Lfunc_end38:
	.size	_Z11rank_kernelIiLj4ELb0EL18RadixRankAlgorithm2ELj512ELj8ELj10EEvPKT_Pi, .Lfunc_end38-_Z11rank_kernelIiLj4ELb0EL18RadixRankAlgorithm2ELj512ELj8ELj10EEvPKT_Pi
                                        ; -- End function
	.set _Z11rank_kernelIiLj4ELb0EL18RadixRankAlgorithm2ELj512ELj8ELj10EEvPKT_Pi.num_vgpr, 42
	.set _Z11rank_kernelIiLj4ELb0EL18RadixRankAlgorithm2ELj512ELj8ELj10EEvPKT_Pi.num_agpr, 0
	.set _Z11rank_kernelIiLj4ELb0EL18RadixRankAlgorithm2ELj512ELj8ELj10EEvPKT_Pi.numbered_sgpr, 38
	.set _Z11rank_kernelIiLj4ELb0EL18RadixRankAlgorithm2ELj512ELj8ELj10EEvPKT_Pi.num_named_barrier, 0
	.set _Z11rank_kernelIiLj4ELb0EL18RadixRankAlgorithm2ELj512ELj8ELj10EEvPKT_Pi.private_seg_size, 0
	.set _Z11rank_kernelIiLj4ELb0EL18RadixRankAlgorithm2ELj512ELj8ELj10EEvPKT_Pi.uses_vcc, 1
	.set _Z11rank_kernelIiLj4ELb0EL18RadixRankAlgorithm2ELj512ELj8ELj10EEvPKT_Pi.uses_flat_scratch, 0
	.set _Z11rank_kernelIiLj4ELb0EL18RadixRankAlgorithm2ELj512ELj8ELj10EEvPKT_Pi.has_dyn_sized_stack, 0
	.set _Z11rank_kernelIiLj4ELb0EL18RadixRankAlgorithm2ELj512ELj8ELj10EEvPKT_Pi.has_recursion, 0
	.set _Z11rank_kernelIiLj4ELb0EL18RadixRankAlgorithm2ELj512ELj8ELj10EEvPKT_Pi.has_indirect_call, 0
	.section	.AMDGPU.csdata,"",@progbits
; Kernel info:
; codeLenInByte = 3076
; TotalNumSgprs: 42
; NumVgprs: 42
; ScratchSize: 0
; MemoryBound: 0
; FloatMode: 240
; IeeeMode: 1
; LDSByteSize: 2080 bytes/workgroup (compile time only)
; SGPRBlocks: 5
; VGPRBlocks: 10
; NumSGPRsForWavesPerEU: 42
; NumVGPRsForWavesPerEU: 42
; Occupancy: 5
; WaveLimiterHint : 0
; COMPUTE_PGM_RSRC2:SCRATCH_EN: 0
; COMPUTE_PGM_RSRC2:USER_SGPR: 6
; COMPUTE_PGM_RSRC2:TRAP_HANDLER: 0
; COMPUTE_PGM_RSRC2:TGID_X_EN: 1
; COMPUTE_PGM_RSRC2:TGID_Y_EN: 0
; COMPUTE_PGM_RSRC2:TGID_Z_EN: 0
; COMPUTE_PGM_RSRC2:TIDIG_COMP_CNT: 2
	.section	.text._Z11rank_kernelIiLj4ELb0EL18RadixRankAlgorithm0ELj512ELj16ELj10EEvPKT_Pi,"axG",@progbits,_Z11rank_kernelIiLj4ELb0EL18RadixRankAlgorithm0ELj512ELj16ELj10EEvPKT_Pi,comdat
	.protected	_Z11rank_kernelIiLj4ELb0EL18RadixRankAlgorithm0ELj512ELj16ELj10EEvPKT_Pi ; -- Begin function _Z11rank_kernelIiLj4ELb0EL18RadixRankAlgorithm0ELj512ELj16ELj10EEvPKT_Pi
	.globl	_Z11rank_kernelIiLj4ELb0EL18RadixRankAlgorithm0ELj512ELj16ELj10EEvPKT_Pi
	.p2align	8
	.type	_Z11rank_kernelIiLj4ELb0EL18RadixRankAlgorithm0ELj512ELj16ELj10EEvPKT_Pi,@function
_Z11rank_kernelIiLj4ELb0EL18RadixRankAlgorithm0ELj512ELj16ELj10EEvPKT_Pi: ; @_Z11rank_kernelIiLj4ELb0EL18RadixRankAlgorithm0ELj512ELj16ELj10EEvPKT_Pi
; %bb.0:
	s_load_dwordx4 s[24:27], s[4:5], 0x0
	s_lshl_b32 s30, s6, 13
	s_mov_b32 s31, 0
	s_lshl_b64 s[28:29], s[30:31], 2
	v_lshlrev_b32_e32 v1, 6, v0
	s_waitcnt lgkmcnt(0)
	s_add_u32 s0, s24, s28
	s_addc_u32 s1, s25, s29
	global_load_dwordx4 v[8:11], v1, s[0:1]
	global_load_dwordx4 v[12:15], v1, s[0:1] offset:16
	global_load_dwordx4 v[16:19], v1, s[0:1] offset:32
	;; [unrolled: 1-line block ×3, first 2 shown]
	v_mbcnt_lo_u32_b32 v4, -1, 0
	v_mbcnt_hi_u32_b32 v7, -1, v4
	v_subrev_co_u32_e64 v28, s[6:7], 1, v7
	v_and_b32_e32 v29, 64, v7
	v_or_b32_e32 v6, 63, v0
	v_lshrrev_b32_e32 v24, 4, v0
	v_cmp_lt_i32_e64 s[18:19], v28, v29
	v_lshlrev_b32_e32 v3, 5, v0
	v_mul_i32_i24_e32 v25, 0xffffffe4, v0
	v_and_b32_e32 v26, 15, v7
	v_and_b32_e32 v27, 16, v7
	v_cmp_lt_u32_e64 s[2:3], 31, v7
	v_cmp_eq_u32_e64 s[4:5], v0, v6
	v_and_b32_e32 v6, 28, v24
	v_and_b32_e32 v24, 7, v7
	v_cndmask_b32_e64 v7, v28, v7, s[18:19]
	v_mov_b32_e32 v1, 0
	s_movk_i32 s30, 0xdff
	s_movk_i32 s33, 0xe00
	v_lshlrev_b32_e32 v2, 4, v0
	v_cmp_gt_u32_e32 vcc, 8, v0
	v_cmp_lt_u32_e64 s[0:1], 63, v0
	v_lshlrev_b32_e32 v4, 2, v0
	v_or_b32_e32 v5, 0xfffffe00, v0
	v_cmp_eq_u32_e64 s[8:9], 0, v26
	v_cmp_lt_u32_e64 s[10:11], 1, v26
	v_cmp_lt_u32_e64 s[12:13], 3, v26
	;; [unrolled: 1-line block ×3, first 2 shown]
	v_cmp_eq_u32_e64 s[16:17], 0, v27
	v_cmp_eq_u32_e64 s[18:19], 0, v24
	v_cmp_lt_u32_e64 s[20:21], 1, v24
	v_cmp_lt_u32_e64 s[22:23], 3, v24
	v_lshlrev_b32_e32 v7, 2, v7
	v_add_u32_e32 v24, v3, v25
	s_waitcnt vmcnt(3)
	v_xor_b32_e32 v8, 0x80000000, v8
	v_xor_b32_e32 v9, 0x80000000, v9
	v_xor_b32_e32 v10, 0x80000000, v10
	v_xor_b32_e32 v11, 0x80000000, v11
	s_waitcnt vmcnt(2)
	v_xor_b32_e32 v12, 0x80000000, v12
	v_xor_b32_e32 v13, 0x80000000, v13
	v_xor_b32_e32 v14, 0x80000000, v14
	v_xor_b32_e32 v15, 0x80000000, v15
	;; [unrolled: 5-line block ×4, first 2 shown]
	s_branch .LBB39_2
.LBB39_1:                               ;   in Loop: Header=BB39_2 Depth=1
	s_add_i32 s31, s31, 1
	s_cmp_eq_u32 s31, 10
	s_cbranch_scc1 .LBB39_12
.LBB39_2:                               ; =>This Loop Header: Depth=1
                                        ;     Child Loop BB39_4 Depth 2
                                        ;       Child Loop BB39_5 Depth 3
	s_mov_b32 s36, 0
	s_branch .LBB39_4
.LBB39_3:                               ;   in Loop: Header=BB39_4 Depth=2
	s_or_b64 exec, exec, s[24:25]
	s_waitcnt lgkmcnt(0)
	v_add_u32_e32 v57, v58, v57
	ds_bpermute_b32 v57, v7, v57
	s_add_i32 s24, s36, 4
	s_cmp_lt_u32 s36, 28
	s_mov_b32 s36, s24
	s_waitcnt lgkmcnt(0)
	v_cndmask_b32_e64 v57, v57, v58, s[6:7]
	ds_read_b32 v58, v1 offset:16412
	s_waitcnt lgkmcnt(0)
	v_lshl_add_u32 v61, v58, 16, v57
	ds_read2_b64 v[57:60], v3 offset1:1
	s_waitcnt lgkmcnt(0)
	v_add_u32_e32 v62, v61, v57
	v_add_u32_e32 v57, v58, v62
	;; [unrolled: 1-line block ×3, first 2 shown]
	ds_write2_b64 v3, v[61:62], v[57:58] offset1:1
	v_add_u32_e32 v57, v60, v58
	ds_read_b64 v[58:59], v3 offset:16
	ds_read_b32 v60, v3 offset:24
	s_waitcnt lgkmcnt(1)
	v_add_u32_e32 v58, v58, v57
	v_add_u32_e32 v59, v59, v58
	s_waitcnt lgkmcnt(0)
	v_add_u32_e32 v60, v60, v59
	ds_write2_b64 v3, v[57:58], v[59:60] offset0:2 offset1:3
	s_waitcnt lgkmcnt(0)
	s_barrier
	s_cbranch_scc0 .LBB39_1
.LBB39_4:                               ;   Parent Loop BB39_2 Depth=1
                                        ; =>  This Loop Header: Depth=2
                                        ;       Child Loop BB39_5 Depth 3
	s_mov_b64 s[34:35], 0
	v_mov_b32_e32 v25, v5
	v_mov_b32_e32 v26, v4
.LBB39_5:                               ;   Parent Loop BB39_2 Depth=1
                                        ;     Parent Loop BB39_4 Depth=2
                                        ; =>    This Inner Loop Header: Depth=3
	v_add_u32_e32 v25, 0x200, v25
	v_cmp_lt_u32_e64 s[24:25], s30, v25
	ds_write_b32 v26, v1
	s_or_b64 s[34:35], s[24:25], s[34:35]
	v_add_u32_e32 v26, 0x800, v26
	s_andn2_b64 exec, exec, s[34:35]
	s_cbranch_execnz .LBB39_5
; %bb.6:                                ;   in Loop: Header=BB39_4 Depth=2
	s_or_b64 exec, exec, s[34:35]
	s_sub_i32 s24, 28, s36
	v_lshlrev_b32_e32 v25, s24, v8
	v_lshrrev_b32_e32 v26, 19, v25
	v_and_or_b32 v26, v26, s33, v0
	v_alignbit_b32 v25, v26, v25, 31
	v_lshlrev_b32_e32 v26, 1, v25
	ds_read_u16 v25, v26
	v_lshlrev_b32_e32 v27, s24, v9
	v_lshrrev_b32_e32 v28, 19, v27
	v_and_or_b32 v28, v28, s33, v0
	v_alignbit_b32 v27, v28, v27, 31
	s_waitcnt lgkmcnt(0)
	v_add_u16_e32 v28, 1, v25
	ds_write_b16 v26, v28
	v_lshlrev_b32_e32 v28, 1, v27
	ds_read_u16 v27, v28
	v_lshlrev_b32_e32 v29, s24, v10
	v_lshrrev_b32_e32 v30, 19, v29
	v_and_or_b32 v30, v30, s33, v0
	v_alignbit_b32 v29, v30, v29, 31
	s_waitcnt lgkmcnt(0)
	v_add_u16_e32 v31, 1, v27
	ds_write_b16 v28, v31
	;; [unrolled: 9-line block ×3, first 2 shown]
	v_lshlrev_b32_e32 v32, 1, v31
	ds_read_u16 v31, v32
	v_lshlrev_b32_e32 v33, s24, v12
	s_waitcnt lgkmcnt(0)
	v_add_u16_e32 v34, 1, v31
	ds_write_b16 v32, v34
	v_lshrrev_b32_e32 v34, 19, v33
	v_and_or_b32 v34, v34, s33, v0
	v_alignbit_b32 v33, v34, v33, 31
	v_lshlrev_b32_e32 v35, 1, v33
	ds_read_u16 v33, v35
	s_waitcnt lgkmcnt(0)
	v_add_u16_e32 v34, 1, v33
	ds_write_b16 v35, v34
	v_lshlrev_b32_e32 v34, s24, v13
	v_lshrrev_b32_e32 v36, 19, v34
	v_and_or_b32 v36, v36, s33, v0
	v_alignbit_b32 v34, v36, v34, 31
	v_lshlrev_b32_e32 v37, 1, v34
	ds_read_u16 v34, v37
	s_waitcnt lgkmcnt(0)
	v_add_u16_e32 v36, 1, v34
	ds_write_b16 v37, v36
	v_lshlrev_b32_e32 v36, s24, v14
	;; [unrolled: 9-line block ×11, first 2 shown]
	v_lshrrev_b32_e32 v56, 19, v54
	v_and_or_b32 v56, v56, s33, v0
	v_alignbit_b32 v54, v56, v54, 31
	v_lshlrev_b32_e32 v56, 1, v54
	ds_read_u16 v54, v56
	s_waitcnt lgkmcnt(0)
	v_add_u16_e32 v57, 1, v54
	ds_write_b16 v56, v57
	s_waitcnt lgkmcnt(0)
	s_barrier
	ds_read2_b64 v[57:60], v3 offset1:1
	s_waitcnt lgkmcnt(0)
	v_add_u32_e32 v57, v58, v57
	v_add3_u32 v61, v57, v59, v60
	ds_read2_b64 v[57:60], v3 offset0:2 offset1:3
	s_waitcnt lgkmcnt(0)
	v_add3_u32 v57, v61, v57, v58
	v_add3_u32 v57, v57, v59, v60
	s_nop 1
	v_mov_b32_dpp v58, v57 row_shr:1 row_mask:0xf bank_mask:0xf
	v_cndmask_b32_e64 v58, v58, 0, s[8:9]
	v_add_u32_e32 v57, v58, v57
	s_nop 1
	v_mov_b32_dpp v58, v57 row_shr:2 row_mask:0xf bank_mask:0xf
	v_cndmask_b32_e64 v58, 0, v58, s[10:11]
	v_add_u32_e32 v57, v57, v58
	;; [unrolled: 4-line block ×4, first 2 shown]
	s_nop 1
	v_mov_b32_dpp v58, v57 row_bcast:15 row_mask:0xf bank_mask:0xf
	v_cndmask_b32_e64 v58, v58, 0, s[16:17]
	v_add_u32_e32 v57, v57, v58
	s_nop 1
	v_mov_b32_dpp v58, v57 row_bcast:31 row_mask:0xf bank_mask:0xf
	v_cndmask_b32_e64 v58, 0, v58, s[2:3]
	v_add_u32_e32 v57, v57, v58
	s_and_saveexec_b64 s[24:25], s[4:5]
; %bb.7:                                ;   in Loop: Header=BB39_4 Depth=2
	ds_write_b32 v6, v57 offset:16384
; %bb.8:                                ;   in Loop: Header=BB39_4 Depth=2
	s_or_b64 exec, exec, s[24:25]
	s_waitcnt lgkmcnt(0)
	s_barrier
	s_and_saveexec_b64 s[24:25], vcc
	s_cbranch_execz .LBB39_10
; %bb.9:                                ;   in Loop: Header=BB39_4 Depth=2
	ds_read_b32 v58, v24 offset:16384
	s_waitcnt lgkmcnt(0)
	s_nop 0
	v_mov_b32_dpp v59, v58 row_shr:1 row_mask:0xf bank_mask:0xf
	v_cndmask_b32_e64 v59, v59, 0, s[18:19]
	v_add_u32_e32 v58, v59, v58
	s_nop 1
	v_mov_b32_dpp v59, v58 row_shr:2 row_mask:0xf bank_mask:0xf
	v_cndmask_b32_e64 v59, 0, v59, s[20:21]
	v_add_u32_e32 v58, v58, v59
	;; [unrolled: 4-line block ×3, first 2 shown]
	ds_write_b32 v24, v58 offset:16384
.LBB39_10:                              ;   in Loop: Header=BB39_4 Depth=2
	s_or_b64 exec, exec, s[24:25]
	v_mov_b32_e32 v58, 0
	s_waitcnt lgkmcnt(0)
	s_barrier
	s_and_saveexec_b64 s[24:25], s[0:1]
	s_cbranch_execz .LBB39_3
; %bb.11:                               ;   in Loop: Header=BB39_4 Depth=2
	ds_read_b32 v58, v6 offset:16380
	s_branch .LBB39_3
.LBB39_12:
	ds_read_u16 v0, v56
	ds_read_u16 v1, v55
	;; [unrolled: 1-line block ×16, first 2 shown]
	s_add_u32 s0, s26, s28
	s_waitcnt lgkmcnt(14)
	v_add_u32_sdwa v6, v0, v54 dst_sel:DWORD dst_unused:UNUSED_PAD src0_sel:DWORD src1_sel:WORD_0
	s_waitcnt lgkmcnt(13)
	v_add_u32_sdwa v4, v3, v50 dst_sel:DWORD dst_unused:UNUSED_PAD src0_sel:DWORD src1_sel:WORD_0
	;; [unrolled: 2-line block ×14, first 2 shown]
	s_addc_u32 s1, s27, s29
	v_lshlrev_b32_e32 v0, 2, v2
	v_add_u32_sdwa v5, v1, v52 dst_sel:DWORD dst_unused:UNUSED_PAD src0_sel:DWORD src1_sel:WORD_0
	v_add_u32_sdwa v9, v9, v44 dst_sel:DWORD dst_unused:UNUSED_PAD src0_sel:DWORD src1_sel:WORD_0
	global_store_dwordx4 v0, v[15:18], s[0:1]
	global_store_dwordx4 v0, v[11:14], s[0:1] offset:16
	global_store_dwordx4 v0, v[7:10], s[0:1] offset:32
	;; [unrolled: 1-line block ×3, first 2 shown]
	s_endpgm
	.section	.rodata,"a",@progbits
	.p2align	6, 0x0
	.amdhsa_kernel _Z11rank_kernelIiLj4ELb0EL18RadixRankAlgorithm0ELj512ELj16ELj10EEvPKT_Pi
		.amdhsa_group_segment_fixed_size 16416
		.amdhsa_private_segment_fixed_size 0
		.amdhsa_kernarg_size 16
		.amdhsa_user_sgpr_count 6
		.amdhsa_user_sgpr_private_segment_buffer 1
		.amdhsa_user_sgpr_dispatch_ptr 0
		.amdhsa_user_sgpr_queue_ptr 0
		.amdhsa_user_sgpr_kernarg_segment_ptr 1
		.amdhsa_user_sgpr_dispatch_id 0
		.amdhsa_user_sgpr_flat_scratch_init 0
		.amdhsa_user_sgpr_private_segment_size 0
		.amdhsa_uses_dynamic_stack 0
		.amdhsa_system_sgpr_private_segment_wavefront_offset 0
		.amdhsa_system_sgpr_workgroup_id_x 1
		.amdhsa_system_sgpr_workgroup_id_y 0
		.amdhsa_system_sgpr_workgroup_id_z 0
		.amdhsa_system_sgpr_workgroup_info 0
		.amdhsa_system_vgpr_workitem_id 0
		.amdhsa_next_free_vgpr 63
		.amdhsa_next_free_sgpr 93
		.amdhsa_reserve_vcc 1
		.amdhsa_reserve_flat_scratch 0
		.amdhsa_float_round_mode_32 0
		.amdhsa_float_round_mode_16_64 0
		.amdhsa_float_denorm_mode_32 3
		.amdhsa_float_denorm_mode_16_64 3
		.amdhsa_dx10_clamp 1
		.amdhsa_ieee_mode 1
		.amdhsa_fp16_overflow 0
		.amdhsa_exception_fp_ieee_invalid_op 0
		.amdhsa_exception_fp_denorm_src 0
		.amdhsa_exception_fp_ieee_div_zero 0
		.amdhsa_exception_fp_ieee_overflow 0
		.amdhsa_exception_fp_ieee_underflow 0
		.amdhsa_exception_fp_ieee_inexact 0
		.amdhsa_exception_int_div_zero 0
	.end_amdhsa_kernel
	.section	.text._Z11rank_kernelIiLj4ELb0EL18RadixRankAlgorithm0ELj512ELj16ELj10EEvPKT_Pi,"axG",@progbits,_Z11rank_kernelIiLj4ELb0EL18RadixRankAlgorithm0ELj512ELj16ELj10EEvPKT_Pi,comdat
.Lfunc_end39:
	.size	_Z11rank_kernelIiLj4ELb0EL18RadixRankAlgorithm0ELj512ELj16ELj10EEvPKT_Pi, .Lfunc_end39-_Z11rank_kernelIiLj4ELb0EL18RadixRankAlgorithm0ELj512ELj16ELj10EEvPKT_Pi
                                        ; -- End function
	.set _Z11rank_kernelIiLj4ELb0EL18RadixRankAlgorithm0ELj512ELj16ELj10EEvPKT_Pi.num_vgpr, 63
	.set _Z11rank_kernelIiLj4ELb0EL18RadixRankAlgorithm0ELj512ELj16ELj10EEvPKT_Pi.num_agpr, 0
	.set _Z11rank_kernelIiLj4ELb0EL18RadixRankAlgorithm0ELj512ELj16ELj10EEvPKT_Pi.numbered_sgpr, 37
	.set _Z11rank_kernelIiLj4ELb0EL18RadixRankAlgorithm0ELj512ELj16ELj10EEvPKT_Pi.num_named_barrier, 0
	.set _Z11rank_kernelIiLj4ELb0EL18RadixRankAlgorithm0ELj512ELj16ELj10EEvPKT_Pi.private_seg_size, 0
	.set _Z11rank_kernelIiLj4ELb0EL18RadixRankAlgorithm0ELj512ELj16ELj10EEvPKT_Pi.uses_vcc, 1
	.set _Z11rank_kernelIiLj4ELb0EL18RadixRankAlgorithm0ELj512ELj16ELj10EEvPKT_Pi.uses_flat_scratch, 0
	.set _Z11rank_kernelIiLj4ELb0EL18RadixRankAlgorithm0ELj512ELj16ELj10EEvPKT_Pi.has_dyn_sized_stack, 0
	.set _Z11rank_kernelIiLj4ELb0EL18RadixRankAlgorithm0ELj512ELj16ELj10EEvPKT_Pi.has_recursion, 0
	.set _Z11rank_kernelIiLj4ELb0EL18RadixRankAlgorithm0ELj512ELj16ELj10EEvPKT_Pi.has_indirect_call, 0
	.section	.AMDGPU.csdata,"",@progbits
; Kernel info:
; codeLenInByte = 2220
; TotalNumSgprs: 41
; NumVgprs: 63
; ScratchSize: 0
; MemoryBound: 0
; FloatMode: 240
; IeeeMode: 1
; LDSByteSize: 16416 bytes/workgroup (compile time only)
; SGPRBlocks: 12
; VGPRBlocks: 15
; NumSGPRsForWavesPerEU: 97
; NumVGPRsForWavesPerEU: 63
; Occupancy: 4
; WaveLimiterHint : 0
; COMPUTE_PGM_RSRC2:SCRATCH_EN: 0
; COMPUTE_PGM_RSRC2:USER_SGPR: 6
; COMPUTE_PGM_RSRC2:TRAP_HANDLER: 0
; COMPUTE_PGM_RSRC2:TGID_X_EN: 1
; COMPUTE_PGM_RSRC2:TGID_Y_EN: 0
; COMPUTE_PGM_RSRC2:TGID_Z_EN: 0
; COMPUTE_PGM_RSRC2:TIDIG_COMP_CNT: 0
	.section	.text._Z11rank_kernelIiLj4ELb0EL18RadixRankAlgorithm1ELj512ELj16ELj10EEvPKT_Pi,"axG",@progbits,_Z11rank_kernelIiLj4ELb0EL18RadixRankAlgorithm1ELj512ELj16ELj10EEvPKT_Pi,comdat
	.protected	_Z11rank_kernelIiLj4ELb0EL18RadixRankAlgorithm1ELj512ELj16ELj10EEvPKT_Pi ; -- Begin function _Z11rank_kernelIiLj4ELb0EL18RadixRankAlgorithm1ELj512ELj16ELj10EEvPKT_Pi
	.globl	_Z11rank_kernelIiLj4ELb0EL18RadixRankAlgorithm1ELj512ELj16ELj10EEvPKT_Pi
	.p2align	8
	.type	_Z11rank_kernelIiLj4ELb0EL18RadixRankAlgorithm1ELj512ELj16ELj10EEvPKT_Pi,@function
_Z11rank_kernelIiLj4ELb0EL18RadixRankAlgorithm1ELj512ELj16ELj10EEvPKT_Pi: ; @_Z11rank_kernelIiLj4ELb0EL18RadixRankAlgorithm1ELj512ELj16ELj10EEvPKT_Pi
; %bb.0:
	s_load_dwordx4 s[24:27], s[4:5], 0x0
	s_lshl_b32 s30, s6, 13
	s_mov_b32 s31, 0
	s_lshl_b64 s[28:29], s[30:31], 2
	v_lshlrev_b32_e32 v9, 6, v0
	s_waitcnt lgkmcnt(0)
	s_add_u32 s0, s24, s28
	s_addc_u32 s1, s25, s29
	global_load_dwordx4 v[1:4], v9, s[0:1]
	global_load_dwordx4 v[5:8], v9, s[0:1] offset:16
	global_load_dwordx4 v[24:27], v9, s[0:1] offset:32
	;; [unrolled: 1-line block ×3, first 2 shown]
	v_mbcnt_lo_u32_b32 v12, -1, 0
	v_mbcnt_hi_u32_b32 v15, -1, v12
	v_subrev_co_u32_e64 v19, s[6:7], 1, v15
	v_and_b32_e32 v20, 64, v15
	v_or_b32_e32 v14, 63, v0
	v_lshrrev_b32_e32 v16, 4, v0
	v_cmp_lt_i32_e64 s[18:19], v19, v20
	v_lshlrev_b32_e32 v11, 5, v0
	v_mul_i32_i24_e32 v32, 0xffffffe4, v0
	v_and_b32_e32 v17, 15, v15
	v_and_b32_e32 v18, 16, v15
	v_cmp_lt_u32_e64 s[2:3], 31, v15
	v_cmp_eq_u32_e64 s[4:5], v0, v14
	v_and_b32_e32 v14, 28, v16
	v_and_b32_e32 v16, 7, v15
	v_cndmask_b32_e64 v15, v19, v15, s[18:19]
	v_mov_b32_e32 v9, 0
	s_movk_i32 s30, 0xdff
	s_movk_i32 s33, 0xe00
	v_lshlrev_b32_e32 v10, 4, v0
	v_cmp_gt_u32_e32 vcc, 8, v0
	v_cmp_lt_u32_e64 s[0:1], 63, v0
	v_lshlrev_b32_e32 v12, 2, v0
	v_or_b32_e32 v13, 0xfffffe00, v0
	v_cmp_eq_u32_e64 s[8:9], 0, v17
	v_cmp_lt_u32_e64 s[10:11], 1, v17
	v_cmp_lt_u32_e64 s[12:13], 3, v17
	;; [unrolled: 1-line block ×3, first 2 shown]
	v_cmp_eq_u32_e64 s[16:17], 0, v18
	v_cmp_eq_u32_e64 s[18:19], 0, v16
	v_cmp_lt_u32_e64 s[20:21], 1, v16
	v_cmp_lt_u32_e64 s[22:23], 3, v16
	v_lshlrev_b32_e32 v15, 2, v15
	v_add_u32_e32 v32, v11, v32
	s_waitcnt vmcnt(3)
	v_xor_b32_e32 v16, 0x80000000, v1
	v_xor_b32_e32 v17, 0x80000000, v2
	v_xor_b32_e32 v18, 0x80000000, v3
	v_xor_b32_e32 v19, 0x80000000, v4
	s_waitcnt vmcnt(2)
	v_xor_b32_e32 v20, 0x80000000, v5
	v_xor_b32_e32 v21, 0x80000000, v6
	v_xor_b32_e32 v22, 0x80000000, v7
	v_xor_b32_e32 v23, 0x80000000, v8
	;; [unrolled: 5-line block ×4, first 2 shown]
	s_branch .LBB40_2
.LBB40_1:                               ;   in Loop: Header=BB40_2 Depth=1
	s_add_i32 s31, s31, 1
	s_cmp_eq_u32 s31, 10
	s_cbranch_scc1 .LBB40_12
.LBB40_2:                               ; =>This Loop Header: Depth=1
                                        ;     Child Loop BB40_4 Depth 2
                                        ;       Child Loop BB40_5 Depth 3
	s_mov_b32 s36, 0
	s_branch .LBB40_4
.LBB40_3:                               ;   in Loop: Header=BB40_4 Depth=2
	s_or_b64 exec, exec, s[24:25]
	s_waitcnt lgkmcnt(0)
	v_add_u32_e32 v4, v65, v4
	ds_bpermute_b32 v4, v15, v4
	ds_read_b32 v66, v9 offset:16412
	s_add_i32 s24, s36, 4
	s_cmp_lt_u32 s36, 28
	s_mov_b32 s36, s24
	s_waitcnt lgkmcnt(1)
	v_cndmask_b32_e64 v4, v4, v65, s[6:7]
	s_waitcnt lgkmcnt(0)
	v_lshl_add_u32 v4, v66, 16, v4
	v_add_u32_e32 v5, v4, v5
	v_add_u32_e32 v6, v5, v6
	;; [unrolled: 1-line block ×7, first 2 shown]
	ds_write2_b64 v11, v[4:5], v[6:7] offset1:1
	ds_write2_b64 v11, v[65:66], v[1:2] offset0:2 offset1:3
	s_waitcnt lgkmcnt(0)
	s_barrier
	s_cbranch_scc0 .LBB40_1
.LBB40_4:                               ;   Parent Loop BB40_2 Depth=1
                                        ; =>  This Loop Header: Depth=2
                                        ;       Child Loop BB40_5 Depth 3
	s_mov_b64 s[34:35], 0
	v_mov_b32_e32 v1, v13
	v_mov_b32_e32 v2, v12
.LBB40_5:                               ;   Parent Loop BB40_2 Depth=1
                                        ;     Parent Loop BB40_4 Depth=2
                                        ; =>    This Inner Loop Header: Depth=3
	v_add_u32_e32 v1, 0x200, v1
	v_cmp_lt_u32_e64 s[24:25], s30, v1
	ds_write_b32 v2, v9
	s_or_b64 s[34:35], s[24:25], s[34:35]
	v_add_u32_e32 v2, 0x800, v2
	s_andn2_b64 exec, exec, s[34:35]
	s_cbranch_execnz .LBB40_5
; %bb.6:                                ;   in Loop: Header=BB40_4 Depth=2
	s_or_b64 exec, exec, s[34:35]
	s_sub_i32 s24, 28, s36
	v_lshlrev_b32_e32 v1, s24, v16
	v_lshrrev_b32_e32 v2, 19, v1
	v_and_or_b32 v2, v2, s33, v0
	v_alignbit_b32 v1, v2, v1, 31
	v_lshlrev_b32_e32 v35, 1, v1
	ds_read_u16 v33, v35
	v_lshlrev_b32_e32 v1, s24, v17
	v_lshrrev_b32_e32 v2, 19, v1
	v_and_or_b32 v2, v2, s33, v0
	v_alignbit_b32 v1, v2, v1, 31
	s_waitcnt lgkmcnt(0)
	v_add_u16_e32 v2, 1, v33
	ds_write_b16 v35, v2
	v_lshlrev_b32_e32 v37, 1, v1
	ds_read_u16 v34, v37
	v_lshlrev_b32_e32 v1, s24, v18
	v_lshrrev_b32_e32 v2, 19, v1
	v_and_or_b32 v2, v2, s33, v0
	v_alignbit_b32 v1, v2, v1, 31
	s_waitcnt lgkmcnt(0)
	v_add_u16_e32 v3, 1, v34
	ds_write_b16 v37, v3
	;; [unrolled: 9-line block ×3, first 2 shown]
	v_lshlrev_b32_e32 v41, 1, v1
	ds_read_u16 v38, v41
	v_lshlrev_b32_e32 v1, s24, v20
	s_waitcnt lgkmcnt(0)
	v_add_u16_e32 v2, 1, v38
	ds_write_b16 v41, v2
	v_lshrrev_b32_e32 v2, 19, v1
	v_and_or_b32 v2, v2, s33, v0
	v_alignbit_b32 v1, v2, v1, 31
	v_lshlrev_b32_e32 v43, 1, v1
	ds_read_u16 v40, v43
	s_waitcnt lgkmcnt(0)
	v_add_u16_e32 v1, 1, v40
	ds_write_b16 v43, v1
	v_lshlrev_b32_e32 v1, s24, v21
	v_lshrrev_b32_e32 v2, 19, v1
	v_and_or_b32 v2, v2, s33, v0
	v_alignbit_b32 v1, v2, v1, 31
	v_lshlrev_b32_e32 v45, 1, v1
	ds_read_u16 v42, v45
	s_waitcnt lgkmcnt(0)
	v_add_u16_e32 v1, 1, v42
	ds_write_b16 v45, v1
	v_lshlrev_b32_e32 v1, s24, v22
	;; [unrolled: 9-line block ×11, first 2 shown]
	v_lshrrev_b32_e32 v2, 19, v1
	v_and_or_b32 v2, v2, s33, v0
	v_alignbit_b32 v1, v2, v1, 31
	v_lshlrev_b32_e32 v64, 1, v1
	ds_read_u16 v62, v64
	s_waitcnt lgkmcnt(0)
	v_add_u16_e32 v1, 1, v62
	ds_write_b16 v64, v1
	s_waitcnt lgkmcnt(0)
	s_barrier
	ds_read2_b64 v[5:8], v11 offset1:1
	ds_read2_b64 v[1:4], v11 offset0:2 offset1:3
	s_waitcnt lgkmcnt(1)
	v_add_u32_e32 v65, v6, v5
	v_add3_u32 v65, v65, v7, v8
	s_waitcnt lgkmcnt(0)
	v_add3_u32 v65, v65, v1, v2
	v_add3_u32 v4, v65, v3, v4
	s_nop 1
	v_mov_b32_dpp v65, v4 row_shr:1 row_mask:0xf bank_mask:0xf
	v_cndmask_b32_e64 v65, v65, 0, s[8:9]
	v_add_u32_e32 v4, v65, v4
	s_nop 1
	v_mov_b32_dpp v65, v4 row_shr:2 row_mask:0xf bank_mask:0xf
	v_cndmask_b32_e64 v65, 0, v65, s[10:11]
	v_add_u32_e32 v4, v4, v65
	;; [unrolled: 4-line block ×4, first 2 shown]
	s_nop 1
	v_mov_b32_dpp v65, v4 row_bcast:15 row_mask:0xf bank_mask:0xf
	v_cndmask_b32_e64 v65, v65, 0, s[16:17]
	v_add_u32_e32 v4, v4, v65
	s_nop 1
	v_mov_b32_dpp v65, v4 row_bcast:31 row_mask:0xf bank_mask:0xf
	v_cndmask_b32_e64 v65, 0, v65, s[2:3]
	v_add_u32_e32 v4, v4, v65
	s_and_saveexec_b64 s[24:25], s[4:5]
; %bb.7:                                ;   in Loop: Header=BB40_4 Depth=2
	ds_write_b32 v14, v4 offset:16384
; %bb.8:                                ;   in Loop: Header=BB40_4 Depth=2
	s_or_b64 exec, exec, s[24:25]
	s_waitcnt lgkmcnt(0)
	s_barrier
	s_and_saveexec_b64 s[24:25], vcc
	s_cbranch_execz .LBB40_10
; %bb.9:                                ;   in Loop: Header=BB40_4 Depth=2
	ds_read_b32 v65, v32 offset:16384
	s_waitcnt lgkmcnt(0)
	s_nop 0
	v_mov_b32_dpp v66, v65 row_shr:1 row_mask:0xf bank_mask:0xf
	v_cndmask_b32_e64 v66, v66, 0, s[18:19]
	v_add_u32_e32 v65, v66, v65
	s_nop 1
	v_mov_b32_dpp v66, v65 row_shr:2 row_mask:0xf bank_mask:0xf
	v_cndmask_b32_e64 v66, 0, v66, s[20:21]
	v_add_u32_e32 v65, v65, v66
	;; [unrolled: 4-line block ×3, first 2 shown]
	ds_write_b32 v32, v65 offset:16384
.LBB40_10:                              ;   in Loop: Header=BB40_4 Depth=2
	s_or_b64 exec, exec, s[24:25]
	v_mov_b32_e32 v65, 0
	s_waitcnt lgkmcnt(0)
	s_barrier
	s_and_saveexec_b64 s[24:25], s[0:1]
	s_cbranch_execz .LBB40_3
; %bb.11:                               ;   in Loop: Header=BB40_4 Depth=2
	ds_read_b32 v65, v14 offset:16380
	s_branch .LBB40_3
.LBB40_12:
	ds_read_u16 v0, v64
	ds_read_u16 v1, v63
	;; [unrolled: 1-line block ×16, first 2 shown]
	s_add_u32 s0, s26, s28
	s_waitcnt lgkmcnt(14)
	v_add_u32_sdwa v2, v1, v60 dst_sel:DWORD dst_unused:UNUSED_PAD src0_sel:DWORD src1_sel:WORD_0
	s_waitcnt lgkmcnt(13)
	v_add_u32_sdwa v1, v4, v58 dst_sel:DWORD dst_unused:UNUSED_PAD src0_sel:DWORD src1_sel:WORD_0
	;; [unrolled: 2-line block ×12, first 2 shown]
	s_addc_u32 s1, s27, s29
	v_lshlrev_b32_e32 v8, 2, v10
	v_add_u32_sdwa v3, v0, v62 dst_sel:DWORD dst_unused:UNUSED_PAD src0_sel:DWORD src1_sel:WORD_0
	v_add_u32_sdwa v0, v5, v56 dst_sel:DWORD dst_unused:UNUSED_PAD src0_sel:DWORD src1_sel:WORD_0
	;; [unrolled: 1-line block ×4, first 2 shown]
	global_store_dwordx4 v8, v[15:18], s[0:1]
	global_store_dwordx4 v8, v[11:14], s[0:1] offset:16
	global_store_dwordx4 v8, v[4:7], s[0:1] offset:32
	;; [unrolled: 1-line block ×3, first 2 shown]
	s_endpgm
	.section	.rodata,"a",@progbits
	.p2align	6, 0x0
	.amdhsa_kernel _Z11rank_kernelIiLj4ELb0EL18RadixRankAlgorithm1ELj512ELj16ELj10EEvPKT_Pi
		.amdhsa_group_segment_fixed_size 16416
		.amdhsa_private_segment_fixed_size 0
		.amdhsa_kernarg_size 16
		.amdhsa_user_sgpr_count 6
		.amdhsa_user_sgpr_private_segment_buffer 1
		.amdhsa_user_sgpr_dispatch_ptr 0
		.amdhsa_user_sgpr_queue_ptr 0
		.amdhsa_user_sgpr_kernarg_segment_ptr 1
		.amdhsa_user_sgpr_dispatch_id 0
		.amdhsa_user_sgpr_flat_scratch_init 0
		.amdhsa_user_sgpr_private_segment_size 0
		.amdhsa_uses_dynamic_stack 0
		.amdhsa_system_sgpr_private_segment_wavefront_offset 0
		.amdhsa_system_sgpr_workgroup_id_x 1
		.amdhsa_system_sgpr_workgroup_id_y 0
		.amdhsa_system_sgpr_workgroup_id_z 0
		.amdhsa_system_sgpr_workgroup_info 0
		.amdhsa_system_vgpr_workitem_id 0
		.amdhsa_next_free_vgpr 67
		.amdhsa_next_free_sgpr 93
		.amdhsa_reserve_vcc 1
		.amdhsa_reserve_flat_scratch 0
		.amdhsa_float_round_mode_32 0
		.amdhsa_float_round_mode_16_64 0
		.amdhsa_float_denorm_mode_32 3
		.amdhsa_float_denorm_mode_16_64 3
		.amdhsa_dx10_clamp 1
		.amdhsa_ieee_mode 1
		.amdhsa_fp16_overflow 0
		.amdhsa_exception_fp_ieee_invalid_op 0
		.amdhsa_exception_fp_denorm_src 0
		.amdhsa_exception_fp_ieee_div_zero 0
		.amdhsa_exception_fp_ieee_overflow 0
		.amdhsa_exception_fp_ieee_underflow 0
		.amdhsa_exception_fp_ieee_inexact 0
		.amdhsa_exception_int_div_zero 0
	.end_amdhsa_kernel
	.section	.text._Z11rank_kernelIiLj4ELb0EL18RadixRankAlgorithm1ELj512ELj16ELj10EEvPKT_Pi,"axG",@progbits,_Z11rank_kernelIiLj4ELb0EL18RadixRankAlgorithm1ELj512ELj16ELj10EEvPKT_Pi,comdat
.Lfunc_end40:
	.size	_Z11rank_kernelIiLj4ELb0EL18RadixRankAlgorithm1ELj512ELj16ELj10EEvPKT_Pi, .Lfunc_end40-_Z11rank_kernelIiLj4ELb0EL18RadixRankAlgorithm1ELj512ELj16ELj10EEvPKT_Pi
                                        ; -- End function
	.set _Z11rank_kernelIiLj4ELb0EL18RadixRankAlgorithm1ELj512ELj16ELj10EEvPKT_Pi.num_vgpr, 67
	.set _Z11rank_kernelIiLj4ELb0EL18RadixRankAlgorithm1ELj512ELj16ELj10EEvPKT_Pi.num_agpr, 0
	.set _Z11rank_kernelIiLj4ELb0EL18RadixRankAlgorithm1ELj512ELj16ELj10EEvPKT_Pi.numbered_sgpr, 37
	.set _Z11rank_kernelIiLj4ELb0EL18RadixRankAlgorithm1ELj512ELj16ELj10EEvPKT_Pi.num_named_barrier, 0
	.set _Z11rank_kernelIiLj4ELb0EL18RadixRankAlgorithm1ELj512ELj16ELj10EEvPKT_Pi.private_seg_size, 0
	.set _Z11rank_kernelIiLj4ELb0EL18RadixRankAlgorithm1ELj512ELj16ELj10EEvPKT_Pi.uses_vcc, 1
	.set _Z11rank_kernelIiLj4ELb0EL18RadixRankAlgorithm1ELj512ELj16ELj10EEvPKT_Pi.uses_flat_scratch, 0
	.set _Z11rank_kernelIiLj4ELb0EL18RadixRankAlgorithm1ELj512ELj16ELj10EEvPKT_Pi.has_dyn_sized_stack, 0
	.set _Z11rank_kernelIiLj4ELb0EL18RadixRankAlgorithm1ELj512ELj16ELj10EEvPKT_Pi.has_recursion, 0
	.set _Z11rank_kernelIiLj4ELb0EL18RadixRankAlgorithm1ELj512ELj16ELj10EEvPKT_Pi.has_indirect_call, 0
	.section	.AMDGPU.csdata,"",@progbits
; Kernel info:
; codeLenInByte = 2176
; TotalNumSgprs: 41
; NumVgprs: 67
; ScratchSize: 0
; MemoryBound: 0
; FloatMode: 240
; IeeeMode: 1
; LDSByteSize: 16416 bytes/workgroup (compile time only)
; SGPRBlocks: 12
; VGPRBlocks: 16
; NumSGPRsForWavesPerEU: 97
; NumVGPRsForWavesPerEU: 67
; Occupancy: 3
; WaveLimiterHint : 0
; COMPUTE_PGM_RSRC2:SCRATCH_EN: 0
; COMPUTE_PGM_RSRC2:USER_SGPR: 6
; COMPUTE_PGM_RSRC2:TRAP_HANDLER: 0
; COMPUTE_PGM_RSRC2:TGID_X_EN: 1
; COMPUTE_PGM_RSRC2:TGID_Y_EN: 0
; COMPUTE_PGM_RSRC2:TGID_Z_EN: 0
; COMPUTE_PGM_RSRC2:TIDIG_COMP_CNT: 0
	.section	.text._Z11rank_kernelIiLj4ELb0EL18RadixRankAlgorithm2ELj512ELj16ELj10EEvPKT_Pi,"axG",@progbits,_Z11rank_kernelIiLj4ELb0EL18RadixRankAlgorithm2ELj512ELj16ELj10EEvPKT_Pi,comdat
	.protected	_Z11rank_kernelIiLj4ELb0EL18RadixRankAlgorithm2ELj512ELj16ELj10EEvPKT_Pi ; -- Begin function _Z11rank_kernelIiLj4ELb0EL18RadixRankAlgorithm2ELj512ELj16ELj10EEvPKT_Pi
	.globl	_Z11rank_kernelIiLj4ELb0EL18RadixRankAlgorithm2ELj512ELj16ELj10EEvPKT_Pi
	.p2align	8
	.type	_Z11rank_kernelIiLj4ELb0EL18RadixRankAlgorithm2ELj512ELj16ELj10EEvPKT_Pi,@function
_Z11rank_kernelIiLj4ELb0EL18RadixRankAlgorithm2ELj512ELj16ELj10EEvPKT_Pi: ; @_Z11rank_kernelIiLj4ELb0EL18RadixRankAlgorithm2ELj512ELj16ELj10EEvPKT_Pi
; %bb.0:
	s_load_dwordx4 s[28:31], s[4:5], 0x0
	s_load_dword s22, s[4:5], 0x1c
	s_lshl_b32 s36, s6, 13
	s_mov_b32 s37, 0
	s_lshl_b64 s[34:35], s[36:37], 2
	s_waitcnt lgkmcnt(0)
	s_add_u32 s0, s28, s34
	s_addc_u32 s1, s29, s35
	v_lshlrev_b32_e32 v3, 6, v0
	global_load_dwordx4 v[11:14], v3, s[0:1]
	global_load_dwordx4 v[15:18], v3, s[0:1] offset:16
	global_load_dwordx4 v[19:22], v3, s[0:1] offset:32
	;; [unrolled: 1-line block ×3, first 2 shown]
	s_lshr_b32 s23, s22, 16
	v_or_b32_e32 v7, 63, v0
	s_and_b32 s22, s22, 0xffff
	v_mad_u32_u24 v1, v2, s23, v1
	v_mbcnt_lo_u32_b32 v4, -1, 0
	v_lshlrev_b32_e32 v5, 4, v0
	v_lshlrev_b32_e32 v6, 2, v0
	v_cmp_gt_u32_e32 vcc, 8, v0
	v_cmp_lt_u32_e64 s[0:1], 63, v0
	v_lshrrev_b32_e32 v8, 4, v0
	v_cmp_eq_u32_e64 s[4:5], v0, v7
	v_mad_u64_u32 v[0:1], s[22:23], v1, s22, v[0:1]
	v_mbcnt_hi_u32_b32 v4, -1, v4
	v_subrev_co_u32_e64 v23, s[6:7], 1, v4
	v_and_b32_e32 v28, 64, v4
	v_cmp_lt_i32_e64 s[18:19], v23, v28
	v_and_b32_e32 v9, 15, v4
	v_and_b32_e32 v10, 16, v4
	v_cmp_lt_u32_e64 s[2:3], 31, v4
	v_and_b32_e32 v7, 28, v8
	v_and_b32_e32 v8, 7, v4
	v_cndmask_b32_e64 v4, v23, v4, s[18:19]
	v_lshrrev_b32_e32 v0, 4, v0
	v_mov_b32_e32 v3, 0
	v_cmp_eq_u32_e64 s[8:9], 0, v9
	v_cmp_lt_u32_e64 s[10:11], 1, v9
	v_cmp_lt_u32_e64 s[12:13], 3, v9
	;; [unrolled: 1-line block ×3, first 2 shown]
	v_cmp_eq_u32_e64 s[16:17], 0, v10
	v_cmp_eq_u32_e64 s[18:19], 0, v8
	v_cmp_lt_u32_e64 s[20:21], 1, v8
	v_cmp_lt_u32_e64 s[22:23], 3, v8
	v_add_u32_e32 v9, -4, v7
	v_lshlrev_b32_e32 v10, 2, v4
	v_and_b32_e32 v2, 0xffffffc, v0
	s_waitcnt vmcnt(3)
	v_xor_b32_e32 v11, 0x80000000, v11
	v_xor_b32_e32 v12, 0x80000000, v12
	v_xor_b32_e32 v13, 0x80000000, v13
	v_xor_b32_e32 v14, 0x80000000, v14
	s_waitcnt vmcnt(2)
	v_xor_b32_e32 v15, 0x80000000, v15
	v_xor_b32_e32 v16, 0x80000000, v16
	v_xor_b32_e32 v17, 0x80000000, v17
	v_xor_b32_e32 v18, 0x80000000, v18
	;; [unrolled: 5-line block ×4, first 2 shown]
	s_branch .LBB41_2
.LBB41_1:                               ;   in Loop: Header=BB41_2 Depth=1
	s_add_i32 s37, s37, 1
	s_cmp_eq_u32 s37, 10
	s_cbranch_scc1 .LBB41_42
.LBB41_2:                               ; =>This Loop Header: Depth=1
                                        ;     Child Loop BB41_4 Depth 2
	s_mov_b32 s28, -4
	s_mov_b32 s29, 28
	s_branch .LBB41_4
.LBB41_3:                               ;   in Loop: Header=BB41_4 Depth=2
	s_or_b64 exec, exec, s[24:25]
	s_waitcnt lgkmcnt(0)
	v_add_u32_e32 v0, v1, v0
	ds_bpermute_b32 v0, v10, v0
	s_add_i32 s29, s29, -4
	s_add_i32 s28, s28, 4
	s_cmp_lt_u32 s28, 28
	s_waitcnt lgkmcnt(0)
	v_cndmask_b32_e64 v0, v0, v1, s[6:7]
	ds_write_b32 v6, v0 offset:32
	s_waitcnt lgkmcnt(0)
	s_barrier
	s_cbranch_scc0 .LBB41_1
.LBB41_4:                               ;   Parent Loop BB41_2 Depth=1
                                        ; =>  This Inner Loop Header: Depth=2
	v_lshlrev_b32_e32 v0, s29, v11
	v_lshrrev_b32_e32 v0, 28, v0
	v_and_b32_e32 v1, 1, v0
	v_add_co_u32_e64 v4, s[24:25], -1, v1
	v_addc_co_u32_e64 v22, s[24:25], 0, -1, s[24:25]
	v_cmp_ne_u32_e64 s[24:25], 0, v1
	v_xor_b32_e32 v4, s24, v4
	v_xor_b32_e32 v1, s25, v22
	v_and_b32_e32 v22, exec_lo, v4
	v_lshlrev_b32_e32 v4, 30, v0
	v_cmp_gt_i64_e64 s[24:25], 0, v[3:4]
	v_not_b32_e32 v4, v4
	v_ashrrev_i32_e32 v4, 31, v4
	v_xor_b32_e32 v28, s25, v4
	v_xor_b32_e32 v4, s24, v4
	v_and_b32_e32 v22, v22, v4
	v_lshlrev_b32_e32 v4, 29, v0
	v_cmp_gt_i64_e64 s[24:25], 0, v[3:4]
	v_not_b32_e32 v4, v4
	v_and_b32_e32 v1, exec_hi, v1
	v_ashrrev_i32_e32 v4, 31, v4
	v_and_b32_e32 v1, v1, v28
	v_xor_b32_e32 v28, s25, v4
	v_xor_b32_e32 v4, s24, v4
	v_and_b32_e32 v22, v22, v4
	v_lshlrev_b32_e32 v4, 28, v0
	v_mul_u32_u24_e32 v8, 36, v0
	v_cmp_gt_i64_e64 s[24:25], 0, v[3:4]
	v_not_b32_e32 v0, v4
	v_ashrrev_i32_e32 v0, 31, v0
	v_xor_b32_e32 v4, s25, v0
	v_xor_b32_e32 v0, s24, v0
	v_and_b32_e32 v1, v1, v28
	v_and_b32_e32 v0, v22, v0
	;; [unrolled: 1-line block ×3, first 2 shown]
	v_mbcnt_lo_u32_b32 v4, v0, 0
	v_mbcnt_hi_u32_b32 v22, v1, v4
	v_cmp_ne_u64_e64 s[24:25], 0, v[0:1]
	v_cmp_eq_u32_e64 s[26:27], 0, v22
	s_and_b64 s[26:27], s[24:25], s[26:27]
	ds_write_b32 v6, v3 offset:32
	s_waitcnt lgkmcnt(0)
	s_barrier
	; wave barrier
	s_and_saveexec_b64 s[24:25], s[26:27]
; %bb.5:                                ;   in Loop: Header=BB41_4 Depth=2
	v_bcnt_u32_b32 v0, v0, 0
	v_bcnt_u32_b32 v0, v1, v0
	v_add_u32_e32 v1, v2, v8
	ds_write_b32 v1, v0 offset:32
; %bb.6:                                ;   in Loop: Header=BB41_4 Depth=2
	s_or_b64 exec, exec, s[24:25]
	v_lshlrev_b32_e32 v0, s29, v12
	v_lshrrev_b32_e32 v0, 28, v0
	v_mad_u32_u24 v1, v0, 36, v2
	; wave barrier
	ds_read_b32 v28, v1 offset:32
	v_and_b32_e32 v1, 1, v0
	v_add_co_u32_e64 v4, s[24:25], -1, v1
	v_addc_co_u32_e64 v30, s[24:25], 0, -1, s[24:25]
	v_cmp_ne_u32_e64 s[24:25], 0, v1
	v_xor_b32_e32 v4, s24, v4
	v_xor_b32_e32 v1, s25, v30
	v_and_b32_e32 v30, exec_lo, v4
	v_lshlrev_b32_e32 v4, 30, v0
	v_cmp_gt_i64_e64 s[24:25], 0, v[3:4]
	v_not_b32_e32 v4, v4
	v_ashrrev_i32_e32 v4, 31, v4
	v_xor_b32_e32 v31, s25, v4
	v_xor_b32_e32 v4, s24, v4
	v_and_b32_e32 v30, v30, v4
	v_lshlrev_b32_e32 v4, 29, v0
	v_cmp_gt_i64_e64 s[24:25], 0, v[3:4]
	v_not_b32_e32 v4, v4
	v_and_b32_e32 v1, exec_hi, v1
	v_ashrrev_i32_e32 v4, 31, v4
	v_and_b32_e32 v1, v1, v31
	v_xor_b32_e32 v31, s25, v4
	v_xor_b32_e32 v4, s24, v4
	v_and_b32_e32 v30, v30, v4
	v_lshlrev_b32_e32 v4, 28, v0
	v_mul_u32_u24_e32 v29, 36, v0
	v_cmp_gt_i64_e64 s[24:25], 0, v[3:4]
	v_not_b32_e32 v0, v4
	v_ashrrev_i32_e32 v0, 31, v0
	v_xor_b32_e32 v4, s25, v0
	v_xor_b32_e32 v0, s24, v0
	v_and_b32_e32 v1, v1, v31
	v_and_b32_e32 v0, v30, v0
	;; [unrolled: 1-line block ×3, first 2 shown]
	v_mbcnt_lo_u32_b32 v4, v0, 0
	v_mbcnt_hi_u32_b32 v30, v1, v4
	v_cmp_ne_u64_e64 s[24:25], 0, v[0:1]
	v_cmp_eq_u32_e64 s[26:27], 0, v30
	s_and_b64 s[26:27], s[24:25], s[26:27]
	; wave barrier
	s_and_saveexec_b64 s[24:25], s[26:27]
	s_cbranch_execz .LBB41_8
; %bb.7:                                ;   in Loop: Header=BB41_4 Depth=2
	v_bcnt_u32_b32 v0, v0, 0
	v_bcnt_u32_b32 v0, v1, v0
	s_waitcnt lgkmcnt(0)
	v_add_u32_e32 v0, v28, v0
	v_add_u32_e32 v1, v2, v29
	ds_write_b32 v1, v0 offset:32
.LBB41_8:                               ;   in Loop: Header=BB41_4 Depth=2
	s_or_b64 exec, exec, s[24:25]
	v_lshlrev_b32_e32 v0, s29, v13
	v_lshrrev_b32_e32 v0, 28, v0
	v_mad_u32_u24 v1, v0, 36, v2
	; wave barrier
	ds_read_b32 v31, v1 offset:32
	v_and_b32_e32 v1, 1, v0
	v_add_co_u32_e64 v4, s[24:25], -1, v1
	v_addc_co_u32_e64 v33, s[24:25], 0, -1, s[24:25]
	v_cmp_ne_u32_e64 s[24:25], 0, v1
	v_xor_b32_e32 v4, s24, v4
	v_xor_b32_e32 v1, s25, v33
	v_and_b32_e32 v33, exec_lo, v4
	v_lshlrev_b32_e32 v4, 30, v0
	v_cmp_gt_i64_e64 s[24:25], 0, v[3:4]
	v_not_b32_e32 v4, v4
	v_ashrrev_i32_e32 v4, 31, v4
	v_xor_b32_e32 v34, s25, v4
	v_xor_b32_e32 v4, s24, v4
	v_and_b32_e32 v33, v33, v4
	v_lshlrev_b32_e32 v4, 29, v0
	v_cmp_gt_i64_e64 s[24:25], 0, v[3:4]
	v_not_b32_e32 v4, v4
	v_and_b32_e32 v1, exec_hi, v1
	v_ashrrev_i32_e32 v4, 31, v4
	v_and_b32_e32 v1, v1, v34
	v_xor_b32_e32 v34, s25, v4
	v_xor_b32_e32 v4, s24, v4
	v_and_b32_e32 v33, v33, v4
	v_lshlrev_b32_e32 v4, 28, v0
	v_mul_u32_u24_e32 v32, 36, v0
	v_cmp_gt_i64_e64 s[24:25], 0, v[3:4]
	v_not_b32_e32 v0, v4
	v_ashrrev_i32_e32 v0, 31, v0
	v_xor_b32_e32 v4, s25, v0
	v_xor_b32_e32 v0, s24, v0
	v_and_b32_e32 v1, v1, v34
	v_and_b32_e32 v0, v33, v0
	;; [unrolled: 1-line block ×3, first 2 shown]
	v_mbcnt_lo_u32_b32 v4, v0, 0
	v_mbcnt_hi_u32_b32 v33, v1, v4
	v_cmp_ne_u64_e64 s[24:25], 0, v[0:1]
	v_cmp_eq_u32_e64 s[26:27], 0, v33
	s_and_b64 s[26:27], s[24:25], s[26:27]
	; wave barrier
	s_and_saveexec_b64 s[24:25], s[26:27]
	s_cbranch_execz .LBB41_10
; %bb.9:                                ;   in Loop: Header=BB41_4 Depth=2
	v_bcnt_u32_b32 v0, v0, 0
	v_bcnt_u32_b32 v0, v1, v0
	s_waitcnt lgkmcnt(0)
	v_add_u32_e32 v0, v31, v0
	v_add_u32_e32 v1, v2, v32
	ds_write_b32 v1, v0 offset:32
.LBB41_10:                              ;   in Loop: Header=BB41_4 Depth=2
	s_or_b64 exec, exec, s[24:25]
	v_lshlrev_b32_e32 v0, s29, v14
	v_lshrrev_b32_e32 v0, 28, v0
	v_mad_u32_u24 v1, v0, 36, v2
	; wave barrier
	ds_read_b32 v34, v1 offset:32
	v_and_b32_e32 v1, 1, v0
	v_add_co_u32_e64 v4, s[24:25], -1, v1
	v_addc_co_u32_e64 v36, s[24:25], 0, -1, s[24:25]
	v_cmp_ne_u32_e64 s[24:25], 0, v1
	v_xor_b32_e32 v4, s24, v4
	v_xor_b32_e32 v1, s25, v36
	v_and_b32_e32 v36, exec_lo, v4
	v_lshlrev_b32_e32 v4, 30, v0
	v_cmp_gt_i64_e64 s[24:25], 0, v[3:4]
	v_not_b32_e32 v4, v4
	v_ashrrev_i32_e32 v4, 31, v4
	v_xor_b32_e32 v37, s25, v4
	v_xor_b32_e32 v4, s24, v4
	v_and_b32_e32 v36, v36, v4
	v_lshlrev_b32_e32 v4, 29, v0
	v_cmp_gt_i64_e64 s[24:25], 0, v[3:4]
	v_not_b32_e32 v4, v4
	v_and_b32_e32 v1, exec_hi, v1
	v_ashrrev_i32_e32 v4, 31, v4
	v_and_b32_e32 v1, v1, v37
	v_xor_b32_e32 v37, s25, v4
	v_xor_b32_e32 v4, s24, v4
	v_and_b32_e32 v36, v36, v4
	v_lshlrev_b32_e32 v4, 28, v0
	v_mul_u32_u24_e32 v35, 36, v0
	v_cmp_gt_i64_e64 s[24:25], 0, v[3:4]
	v_not_b32_e32 v0, v4
	v_ashrrev_i32_e32 v0, 31, v0
	v_xor_b32_e32 v4, s25, v0
	v_xor_b32_e32 v0, s24, v0
	v_and_b32_e32 v1, v1, v37
	v_and_b32_e32 v0, v36, v0
	v_and_b32_e32 v1, v1, v4
	v_mbcnt_lo_u32_b32 v4, v0, 0
	v_mbcnt_hi_u32_b32 v36, v1, v4
	v_cmp_ne_u64_e64 s[24:25], 0, v[0:1]
	v_cmp_eq_u32_e64 s[26:27], 0, v36
	s_and_b64 s[26:27], s[24:25], s[26:27]
	; wave barrier
	s_and_saveexec_b64 s[24:25], s[26:27]
	s_cbranch_execz .LBB41_12
; %bb.11:                               ;   in Loop: Header=BB41_4 Depth=2
	v_bcnt_u32_b32 v0, v0, 0
	v_bcnt_u32_b32 v0, v1, v0
	s_waitcnt lgkmcnt(0)
	v_add_u32_e32 v0, v34, v0
	v_add_u32_e32 v1, v2, v35
	ds_write_b32 v1, v0 offset:32
.LBB41_12:                              ;   in Loop: Header=BB41_4 Depth=2
	s_or_b64 exec, exec, s[24:25]
	v_lshlrev_b32_e32 v0, s29, v15
	v_lshrrev_b32_e32 v0, 28, v0
	v_mad_u32_u24 v1, v0, 36, v2
	; wave barrier
	ds_read_b32 v37, v1 offset:32
	v_and_b32_e32 v1, 1, v0
	v_add_co_u32_e64 v4, s[24:25], -1, v1
	v_addc_co_u32_e64 v39, s[24:25], 0, -1, s[24:25]
	v_cmp_ne_u32_e64 s[24:25], 0, v1
	v_xor_b32_e32 v4, s24, v4
	v_xor_b32_e32 v1, s25, v39
	v_and_b32_e32 v39, exec_lo, v4
	v_lshlrev_b32_e32 v4, 30, v0
	v_cmp_gt_i64_e64 s[24:25], 0, v[3:4]
	v_not_b32_e32 v4, v4
	v_ashrrev_i32_e32 v4, 31, v4
	v_xor_b32_e32 v40, s25, v4
	v_xor_b32_e32 v4, s24, v4
	v_and_b32_e32 v39, v39, v4
	v_lshlrev_b32_e32 v4, 29, v0
	v_cmp_gt_i64_e64 s[24:25], 0, v[3:4]
	v_not_b32_e32 v4, v4
	v_and_b32_e32 v1, exec_hi, v1
	v_ashrrev_i32_e32 v4, 31, v4
	v_and_b32_e32 v1, v1, v40
	v_xor_b32_e32 v40, s25, v4
	v_xor_b32_e32 v4, s24, v4
	v_and_b32_e32 v39, v39, v4
	v_lshlrev_b32_e32 v4, 28, v0
	v_mul_u32_u24_e32 v38, 36, v0
	v_cmp_gt_i64_e64 s[24:25], 0, v[3:4]
	v_not_b32_e32 v0, v4
	v_ashrrev_i32_e32 v0, 31, v0
	v_xor_b32_e32 v4, s25, v0
	v_xor_b32_e32 v0, s24, v0
	v_and_b32_e32 v1, v1, v40
	v_and_b32_e32 v0, v39, v0
	v_and_b32_e32 v1, v1, v4
	v_mbcnt_lo_u32_b32 v4, v0, 0
	v_mbcnt_hi_u32_b32 v39, v1, v4
	v_cmp_ne_u64_e64 s[24:25], 0, v[0:1]
	v_cmp_eq_u32_e64 s[26:27], 0, v39
	s_and_b64 s[26:27], s[24:25], s[26:27]
	; wave barrier
	s_and_saveexec_b64 s[24:25], s[26:27]
	s_cbranch_execz .LBB41_14
; %bb.13:                               ;   in Loop: Header=BB41_4 Depth=2
	v_bcnt_u32_b32 v0, v0, 0
	v_bcnt_u32_b32 v0, v1, v0
	s_waitcnt lgkmcnt(0)
	v_add_u32_e32 v0, v37, v0
	v_add_u32_e32 v1, v2, v38
	ds_write_b32 v1, v0 offset:32
.LBB41_14:                              ;   in Loop: Header=BB41_4 Depth=2
	;; [unrolled: 55-line block ×13, first 2 shown]
	s_or_b64 exec, exec, s[24:25]
	; wave barrier
	s_waitcnt lgkmcnt(0)
	s_barrier
	ds_read_b32 v0, v6 offset:32
	s_waitcnt lgkmcnt(0)
	s_nop 0
	v_mov_b32_dpp v1, v0 row_shr:1 row_mask:0xf bank_mask:0xf
	v_cndmask_b32_e64 v1, v1, 0, s[8:9]
	v_add_u32_e32 v0, v1, v0
	s_nop 1
	v_mov_b32_dpp v1, v0 row_shr:2 row_mask:0xf bank_mask:0xf
	v_cndmask_b32_e64 v1, 0, v1, s[10:11]
	v_add_u32_e32 v0, v0, v1
	;; [unrolled: 4-line block ×4, first 2 shown]
	s_nop 1
	v_mov_b32_dpp v1, v0 row_bcast:15 row_mask:0xf bank_mask:0xf
	v_cndmask_b32_e64 v1, v1, 0, s[16:17]
	v_add_u32_e32 v0, v0, v1
	s_nop 1
	v_mov_b32_dpp v1, v0 row_bcast:31 row_mask:0xf bank_mask:0xf
	v_cndmask_b32_e64 v1, 0, v1, s[2:3]
	v_add_u32_e32 v0, v0, v1
	s_and_saveexec_b64 s[24:25], s[4:5]
; %bb.37:                               ;   in Loop: Header=BB41_4 Depth=2
	ds_write_b32 v7, v0
; %bb.38:                               ;   in Loop: Header=BB41_4 Depth=2
	s_or_b64 exec, exec, s[24:25]
	s_waitcnt lgkmcnt(0)
	s_barrier
	s_and_saveexec_b64 s[24:25], vcc
	s_cbranch_execz .LBB41_40
; %bb.39:                               ;   in Loop: Header=BB41_4 Depth=2
	ds_read_b32 v1, v6
	s_waitcnt lgkmcnt(0)
	s_nop 0
	v_mov_b32_dpp v72, v1 row_shr:1 row_mask:0xf bank_mask:0xf
	v_cndmask_b32_e64 v72, v72, 0, s[18:19]
	v_add_u32_e32 v1, v72, v1
	s_nop 1
	v_mov_b32_dpp v72, v1 row_shr:2 row_mask:0xf bank_mask:0xf
	v_cndmask_b32_e64 v72, 0, v72, s[20:21]
	v_add_u32_e32 v1, v1, v72
	s_nop 1
	v_mov_b32_dpp v72, v1 row_shr:4 row_mask:0xf bank_mask:0xf
	v_cndmask_b32_e64 v72, 0, v72, s[22:23]
	v_add_u32_e32 v1, v1, v72
	ds_write_b32 v6, v1
.LBB41_40:                              ;   in Loop: Header=BB41_4 Depth=2
	s_or_b64 exec, exec, s[24:25]
	v_mov_b32_e32 v1, 0
	s_waitcnt lgkmcnt(0)
	s_barrier
	s_and_saveexec_b64 s[24:25], s[0:1]
	s_cbranch_execz .LBB41_3
; %bb.41:                               ;   in Loop: Header=BB41_4 Depth=2
	ds_read_b32 v1, v9
	s_branch .LBB41_3
.LBB41_42:
	v_add_u32_e32 v0, v2, v71
	v_add_u32_e32 v1, v2, v68
	;; [unrolled: 1-line block ×8, first 2 shown]
	ds_read_b32 v0, v0 offset:32
	ds_read_b32 v1, v1 offset:32
	;; [unrolled: 1-line block ×8, first 2 shown]
	s_waitcnt lgkmcnt(7)
	v_add3_u32 v12, v4, v70, v0
	s_waitcnt lgkmcnt(6)
	v_add3_u32 v11, v69, v67, v1
	;; [unrolled: 2-line block ×6, first 2 shown]
	v_add_u32_e32 v0, v2, v47
	v_add_u32_e32 v1, v2, v44
	;; [unrolled: 1-line block ×6, first 2 shown]
	v_add3_u32 v10, v66, v64, v3
	v_add_u32_e32 v3, v2, v41
	v_add_u32_e32 v2, v2, v8
	ds_read_b32 v0, v0 offset:32
	ds_read_b32 v1, v1 offset:32
	;; [unrolled: 1-line block ×8, first 2 shown]
	s_add_u32 s0, s30, s34
	s_waitcnt lgkmcnt(7)
	v_add3_u32 v3, v48, v46, v0
	s_waitcnt lgkmcnt(4)
	v_add3_u32 v0, v39, v37, v4
	;; [unrolled: 2-line block ×5, first 2 shown]
	s_waitcnt lgkmcnt(0)
	v_add_u32_e32 v17, v21, v22
	s_addc_u32 s1, s31, s35
	v_lshlrev_b32_e32 v4, 2, v5
	v_add3_u32 v14, v54, v52, v14
	v_add3_u32 v2, v45, v43, v1
	;; [unrolled: 1-line block ×3, first 2 shown]
	global_store_dwordx4 v4, v[17:20], s[0:1]
	global_store_dwordx4 v4, v[0:3], s[0:1] offset:16
	global_store_dwordx4 v4, v[13:16], s[0:1] offset:32
	;; [unrolled: 1-line block ×3, first 2 shown]
	s_endpgm
	.section	.rodata,"a",@progbits
	.p2align	6, 0x0
	.amdhsa_kernel _Z11rank_kernelIiLj4ELb0EL18RadixRankAlgorithm2ELj512ELj16ELj10EEvPKT_Pi
		.amdhsa_group_segment_fixed_size 2080
		.amdhsa_private_segment_fixed_size 0
		.amdhsa_kernarg_size 272
		.amdhsa_user_sgpr_count 6
		.amdhsa_user_sgpr_private_segment_buffer 1
		.amdhsa_user_sgpr_dispatch_ptr 0
		.amdhsa_user_sgpr_queue_ptr 0
		.amdhsa_user_sgpr_kernarg_segment_ptr 1
		.amdhsa_user_sgpr_dispatch_id 0
		.amdhsa_user_sgpr_flat_scratch_init 0
		.amdhsa_user_sgpr_private_segment_size 0
		.amdhsa_uses_dynamic_stack 0
		.amdhsa_system_sgpr_private_segment_wavefront_offset 0
		.amdhsa_system_sgpr_workgroup_id_x 1
		.amdhsa_system_sgpr_workgroup_id_y 0
		.amdhsa_system_sgpr_workgroup_id_z 0
		.amdhsa_system_sgpr_workgroup_info 0
		.amdhsa_system_vgpr_workitem_id 2
		.amdhsa_next_free_vgpr 74
		.amdhsa_next_free_sgpr 38
		.amdhsa_reserve_vcc 1
		.amdhsa_reserve_flat_scratch 0
		.amdhsa_float_round_mode_32 0
		.amdhsa_float_round_mode_16_64 0
		.amdhsa_float_denorm_mode_32 3
		.amdhsa_float_denorm_mode_16_64 3
		.amdhsa_dx10_clamp 1
		.amdhsa_ieee_mode 1
		.amdhsa_fp16_overflow 0
		.amdhsa_exception_fp_ieee_invalid_op 0
		.amdhsa_exception_fp_denorm_src 0
		.amdhsa_exception_fp_ieee_div_zero 0
		.amdhsa_exception_fp_ieee_overflow 0
		.amdhsa_exception_fp_ieee_underflow 0
		.amdhsa_exception_fp_ieee_inexact 0
		.amdhsa_exception_int_div_zero 0
	.end_amdhsa_kernel
	.section	.text._Z11rank_kernelIiLj4ELb0EL18RadixRankAlgorithm2ELj512ELj16ELj10EEvPKT_Pi,"axG",@progbits,_Z11rank_kernelIiLj4ELb0EL18RadixRankAlgorithm2ELj512ELj16ELj10EEvPKT_Pi,comdat
.Lfunc_end41:
	.size	_Z11rank_kernelIiLj4ELb0EL18RadixRankAlgorithm2ELj512ELj16ELj10EEvPKT_Pi, .Lfunc_end41-_Z11rank_kernelIiLj4ELb0EL18RadixRankAlgorithm2ELj512ELj16ELj10EEvPKT_Pi
                                        ; -- End function
	.set _Z11rank_kernelIiLj4ELb0EL18RadixRankAlgorithm2ELj512ELj16ELj10EEvPKT_Pi.num_vgpr, 74
	.set _Z11rank_kernelIiLj4ELb0EL18RadixRankAlgorithm2ELj512ELj16ELj10EEvPKT_Pi.num_agpr, 0
	.set _Z11rank_kernelIiLj4ELb0EL18RadixRankAlgorithm2ELj512ELj16ELj10EEvPKT_Pi.numbered_sgpr, 38
	.set _Z11rank_kernelIiLj4ELb0EL18RadixRankAlgorithm2ELj512ELj16ELj10EEvPKT_Pi.num_named_barrier, 0
	.set _Z11rank_kernelIiLj4ELb0EL18RadixRankAlgorithm2ELj512ELj16ELj10EEvPKT_Pi.private_seg_size, 0
	.set _Z11rank_kernelIiLj4ELb0EL18RadixRankAlgorithm2ELj512ELj16ELj10EEvPKT_Pi.uses_vcc, 1
	.set _Z11rank_kernelIiLj4ELb0EL18RadixRankAlgorithm2ELj512ELj16ELj10EEvPKT_Pi.uses_flat_scratch, 0
	.set _Z11rank_kernelIiLj4ELb0EL18RadixRankAlgorithm2ELj512ELj16ELj10EEvPKT_Pi.has_dyn_sized_stack, 0
	.set _Z11rank_kernelIiLj4ELb0EL18RadixRankAlgorithm2ELj512ELj16ELj10EEvPKT_Pi.has_recursion, 0
	.set _Z11rank_kernelIiLj4ELb0EL18RadixRankAlgorithm2ELj512ELj16ELj10EEvPKT_Pi.has_indirect_call, 0
	.section	.AMDGPU.csdata,"",@progbits
; Kernel info:
; codeLenInByte = 5480
; TotalNumSgprs: 42
; NumVgprs: 74
; ScratchSize: 0
; MemoryBound: 0
; FloatMode: 240
; IeeeMode: 1
; LDSByteSize: 2080 bytes/workgroup (compile time only)
; SGPRBlocks: 5
; VGPRBlocks: 18
; NumSGPRsForWavesPerEU: 42
; NumVGPRsForWavesPerEU: 74
; Occupancy: 3
; WaveLimiterHint : 0
; COMPUTE_PGM_RSRC2:SCRATCH_EN: 0
; COMPUTE_PGM_RSRC2:USER_SGPR: 6
; COMPUTE_PGM_RSRC2:TRAP_HANDLER: 0
; COMPUTE_PGM_RSRC2:TGID_X_EN: 1
; COMPUTE_PGM_RSRC2:TGID_Y_EN: 0
; COMPUTE_PGM_RSRC2:TGID_Z_EN: 0
; COMPUTE_PGM_RSRC2:TIDIG_COMP_CNT: 2
	.section	.text._Z11rank_kernelIiLj4ELb0EL18RadixRankAlgorithm0ELj512ELj32ELj10EEvPKT_Pi,"axG",@progbits,_Z11rank_kernelIiLj4ELb0EL18RadixRankAlgorithm0ELj512ELj32ELj10EEvPKT_Pi,comdat
	.protected	_Z11rank_kernelIiLj4ELb0EL18RadixRankAlgorithm0ELj512ELj32ELj10EEvPKT_Pi ; -- Begin function _Z11rank_kernelIiLj4ELb0EL18RadixRankAlgorithm0ELj512ELj32ELj10EEvPKT_Pi
	.globl	_Z11rank_kernelIiLj4ELb0EL18RadixRankAlgorithm0ELj512ELj32ELj10EEvPKT_Pi
	.p2align	8
	.type	_Z11rank_kernelIiLj4ELb0EL18RadixRankAlgorithm0ELj512ELj32ELj10EEvPKT_Pi,@function
_Z11rank_kernelIiLj4ELb0EL18RadixRankAlgorithm0ELj512ELj32ELj10EEvPKT_Pi: ; @_Z11rank_kernelIiLj4ELb0EL18RadixRankAlgorithm0ELj512ELj32ELj10EEvPKT_Pi
; %bb.0:
	s_load_dwordx4 s[24:27], s[4:5], 0x0
	s_lshl_b32 s30, s6, 14
	s_mov_b32 s31, 0
	s_lshl_b64 s[28:29], s[30:31], 2
	v_lshlrev_b32_e32 v1, 7, v0
	s_waitcnt lgkmcnt(0)
	s_add_u32 s0, s24, s28
	s_addc_u32 s1, s25, s29
	global_load_dwordx4 v[7:10], v1, s[0:1]
	global_load_dwordx4 v[11:14], v1, s[0:1] offset:16
	global_load_dwordx4 v[15:18], v1, s[0:1] offset:32
	;; [unrolled: 1-line block ×7, first 2 shown]
	v_mbcnt_lo_u32_b32 v1, -1, 0
	v_mbcnt_hi_u32_b32 v6, -1, v1
	v_subrev_co_u32_e64 v42, s[4:5], 1, v6
	v_and_b32_e32 v43, 64, v6
	v_cmp_lt_i32_e64 s[18:19], v42, v43
	v_or_b32_e32 v4, 63, v0
	v_lshlrev_b32_e32 v1, 5, v0
	v_lshrrev_b32_e32 v5, 4, v0
	v_mul_i32_i24_e32 v27, 0xffffffe4, v0
	v_and_b32_e32 v36, 15, v6
	v_and_b32_e32 v41, 16, v6
	v_cmp_lt_u32_e64 s[6:7], 31, v6
	v_and_b32_e32 v44, 7, v6
	v_cndmask_b32_e64 v6, v42, v6, s[18:19]
	s_movk_i32 s30, 0xdff
	s_movk_i32 s33, 0xe00
	v_mov_b32_e32 v2, 0
	v_cmp_gt_u32_e32 vcc, 8, v0
	v_cmp_lt_u32_e64 s[0:1], 63, v0
	v_lshlrev_b32_e32 v3, 2, v0
	v_cmp_eq_u32_e64 s[2:3], v0, v4
	v_and_b32_e32 v4, 28, v5
	v_add_u32_e32 v5, v1, v27
	v_cmp_eq_u32_e64 s[8:9], 0, v36
	v_cmp_lt_u32_e64 s[10:11], 1, v36
	v_cmp_lt_u32_e64 s[12:13], 3, v36
	;; [unrolled: 1-line block ×3, first 2 shown]
	v_cmp_eq_u32_e64 s[16:17], 0, v41
	v_cmp_eq_u32_e64 s[18:19], 0, v44
	v_cmp_lt_u32_e64 s[20:21], 1, v44
	v_cmp_lt_u32_e64 s[22:23], 3, v44
	v_lshlrev_b32_e32 v6, 2, v6
	v_or_b32_e32 v41, 0xfffffe00, v0
	s_waitcnt vmcnt(7)
	v_xor_b32_e32 v7, 0x80000000, v7
	v_xor_b32_e32 v8, 0x80000000, v8
	v_xor_b32_e32 v9, 0x80000000, v9
	v_xor_b32_e32 v10, 0x80000000, v10
	s_waitcnt vmcnt(6)
	v_xor_b32_e32 v11, 0x80000000, v11
	v_xor_b32_e32 v12, 0x80000000, v12
	v_xor_b32_e32 v13, 0x80000000, v13
	v_xor_b32_e32 v14, 0x80000000, v14
	;; [unrolled: 5-line block ×8, first 2 shown]
	s_branch .LBB42_2
.LBB42_1:                               ;   in Loop: Header=BB42_2 Depth=1
	s_add_i32 s31, s31, 1
	s_cmp_eq_u32 s31, 10
	s_cbranch_scc1 .LBB42_12
.LBB42_2:                               ; =>This Loop Header: Depth=1
                                        ;     Child Loop BB42_4 Depth 2
                                        ;       Child Loop BB42_5 Depth 3
	s_mov_b32 s36, 0
	s_branch .LBB42_4
.LBB42_3:                               ;   in Loop: Header=BB42_4 Depth=2
	s_or_b64 exec, exec, s[24:25]
	s_waitcnt lgkmcnt(0)
	v_add_u32_e32 v104, v105, v104
	ds_bpermute_b32 v104, v6, v104
	ds_read_b32 v112, v2 offset:16412
	ds_read2_b64 v[106:109], v1 offset1:1
	ds_read_b64 v[110:111], v1 offset:16
	s_add_i32 s24, s36, 4
	s_cmp_lt_u32 s36, 28
	s_waitcnt lgkmcnt(3)
	v_cndmask_b32_e64 v104, v104, v105, s[4:5]
	s_waitcnt lgkmcnt(2)
	v_lshl_add_u32 v104, v112, 16, v104
	s_waitcnt lgkmcnt(1)
	v_add_u32_e32 v105, v104, v106
	v_add_u32_e32 v106, v107, v105
	;; [unrolled: 1-line block ×3, first 2 shown]
	ds_read_b32 v108, v1 offset:24
	ds_write2_b64 v1, v[104:105], v[106:107] offset1:1
	v_add_u32_e32 v104, v109, v107
	s_waitcnt lgkmcnt(2)
	v_add_u32_e32 v105, v110, v104
	v_add_u32_e32 v106, v111, v105
	s_waitcnt lgkmcnt(1)
	v_add_u32_e32 v107, v108, v106
	s_mov_b32 s36, s24
	ds_write2_b64 v1, v[104:105], v[106:107] offset0:2 offset1:3
	s_waitcnt lgkmcnt(0)
	s_barrier
	s_cbranch_scc0 .LBB42_1
.LBB42_4:                               ;   Parent Loop BB42_2 Depth=1
                                        ; =>  This Loop Header: Depth=2
                                        ;       Child Loop BB42_5 Depth 3
	s_mov_b64 s[34:35], 0
	v_mov_b32_e32 v28, v41
	v_mov_b32_e32 v38, v3
.LBB42_5:                               ;   Parent Loop BB42_2 Depth=1
                                        ;     Parent Loop BB42_4 Depth=2
                                        ; =>    This Inner Loop Header: Depth=3
	v_add_u32_e32 v28, 0x200, v28
	v_cmp_lt_u32_e64 s[24:25], s30, v28
	ds_write_b32 v38, v2
	s_or_b64 s[34:35], s[24:25], s[34:35]
	v_add_u32_e32 v38, 0x800, v38
	s_andn2_b64 exec, exec, s[34:35]
	s_cbranch_execnz .LBB42_5
; %bb.6:                                ;   in Loop: Header=BB42_4 Depth=2
	s_or_b64 exec, exec, s[34:35]
	s_sub_i32 s24, 28, s36
	v_lshlrev_b32_e32 v28, s24, v7
	v_lshrrev_b32_e32 v38, 19, v28
	v_and_or_b32 v38, v38, s33, v0
	v_alignbit_b32 v28, v38, v28, 31
	v_lshlrev_b32_e32 v42, 1, v28
	ds_read_u16 v28, v42
	v_lshlrev_b32_e32 v38, s24, v8
	v_lshrrev_b32_e32 v43, 19, v38
	v_and_or_b32 v43, v43, s33, v0
	v_alignbit_b32 v38, v43, v38, 31
	s_waitcnt lgkmcnt(0)
	v_add_u16_e32 v43, 1, v28
	ds_write_b16 v42, v43
	v_lshlrev_b32_e32 v44, 1, v38
	ds_read_u16 v38, v44
	v_lshlrev_b32_e32 v43, s24, v9
	v_lshrrev_b32_e32 v45, 19, v43
	v_and_or_b32 v45, v45, s33, v0
	v_alignbit_b32 v43, v45, v43, 31
	s_waitcnt lgkmcnt(0)
	v_add_u16_e32 v46, 1, v38
	ds_write_b16 v44, v46
	;; [unrolled: 9-line block ×3, first 2 shown]
	v_lshlrev_b32_e32 v48, 1, v45
	ds_read_u16 v45, v48
	v_lshlrev_b32_e32 v47, s24, v11
	s_waitcnt lgkmcnt(0)
	v_add_u16_e32 v49, 1, v45
	ds_write_b16 v48, v49
	v_lshrrev_b32_e32 v49, 19, v47
	v_and_or_b32 v49, v49, s33, v0
	v_alignbit_b32 v47, v49, v47, 31
	v_lshlrev_b32_e32 v50, 1, v47
	ds_read_u16 v47, v50
	s_waitcnt lgkmcnt(0)
	v_add_u16_e32 v49, 1, v47
	ds_write_b16 v50, v49
	v_lshlrev_b32_e32 v49, s24, v12
	v_lshrrev_b32_e32 v51, 19, v49
	v_and_or_b32 v51, v51, s33, v0
	v_alignbit_b32 v49, v51, v49, 31
	v_lshlrev_b32_e32 v53, 1, v49
	ds_read_u16 v49, v53
	s_waitcnt lgkmcnt(0)
	v_add_u16_e32 v51, 1, v49
	ds_write_b16 v53, v51
	v_lshlrev_b32_e32 v51, s24, v13
	v_lshrrev_b32_e32 v52, 19, v51
	v_and_or_b32 v52, v52, s33, v0
	v_alignbit_b32 v51, v52, v51, 31
	v_lshlrev_b32_e32 v56, 1, v51
	ds_read_u16 v52, v56
	s_waitcnt lgkmcnt(0)
	v_add_u16_e32 v51, 1, v52
	ds_write_b16 v56, v51
	v_lshlrev_b32_e32 v51, s24, v14
	v_lshrrev_b32_e32 v54, 19, v51
	v_and_or_b32 v54, v54, s33, v0
	v_alignbit_b32 v51, v54, v51, 31
	v_lshlrev_b32_e32 v59, 1, v51
	ds_read_u16 v55, v59
	s_waitcnt lgkmcnt(0)
	v_add_u16_e32 v51, 1, v55
	ds_write_b16 v59, v51
	v_lshlrev_b32_e32 v51, s24, v15
	v_lshrrev_b32_e32 v54, 19, v51
	v_and_or_b32 v54, v54, s33, v0
	v_alignbit_b32 v51, v54, v51, 31
	v_lshlrev_b32_e32 v57, 1, v51
	ds_read_u16 v51, v57
	s_waitcnt lgkmcnt(0)
	v_add_u16_e32 v54, 1, v51
	ds_write_b16 v57, v54
	v_lshlrev_b32_e32 v54, s24, v16
	v_lshrrev_b32_e32 v58, 19, v54
	v_and_or_b32 v58, v58, s33, v0
	v_alignbit_b32 v54, v58, v54, 31
	v_lshlrev_b32_e32 v60, 1, v54
	ds_read_u16 v54, v60
	s_waitcnt lgkmcnt(0)
	v_add_u16_e32 v58, 1, v54
	ds_write_b16 v60, v58
	v_lshlrev_b32_e32 v58, s24, v17
	v_lshrrev_b32_e32 v61, 19, v58
	v_and_or_b32 v61, v61, s33, v0
	v_alignbit_b32 v58, v61, v58, 31
	v_lshlrev_b32_e32 v62, 1, v58
	ds_read_u16 v58, v62
	s_waitcnt lgkmcnt(0)
	v_add_u16_e32 v61, 1, v58
	ds_write_b16 v62, v61
	v_lshlrev_b32_e32 v61, s24, v18
	v_lshrrev_b32_e32 v63, 19, v61
	v_and_or_b32 v63, v63, s33, v0
	v_alignbit_b32 v61, v63, v61, 31
	v_lshlrev_b32_e32 v64, 1, v61
	ds_read_u16 v61, v64
	s_waitcnt lgkmcnt(0)
	v_add_u16_e32 v63, 1, v61
	ds_write_b16 v64, v63
	v_lshlrev_b32_e32 v63, s24, v19
	v_lshrrev_b32_e32 v65, 19, v63
	v_and_or_b32 v65, v65, s33, v0
	v_alignbit_b32 v63, v65, v63, 31
	v_lshlrev_b32_e32 v66, 1, v63
	ds_read_u16 v63, v66
	s_waitcnt lgkmcnt(0)
	v_add_u16_e32 v65, 1, v63
	ds_write_b16 v66, v65
	v_lshlrev_b32_e32 v65, s24, v20
	v_lshrrev_b32_e32 v67, 19, v65
	v_and_or_b32 v67, v67, s33, v0
	v_alignbit_b32 v65, v67, v65, 31
	v_lshlrev_b32_e32 v69, 1, v65
	ds_read_u16 v65, v69
	s_waitcnt lgkmcnt(0)
	v_add_u16_e32 v67, 1, v65
	ds_write_b16 v69, v67
	v_lshlrev_b32_e32 v67, s24, v21
	v_lshrrev_b32_e32 v68, 19, v67
	v_and_or_b32 v68, v68, s33, v0
	v_alignbit_b32 v67, v68, v67, 31
	v_lshlrev_b32_e32 v72, 1, v67
	ds_read_u16 v68, v72
	s_waitcnt lgkmcnt(0)
	v_add_u16_e32 v67, 1, v68
	ds_write_b16 v72, v67
	v_lshlrev_b32_e32 v67, s24, v22
	v_lshrrev_b32_e32 v70, 19, v67
	v_and_or_b32 v70, v70, s33, v0
	v_alignbit_b32 v67, v70, v67, 31
	v_lshlrev_b32_e32 v75, 1, v67
	ds_read_u16 v71, v75
	s_waitcnt lgkmcnt(0)
	v_add_u16_e32 v67, 1, v71
	ds_write_b16 v75, v67
	v_lshlrev_b32_e32 v67, s24, v23
	v_lshrrev_b32_e32 v70, 19, v67
	v_and_or_b32 v70, v70, s33, v0
	v_alignbit_b32 v67, v70, v67, 31
	v_lshlrev_b32_e32 v73, 1, v67
	ds_read_u16 v67, v73
	s_waitcnt lgkmcnt(0)
	v_add_u16_e32 v70, 1, v67
	ds_write_b16 v73, v70
	v_lshlrev_b32_e32 v70, s24, v24
	v_lshrrev_b32_e32 v74, 19, v70
	v_and_or_b32 v74, v74, s33, v0
	v_alignbit_b32 v70, v74, v70, 31
	v_lshlrev_b32_e32 v76, 1, v70
	ds_read_u16 v70, v76
	s_waitcnt lgkmcnt(0)
	v_add_u16_e32 v74, 1, v70
	ds_write_b16 v76, v74
	v_lshlrev_b32_e32 v74, s24, v25
	v_lshrrev_b32_e32 v77, 19, v74
	v_and_or_b32 v77, v77, s33, v0
	v_alignbit_b32 v74, v77, v74, 31
	v_lshlrev_b32_e32 v78, 1, v74
	ds_read_u16 v74, v78
	s_waitcnt lgkmcnt(0)
	v_add_u16_e32 v77, 1, v74
	ds_write_b16 v78, v77
	v_lshlrev_b32_e32 v77, s24, v26
	v_lshrrev_b32_e32 v79, 19, v77
	v_and_or_b32 v79, v79, s33, v0
	v_alignbit_b32 v77, v79, v77, 31
	v_lshlrev_b32_e32 v80, 1, v77
	ds_read_u16 v77, v80
	s_waitcnt lgkmcnt(0)
	v_add_u16_e32 v79, 1, v77
	ds_write_b16 v80, v79
	v_lshlrev_b32_e32 v79, s24, v27
	v_lshrrev_b32_e32 v81, 19, v79
	v_and_or_b32 v81, v81, s33, v0
	v_alignbit_b32 v79, v81, v79, 31
	v_lshlrev_b32_e32 v82, 1, v79
	ds_read_u16 v79, v82
	s_waitcnt lgkmcnt(0)
	v_add_u16_e32 v81, 1, v79
	ds_write_b16 v82, v81
	v_lshlrev_b32_e32 v81, s24, v29
	v_lshrrev_b32_e32 v83, 19, v81
	v_and_or_b32 v83, v83, s33, v0
	v_alignbit_b32 v81, v83, v81, 31
	v_lshlrev_b32_e32 v85, 1, v81
	ds_read_u16 v81, v85
	s_waitcnt lgkmcnt(0)
	v_add_u16_e32 v83, 1, v81
	ds_write_b16 v85, v83
	v_lshlrev_b32_e32 v83, s24, v30
	v_lshrrev_b32_e32 v84, 19, v83
	v_and_or_b32 v84, v84, s33, v0
	v_alignbit_b32 v83, v84, v83, 31
	v_lshlrev_b32_e32 v88, 1, v83
	ds_read_u16 v84, v88
	s_waitcnt lgkmcnt(0)
	v_add_u16_e32 v83, 1, v84
	ds_write_b16 v88, v83
	v_lshlrev_b32_e32 v83, s24, v31
	v_lshrrev_b32_e32 v86, 19, v83
	v_and_or_b32 v86, v86, s33, v0
	v_alignbit_b32 v83, v86, v83, 31
	v_lshlrev_b32_e32 v91, 1, v83
	ds_read_u16 v87, v91
	s_waitcnt lgkmcnt(0)
	v_add_u16_e32 v83, 1, v87
	ds_write_b16 v91, v83
	v_lshlrev_b32_e32 v83, s24, v32
	v_lshrrev_b32_e32 v86, 19, v83
	v_and_or_b32 v86, v86, s33, v0
	v_alignbit_b32 v83, v86, v83, 31
	v_lshlrev_b32_e32 v89, 1, v83
	ds_read_u16 v83, v89
	s_waitcnt lgkmcnt(0)
	v_add_u16_e32 v86, 1, v83
	ds_write_b16 v89, v86
	v_lshlrev_b32_e32 v86, s24, v33
	v_lshrrev_b32_e32 v90, 19, v86
	v_and_or_b32 v90, v90, s33, v0
	v_alignbit_b32 v86, v90, v86, 31
	v_lshlrev_b32_e32 v92, 1, v86
	ds_read_u16 v86, v92
	s_waitcnt lgkmcnt(0)
	v_add_u16_e32 v90, 1, v86
	ds_write_b16 v92, v90
	v_lshlrev_b32_e32 v90, s24, v34
	v_lshrrev_b32_e32 v93, 19, v90
	v_and_or_b32 v93, v93, s33, v0
	v_alignbit_b32 v90, v93, v90, 31
	v_lshlrev_b32_e32 v94, 1, v90
	ds_read_u16 v90, v94
	s_waitcnt lgkmcnt(0)
	v_add_u16_e32 v93, 1, v90
	ds_write_b16 v94, v93
	v_lshlrev_b32_e32 v93, s24, v35
	v_lshrrev_b32_e32 v95, 19, v93
	v_and_or_b32 v95, v95, s33, v0
	v_alignbit_b32 v93, v95, v93, 31
	v_lshlrev_b32_e32 v96, 1, v93
	ds_read_u16 v93, v96
	s_waitcnt lgkmcnt(0)
	v_add_u16_e32 v95, 1, v93
	ds_write_b16 v96, v95
	v_lshlrev_b32_e32 v95, s24, v36
	v_lshrrev_b32_e32 v97, 19, v95
	v_and_or_b32 v97, v97, s33, v0
	v_alignbit_b32 v95, v97, v95, 31
	v_lshlrev_b32_e32 v98, 1, v95
	ds_read_u16 v95, v98
	s_waitcnt lgkmcnt(0)
	v_add_u16_e32 v97, 1, v95
	ds_write_b16 v98, v97
	v_lshlrev_b32_e32 v97, s24, v37
	v_lshrrev_b32_e32 v99, 19, v97
	v_and_or_b32 v99, v99, s33, v0
	v_alignbit_b32 v97, v99, v97, 31
	v_lshlrev_b32_e32 v100, 1, v97
	ds_read_u16 v97, v100
	s_waitcnt lgkmcnt(0)
	v_add_u16_e32 v99, 1, v97
	ds_write_b16 v100, v99
	v_lshlrev_b32_e32 v99, s24, v39
	v_lshrrev_b32_e32 v101, 19, v99
	v_and_or_b32 v101, v101, s33, v0
	v_alignbit_b32 v99, v101, v99, 31
	v_lshlrev_b32_e32 v102, 1, v99
	ds_read_u16 v99, v102
	s_waitcnt lgkmcnt(0)
	v_add_u16_e32 v101, 1, v99
	ds_write_b16 v102, v101
	v_lshlrev_b32_e32 v101, s24, v40
	v_lshrrev_b32_e32 v103, 19, v101
	v_and_or_b32 v103, v103, s33, v0
	v_alignbit_b32 v101, v103, v101, 31
	v_lshlrev_b32_e32 v103, 1, v101
	ds_read_u16 v101, v103
	s_waitcnt lgkmcnt(0)
	v_add_u16_e32 v104, 1, v101
	ds_write_b16 v103, v104
	s_waitcnt lgkmcnt(0)
	s_barrier
	ds_read2_b64 v[104:107], v1 offset1:1
	ds_read2_b64 v[108:111], v1 offset0:2 offset1:3
	s_waitcnt lgkmcnt(1)
	v_add_u32_e32 v104, v105, v104
	v_add3_u32 v104, v104, v106, v107
	s_waitcnt lgkmcnt(0)
	v_add3_u32 v104, v104, v108, v109
	v_add3_u32 v104, v104, v110, v111
	s_nop 1
	v_mov_b32_dpp v105, v104 row_shr:1 row_mask:0xf bank_mask:0xf
	v_cndmask_b32_e64 v105, v105, 0, s[8:9]
	v_add_u32_e32 v104, v105, v104
	s_nop 1
	v_mov_b32_dpp v105, v104 row_shr:2 row_mask:0xf bank_mask:0xf
	v_cndmask_b32_e64 v105, 0, v105, s[10:11]
	v_add_u32_e32 v104, v104, v105
	;; [unrolled: 4-line block ×4, first 2 shown]
	s_nop 1
	v_mov_b32_dpp v105, v104 row_bcast:15 row_mask:0xf bank_mask:0xf
	v_cndmask_b32_e64 v105, v105, 0, s[16:17]
	v_add_u32_e32 v104, v104, v105
	s_nop 1
	v_mov_b32_dpp v105, v104 row_bcast:31 row_mask:0xf bank_mask:0xf
	v_cndmask_b32_e64 v105, 0, v105, s[6:7]
	v_add_u32_e32 v104, v104, v105
	s_and_saveexec_b64 s[24:25], s[2:3]
; %bb.7:                                ;   in Loop: Header=BB42_4 Depth=2
	ds_write_b32 v4, v104 offset:16384
; %bb.8:                                ;   in Loop: Header=BB42_4 Depth=2
	s_or_b64 exec, exec, s[24:25]
	s_waitcnt lgkmcnt(0)
	s_barrier
	s_and_saveexec_b64 s[24:25], vcc
	s_cbranch_execz .LBB42_10
; %bb.9:                                ;   in Loop: Header=BB42_4 Depth=2
	ds_read_b32 v105, v5 offset:16384
	s_waitcnt lgkmcnt(0)
	s_nop 0
	v_mov_b32_dpp v106, v105 row_shr:1 row_mask:0xf bank_mask:0xf
	v_cndmask_b32_e64 v106, v106, 0, s[18:19]
	v_add_u32_e32 v105, v106, v105
	s_nop 1
	v_mov_b32_dpp v106, v105 row_shr:2 row_mask:0xf bank_mask:0xf
	v_cndmask_b32_e64 v106, 0, v106, s[20:21]
	v_add_u32_e32 v105, v105, v106
	;; [unrolled: 4-line block ×3, first 2 shown]
	ds_write_b32 v5, v105 offset:16384
.LBB42_10:                              ;   in Loop: Header=BB42_4 Depth=2
	s_or_b64 exec, exec, s[24:25]
	v_mov_b32_e32 v105, 0
	s_waitcnt lgkmcnt(0)
	s_barrier
	s_and_saveexec_b64 s[24:25], s[0:1]
	s_cbranch_execz .LBB42_3
; %bb.11:                               ;   in Loop: Header=BB42_4 Depth=2
	ds_read_b32 v105, v4 offset:16380
	s_branch .LBB42_3
.LBB42_12:
	ds_read_u16 v0, v42
	ds_read_u16 v3, v44
	ds_read_u16 v4, v46
	ds_read_u16 v5, v48
	ds_read_u16 v6, v50
	ds_read_u16 v7, v53
	ds_read_u16 v8, v56
	ds_read_u16 v9, v59
	s_waitcnt lgkmcnt(7)
	v_add_u32_sdwa v2, v0, v28 dst_sel:DWORD dst_unused:UNUSED_PAD src0_sel:DWORD src1_sel:WORD_0
	ds_read_u16 v0, v57
	ds_read_u16 v11, v60
	ds_read_u16 v12, v62
	ds_read_u16 v13, v64
	ds_read_u16 v14, v66
	ds_read_u16 v15, v69
	ds_read_u16 v16, v72
	ds_read_u16 v17, v75
	s_waitcnt lgkmcnt(7)
	v_add_u32_sdwa v10, v0, v51 dst_sel:DWORD dst_unused:UNUSED_PAD src0_sel:DWORD src1_sel:WORD_0
	;; [unrolled: 10-line block ×3, first 2 shown]
	ds_read_u16 v0, v89
	ds_read_u16 v27, v92
	;; [unrolled: 1-line block ×8, first 2 shown]
	s_add_u32 s0, s26, s28
	v_add_u32_sdwa v3, v3, v38 dst_sel:DWORD dst_unused:UNUSED_PAD src0_sel:DWORD src1_sel:WORD_0
	v_add_u32_sdwa v4, v4, v43 dst_sel:DWORD dst_unused:UNUSED_PAD src0_sel:DWORD src1_sel:WORD_0
	;; [unrolled: 1-line block ×3, first 2 shown]
	s_waitcnt lgkmcnt(7)
	v_add_u32_sdwa v26, v0, v83 dst_sel:DWORD dst_unused:UNUSED_PAD src0_sel:DWORD src1_sel:WORD_0
	s_addc_u32 s1, s27, s29
	v_lshlrev_b32_e32 v0, 2, v1
	v_add_u32_sdwa v6, v6, v47 dst_sel:DWORD dst_unused:UNUSED_PAD src0_sel:DWORD src1_sel:WORD_0
	v_add_u32_sdwa v7, v7, v49 dst_sel:DWORD dst_unused:UNUSED_PAD src0_sel:DWORD src1_sel:WORD_0
	;; [unrolled: 1-line block ×18, first 2 shown]
	s_waitcnt lgkmcnt(6)
	v_add_u32_sdwa v27, v27, v86 dst_sel:DWORD dst_unused:UNUSED_PAD src0_sel:DWORD src1_sel:WORD_0
	s_waitcnt lgkmcnt(5)
	v_add_u32_sdwa v28, v28, v90 dst_sel:DWORD dst_unused:UNUSED_PAD src0_sel:DWORD src1_sel:WORD_0
	;; [unrolled: 2-line block ×7, first 2 shown]
	global_store_dwordx4 v0, v[2:5], s[0:1]
	global_store_dwordx4 v0, v[6:9], s[0:1] offset:16
	global_store_dwordx4 v0, v[10:13], s[0:1] offset:32
	;; [unrolled: 1-line block ×7, first 2 shown]
	s_endpgm
	.section	.rodata,"a",@progbits
	.p2align	6, 0x0
	.amdhsa_kernel _Z11rank_kernelIiLj4ELb0EL18RadixRankAlgorithm0ELj512ELj32ELj10EEvPKT_Pi
		.amdhsa_group_segment_fixed_size 16416
		.amdhsa_private_segment_fixed_size 0
		.amdhsa_kernarg_size 16
		.amdhsa_user_sgpr_count 6
		.amdhsa_user_sgpr_private_segment_buffer 1
		.amdhsa_user_sgpr_dispatch_ptr 0
		.amdhsa_user_sgpr_queue_ptr 0
		.amdhsa_user_sgpr_kernarg_segment_ptr 1
		.amdhsa_user_sgpr_dispatch_id 0
		.amdhsa_user_sgpr_flat_scratch_init 0
		.amdhsa_user_sgpr_private_segment_size 0
		.amdhsa_uses_dynamic_stack 0
		.amdhsa_system_sgpr_private_segment_wavefront_offset 0
		.amdhsa_system_sgpr_workgroup_id_x 1
		.amdhsa_system_sgpr_workgroup_id_y 0
		.amdhsa_system_sgpr_workgroup_id_z 0
		.amdhsa_system_sgpr_workgroup_info 0
		.amdhsa_system_vgpr_workitem_id 0
		.amdhsa_next_free_vgpr 113
		.amdhsa_next_free_sgpr 93
		.amdhsa_reserve_vcc 1
		.amdhsa_reserve_flat_scratch 0
		.amdhsa_float_round_mode_32 0
		.amdhsa_float_round_mode_16_64 0
		.amdhsa_float_denorm_mode_32 3
		.amdhsa_float_denorm_mode_16_64 3
		.amdhsa_dx10_clamp 1
		.amdhsa_ieee_mode 1
		.amdhsa_fp16_overflow 0
		.amdhsa_exception_fp_ieee_invalid_op 0
		.amdhsa_exception_fp_denorm_src 0
		.amdhsa_exception_fp_ieee_div_zero 0
		.amdhsa_exception_fp_ieee_overflow 0
		.amdhsa_exception_fp_ieee_underflow 0
		.amdhsa_exception_fp_ieee_inexact 0
		.amdhsa_exception_int_div_zero 0
	.end_amdhsa_kernel
	.section	.text._Z11rank_kernelIiLj4ELb0EL18RadixRankAlgorithm0ELj512ELj32ELj10EEvPKT_Pi,"axG",@progbits,_Z11rank_kernelIiLj4ELb0EL18RadixRankAlgorithm0ELj512ELj32ELj10EEvPKT_Pi,comdat
.Lfunc_end42:
	.size	_Z11rank_kernelIiLj4ELb0EL18RadixRankAlgorithm0ELj512ELj32ELj10EEvPKT_Pi, .Lfunc_end42-_Z11rank_kernelIiLj4ELb0EL18RadixRankAlgorithm0ELj512ELj32ELj10EEvPKT_Pi
                                        ; -- End function
	.set _Z11rank_kernelIiLj4ELb0EL18RadixRankAlgorithm0ELj512ELj32ELj10EEvPKT_Pi.num_vgpr, 113
	.set _Z11rank_kernelIiLj4ELb0EL18RadixRankAlgorithm0ELj512ELj32ELj10EEvPKT_Pi.num_agpr, 0
	.set _Z11rank_kernelIiLj4ELb0EL18RadixRankAlgorithm0ELj512ELj32ELj10EEvPKT_Pi.numbered_sgpr, 37
	.set _Z11rank_kernelIiLj4ELb0EL18RadixRankAlgorithm0ELj512ELj32ELj10EEvPKT_Pi.num_named_barrier, 0
	.set _Z11rank_kernelIiLj4ELb0EL18RadixRankAlgorithm0ELj512ELj32ELj10EEvPKT_Pi.private_seg_size, 0
	.set _Z11rank_kernelIiLj4ELb0EL18RadixRankAlgorithm0ELj512ELj32ELj10EEvPKT_Pi.uses_vcc, 1
	.set _Z11rank_kernelIiLj4ELb0EL18RadixRankAlgorithm0ELj512ELj32ELj10EEvPKT_Pi.uses_flat_scratch, 0
	.set _Z11rank_kernelIiLj4ELb0EL18RadixRankAlgorithm0ELj512ELj32ELj10EEvPKT_Pi.has_dyn_sized_stack, 0
	.set _Z11rank_kernelIiLj4ELb0EL18RadixRankAlgorithm0ELj512ELj32ELj10EEvPKT_Pi.has_recursion, 0
	.set _Z11rank_kernelIiLj4ELb0EL18RadixRankAlgorithm0ELj512ELj32ELj10EEvPKT_Pi.has_indirect_call, 0
	.section	.AMDGPU.csdata,"",@progbits
; Kernel info:
; codeLenInByte = 3500
; TotalNumSgprs: 41
; NumVgprs: 113
; ScratchSize: 0
; MemoryBound: 0
; FloatMode: 240
; IeeeMode: 1
; LDSByteSize: 16416 bytes/workgroup (compile time only)
; SGPRBlocks: 12
; VGPRBlocks: 28
; NumSGPRsForWavesPerEU: 97
; NumVGPRsForWavesPerEU: 113
; Occupancy: 2
; WaveLimiterHint : 0
; COMPUTE_PGM_RSRC2:SCRATCH_EN: 0
; COMPUTE_PGM_RSRC2:USER_SGPR: 6
; COMPUTE_PGM_RSRC2:TRAP_HANDLER: 0
; COMPUTE_PGM_RSRC2:TGID_X_EN: 1
; COMPUTE_PGM_RSRC2:TGID_Y_EN: 0
; COMPUTE_PGM_RSRC2:TGID_Z_EN: 0
; COMPUTE_PGM_RSRC2:TIDIG_COMP_CNT: 0
	.section	.text._Z11rank_kernelIiLj4ELb0EL18RadixRankAlgorithm1ELj512ELj32ELj10EEvPKT_Pi,"axG",@progbits,_Z11rank_kernelIiLj4ELb0EL18RadixRankAlgorithm1ELj512ELj32ELj10EEvPKT_Pi,comdat
	.protected	_Z11rank_kernelIiLj4ELb0EL18RadixRankAlgorithm1ELj512ELj32ELj10EEvPKT_Pi ; -- Begin function _Z11rank_kernelIiLj4ELb0EL18RadixRankAlgorithm1ELj512ELj32ELj10EEvPKT_Pi
	.globl	_Z11rank_kernelIiLj4ELb0EL18RadixRankAlgorithm1ELj512ELj32ELj10EEvPKT_Pi
	.p2align	8
	.type	_Z11rank_kernelIiLj4ELb0EL18RadixRankAlgorithm1ELj512ELj32ELj10EEvPKT_Pi,@function
_Z11rank_kernelIiLj4ELb0EL18RadixRankAlgorithm1ELj512ELj32ELj10EEvPKT_Pi: ; @_Z11rank_kernelIiLj4ELb0EL18RadixRankAlgorithm1ELj512ELj32ELj10EEvPKT_Pi
; %bb.0:
	s_load_dwordx4 s[24:27], s[4:5], 0x0
	s_lshl_b32 s30, s6, 14
	s_mov_b32 s31, 0
	s_lshl_b64 s[28:29], s[30:31], 2
	v_lshlrev_b32_e32 v9, 7, v0
	s_waitcnt lgkmcnt(0)
	s_add_u32 s0, s24, s28
	s_addc_u32 s1, s25, s29
	global_load_dwordx4 v[1:4], v9, s[0:1]
	global_load_dwordx4 v[5:8], v9, s[0:1] offset:16
	global_load_dwordx4 v[23:26], v9, s[0:1] offset:32
	global_load_dwordx4 v[27:30], v9, s[0:1] offset:48
	global_load_dwordx4 v[31:34], v9, s[0:1] offset:64
	global_load_dwordx4 v[36:39], v9, s[0:1] offset:80
	global_load_dwordx4 v[40:43], v9, s[0:1] offset:96
	global_load_dwordx4 v[45:48], v9, s[0:1] offset:112
	v_mbcnt_lo_u32_b32 v9, -1, 0
	v_mbcnt_hi_u32_b32 v14, -1, v9
	v_subrev_co_u32_e64 v18, s[4:5], 1, v14
	v_and_b32_e32 v19, 64, v14
	v_cmp_lt_i32_e64 s[18:19], v18, v19
	v_or_b32_e32 v12, 63, v0
	v_lshlrev_b32_e32 v9, 5, v0
	v_lshrrev_b32_e32 v13, 4, v0
	v_mul_i32_i24_e32 v15, 0xffffffe4, v0
	v_and_b32_e32 v16, 15, v14
	v_and_b32_e32 v17, 16, v14
	v_cmp_lt_u32_e64 s[6:7], 31, v14
	v_and_b32_e32 v20, 7, v14
	v_cndmask_b32_e64 v14, v18, v14, s[18:19]
	s_movk_i32 s30, 0xdff
	s_movk_i32 s33, 0xe00
	v_mov_b32_e32 v10, 0
	v_cmp_gt_u32_e32 vcc, 8, v0
	v_cmp_lt_u32_e64 s[0:1], 63, v0
	v_lshlrev_b32_e32 v11, 2, v0
	v_cmp_eq_u32_e64 s[2:3], v0, v12
	v_and_b32_e32 v12, 28, v13
	v_add_u32_e32 v13, v9, v15
	v_cmp_eq_u32_e64 s[8:9], 0, v16
	v_cmp_lt_u32_e64 s[10:11], 1, v16
	v_cmp_lt_u32_e64 s[12:13], 3, v16
	;; [unrolled: 1-line block ×3, first 2 shown]
	v_cmp_eq_u32_e64 s[16:17], 0, v17
	v_cmp_eq_u32_e64 s[18:19], 0, v20
	v_cmp_lt_u32_e64 s[20:21], 1, v20
	v_cmp_lt_u32_e64 s[22:23], 3, v20
	v_lshlrev_b32_e32 v14, 2, v14
	v_or_b32_e32 v49, 0xfffffe00, v0
	s_waitcnt vmcnt(7)
	v_xor_b32_e32 v15, 0x80000000, v1
	v_xor_b32_e32 v16, 0x80000000, v2
	v_xor_b32_e32 v17, 0x80000000, v3
	v_xor_b32_e32 v18, 0x80000000, v4
	s_waitcnt vmcnt(6)
	v_xor_b32_e32 v19, 0x80000000, v5
	v_xor_b32_e32 v20, 0x80000000, v6
	v_xor_b32_e32 v21, 0x80000000, v7
	v_xor_b32_e32 v22, 0x80000000, v8
	;; [unrolled: 5-line block ×8, first 2 shown]
	s_branch .LBB43_2
.LBB43_1:                               ;   in Loop: Header=BB43_2 Depth=1
	s_add_i32 s31, s31, 1
	s_cmp_eq_u32 s31, 10
	s_cbranch_scc1 .LBB43_12
.LBB43_2:                               ; =>This Loop Header: Depth=1
                                        ;     Child Loop BB43_4 Depth 2
                                        ;       Child Loop BB43_5 Depth 3
	s_mov_b32 s36, 0
	s_branch .LBB43_4
.LBB43_3:                               ;   in Loop: Header=BB43_4 Depth=2
	s_or_b64 exec, exec, s[24:25]
	s_waitcnt lgkmcnt(0)
	v_add_u32_e32 v4, v112, v4
	ds_bpermute_b32 v4, v14, v4
	ds_read_b32 v113, v10 offset:16412
	s_add_i32 s24, s36, 4
	s_cmp_lt_u32 s36, 28
	s_mov_b32 s36, s24
	s_waitcnt lgkmcnt(1)
	v_cndmask_b32_e64 v4, v4, v112, s[4:5]
	s_waitcnt lgkmcnt(0)
	v_lshl_add_u32 v4, v113, 16, v4
	v_add_u32_e32 v5, v4, v5
	v_add_u32_e32 v6, v5, v6
	;; [unrolled: 1-line block ×7, first 2 shown]
	ds_write2_b64 v9, v[4:5], v[6:7] offset1:1
	ds_write2_b64 v9, v[112:113], v[1:2] offset0:2 offset1:3
	s_waitcnt lgkmcnt(0)
	s_barrier
	s_cbranch_scc0 .LBB43_1
.LBB43_4:                               ;   Parent Loop BB43_2 Depth=1
                                        ; =>  This Loop Header: Depth=2
                                        ;       Child Loop BB43_5 Depth 3
	s_mov_b64 s[34:35], 0
	v_mov_b32_e32 v1, v49
	v_mov_b32_e32 v2, v11
.LBB43_5:                               ;   Parent Loop BB43_2 Depth=1
                                        ;     Parent Loop BB43_4 Depth=2
                                        ; =>    This Inner Loop Header: Depth=3
	v_add_u32_e32 v1, 0x200, v1
	v_cmp_lt_u32_e64 s[24:25], s30, v1
	ds_write_b32 v2, v10
	s_or_b64 s[34:35], s[24:25], s[34:35]
	v_add_u32_e32 v2, 0x800, v2
	s_andn2_b64 exec, exec, s[34:35]
	s_cbranch_execnz .LBB43_5
; %bb.6:                                ;   in Loop: Header=BB43_4 Depth=2
	s_or_b64 exec, exec, s[34:35]
	s_sub_i32 s24, 28, s36
	v_lshlrev_b32_e32 v1, s24, v15
	v_lshrrev_b32_e32 v2, 19, v1
	v_and_or_b32 v2, v2, s33, v0
	v_alignbit_b32 v1, v2, v1, 31
	v_lshlrev_b32_e32 v50, 1, v1
	ds_read_u16 v36, v50
	v_lshlrev_b32_e32 v1, s24, v16
	v_lshrrev_b32_e32 v2, 19, v1
	v_and_or_b32 v2, v2, s33, v0
	v_alignbit_b32 v1, v2, v1, 31
	s_waitcnt lgkmcnt(0)
	v_add_u16_e32 v2, 1, v36
	ds_write_b16 v50, v2
	v_lshlrev_b32_e32 v52, 1, v1
	ds_read_u16 v46, v52
	v_lshlrev_b32_e32 v1, s24, v17
	v_lshrrev_b32_e32 v2, 19, v1
	v_and_or_b32 v2, v2, s33, v0
	v_alignbit_b32 v1, v2, v1, 31
	s_waitcnt lgkmcnt(0)
	v_add_u16_e32 v3, 1, v46
	ds_write_b16 v52, v3
	;; [unrolled: 9-line block ×3, first 2 shown]
	v_lshlrev_b32_e32 v56, 1, v1
	ds_read_u16 v53, v56
	v_lshlrev_b32_e32 v1, s24, v19
	s_waitcnt lgkmcnt(0)
	v_add_u16_e32 v2, 1, v53
	ds_write_b16 v56, v2
	v_lshrrev_b32_e32 v2, 19, v1
	v_and_or_b32 v2, v2, s33, v0
	v_alignbit_b32 v1, v2, v1, 31
	v_lshlrev_b32_e32 v58, 1, v1
	ds_read_u16 v55, v58
	s_waitcnt lgkmcnt(0)
	v_add_u16_e32 v1, 1, v55
	ds_write_b16 v58, v1
	v_lshlrev_b32_e32 v1, s24, v20
	v_lshrrev_b32_e32 v2, 19, v1
	v_and_or_b32 v2, v2, s33, v0
	v_alignbit_b32 v1, v2, v1, 31
	v_lshlrev_b32_e32 v61, 1, v1
	ds_read_u16 v57, v61
	s_waitcnt lgkmcnt(0)
	v_add_u16_e32 v1, 1, v57
	ds_write_b16 v61, v1
	v_lshlrev_b32_e32 v1, s24, v21
	v_lshrrev_b32_e32 v2, 19, v1
	v_and_or_b32 v2, v2, s33, v0
	v_alignbit_b32 v1, v2, v1, 31
	v_lshlrev_b32_e32 v64, 1, v1
	ds_read_u16 v60, v64
	s_waitcnt lgkmcnt(0)
	v_add_u16_e32 v1, 1, v60
	ds_write_b16 v64, v1
	v_lshlrev_b32_e32 v1, s24, v22
	v_lshrrev_b32_e32 v2, 19, v1
	v_and_or_b32 v2, v2, s33, v0
	v_alignbit_b32 v1, v2, v1, 31
	v_lshlrev_b32_e32 v67, 1, v1
	ds_read_u16 v63, v67
	s_waitcnt lgkmcnt(0)
	v_add_u16_e32 v1, 1, v63
	ds_write_b16 v67, v1
	v_lshlrev_b32_e32 v1, s24, v23
	v_lshrrev_b32_e32 v2, 19, v1
	v_and_or_b32 v2, v2, s33, v0
	v_alignbit_b32 v1, v2, v1, 31
	v_lshlrev_b32_e32 v65, 1, v1
	ds_read_u16 v59, v65
	s_waitcnt lgkmcnt(0)
	v_add_u16_e32 v1, 1, v59
	ds_write_b16 v65, v1
	v_lshlrev_b32_e32 v1, s24, v24
	v_lshrrev_b32_e32 v2, 19, v1
	v_and_or_b32 v2, v2, s33, v0
	v_alignbit_b32 v1, v2, v1, 31
	v_lshlrev_b32_e32 v68, 1, v1
	ds_read_u16 v62, v68
	s_waitcnt lgkmcnt(0)
	v_add_u16_e32 v1, 1, v62
	ds_write_b16 v68, v1
	v_lshlrev_b32_e32 v1, s24, v25
	v_lshrrev_b32_e32 v2, 19, v1
	v_and_or_b32 v2, v2, s33, v0
	v_alignbit_b32 v1, v2, v1, 31
	v_lshlrev_b32_e32 v70, 1, v1
	ds_read_u16 v66, v70
	s_waitcnt lgkmcnt(0)
	v_add_u16_e32 v1, 1, v66
	ds_write_b16 v70, v1
	v_lshlrev_b32_e32 v1, s24, v26
	v_lshrrev_b32_e32 v2, 19, v1
	v_and_or_b32 v2, v2, s33, v0
	v_alignbit_b32 v1, v2, v1, 31
	v_lshlrev_b32_e32 v72, 1, v1
	ds_read_u16 v69, v72
	s_waitcnt lgkmcnt(0)
	v_add_u16_e32 v1, 1, v69
	ds_write_b16 v72, v1
	v_lshlrev_b32_e32 v1, s24, v27
	v_lshrrev_b32_e32 v2, 19, v1
	v_and_or_b32 v2, v2, s33, v0
	v_alignbit_b32 v1, v2, v1, 31
	v_lshlrev_b32_e32 v74, 1, v1
	ds_read_u16 v71, v74
	s_waitcnt lgkmcnt(0)
	v_add_u16_e32 v1, 1, v71
	ds_write_b16 v74, v1
	v_lshlrev_b32_e32 v1, s24, v28
	v_lshrrev_b32_e32 v2, 19, v1
	v_and_or_b32 v2, v2, s33, v0
	v_alignbit_b32 v1, v2, v1, 31
	v_lshlrev_b32_e32 v77, 1, v1
	ds_read_u16 v73, v77
	s_waitcnt lgkmcnt(0)
	v_add_u16_e32 v1, 1, v73
	ds_write_b16 v77, v1
	v_lshlrev_b32_e32 v1, s24, v29
	v_lshrrev_b32_e32 v2, 19, v1
	v_and_or_b32 v2, v2, s33, v0
	v_alignbit_b32 v1, v2, v1, 31
	v_lshlrev_b32_e32 v80, 1, v1
	ds_read_u16 v76, v80
	s_waitcnt lgkmcnt(0)
	v_add_u16_e32 v1, 1, v76
	ds_write_b16 v80, v1
	v_lshlrev_b32_e32 v1, s24, v30
	v_lshrrev_b32_e32 v2, 19, v1
	v_and_or_b32 v2, v2, s33, v0
	v_alignbit_b32 v1, v2, v1, 31
	v_lshlrev_b32_e32 v83, 1, v1
	ds_read_u16 v79, v83
	s_waitcnt lgkmcnt(0)
	v_add_u16_e32 v1, 1, v79
	ds_write_b16 v83, v1
	v_lshlrev_b32_e32 v1, s24, v31
	v_lshrrev_b32_e32 v2, 19, v1
	v_and_or_b32 v2, v2, s33, v0
	v_alignbit_b32 v1, v2, v1, 31
	v_lshlrev_b32_e32 v81, 1, v1
	ds_read_u16 v75, v81
	s_waitcnt lgkmcnt(0)
	v_add_u16_e32 v1, 1, v75
	ds_write_b16 v81, v1
	v_lshlrev_b32_e32 v1, s24, v32
	v_lshrrev_b32_e32 v2, 19, v1
	v_and_or_b32 v2, v2, s33, v0
	v_alignbit_b32 v1, v2, v1, 31
	v_lshlrev_b32_e32 v84, 1, v1
	ds_read_u16 v78, v84
	s_waitcnt lgkmcnt(0)
	v_add_u16_e32 v1, 1, v78
	ds_write_b16 v84, v1
	v_lshlrev_b32_e32 v1, s24, v33
	v_lshrrev_b32_e32 v2, 19, v1
	v_and_or_b32 v2, v2, s33, v0
	v_alignbit_b32 v1, v2, v1, 31
	v_lshlrev_b32_e32 v86, 1, v1
	ds_read_u16 v82, v86
	s_waitcnt lgkmcnt(0)
	v_add_u16_e32 v1, 1, v82
	ds_write_b16 v86, v1
	v_lshlrev_b32_e32 v1, s24, v34
	v_lshrrev_b32_e32 v2, 19, v1
	v_and_or_b32 v2, v2, s33, v0
	v_alignbit_b32 v1, v2, v1, 31
	v_lshlrev_b32_e32 v88, 1, v1
	ds_read_u16 v85, v88
	s_waitcnt lgkmcnt(0)
	v_add_u16_e32 v1, 1, v85
	ds_write_b16 v88, v1
	v_lshlrev_b32_e32 v1, s24, v35
	v_lshrrev_b32_e32 v2, 19, v1
	v_and_or_b32 v2, v2, s33, v0
	v_alignbit_b32 v1, v2, v1, 31
	v_lshlrev_b32_e32 v90, 1, v1
	ds_read_u16 v87, v90
	s_waitcnt lgkmcnt(0)
	v_add_u16_e32 v1, 1, v87
	ds_write_b16 v90, v1
	v_lshlrev_b32_e32 v1, s24, v37
	v_lshrrev_b32_e32 v2, 19, v1
	v_and_or_b32 v2, v2, s33, v0
	v_alignbit_b32 v1, v2, v1, 31
	v_lshlrev_b32_e32 v93, 1, v1
	ds_read_u16 v89, v93
	s_waitcnt lgkmcnt(0)
	v_add_u16_e32 v1, 1, v89
	ds_write_b16 v93, v1
	v_lshlrev_b32_e32 v1, s24, v38
	v_lshrrev_b32_e32 v2, 19, v1
	v_and_or_b32 v2, v2, s33, v0
	v_alignbit_b32 v1, v2, v1, 31
	v_lshlrev_b32_e32 v96, 1, v1
	ds_read_u16 v92, v96
	s_waitcnt lgkmcnt(0)
	v_add_u16_e32 v1, 1, v92
	ds_write_b16 v96, v1
	v_lshlrev_b32_e32 v1, s24, v39
	v_lshrrev_b32_e32 v2, 19, v1
	v_and_or_b32 v2, v2, s33, v0
	v_alignbit_b32 v1, v2, v1, 31
	v_lshlrev_b32_e32 v99, 1, v1
	ds_read_u16 v95, v99
	s_waitcnt lgkmcnt(0)
	v_add_u16_e32 v1, 1, v95
	ds_write_b16 v99, v1
	v_lshlrev_b32_e32 v1, s24, v40
	v_lshrrev_b32_e32 v2, 19, v1
	v_and_or_b32 v2, v2, s33, v0
	v_alignbit_b32 v1, v2, v1, 31
	v_lshlrev_b32_e32 v97, 1, v1
	ds_read_u16 v91, v97
	s_waitcnt lgkmcnt(0)
	v_add_u16_e32 v1, 1, v91
	ds_write_b16 v97, v1
	v_lshlrev_b32_e32 v1, s24, v41
	v_lshrrev_b32_e32 v2, 19, v1
	v_and_or_b32 v2, v2, s33, v0
	v_alignbit_b32 v1, v2, v1, 31
	v_lshlrev_b32_e32 v100, 1, v1
	ds_read_u16 v94, v100
	s_waitcnt lgkmcnt(0)
	v_add_u16_e32 v1, 1, v94
	ds_write_b16 v100, v1
	v_lshlrev_b32_e32 v1, s24, v42
	v_lshrrev_b32_e32 v2, 19, v1
	v_and_or_b32 v2, v2, s33, v0
	v_alignbit_b32 v1, v2, v1, 31
	v_lshlrev_b32_e32 v102, 1, v1
	ds_read_u16 v98, v102
	s_waitcnt lgkmcnt(0)
	v_add_u16_e32 v1, 1, v98
	ds_write_b16 v102, v1
	v_lshlrev_b32_e32 v1, s24, v43
	v_lshrrev_b32_e32 v2, 19, v1
	v_and_or_b32 v2, v2, s33, v0
	v_alignbit_b32 v1, v2, v1, 31
	v_lshlrev_b32_e32 v104, 1, v1
	ds_read_u16 v101, v104
	s_waitcnt lgkmcnt(0)
	v_add_u16_e32 v1, 1, v101
	ds_write_b16 v104, v1
	v_lshlrev_b32_e32 v1, s24, v44
	v_lshrrev_b32_e32 v2, 19, v1
	v_and_or_b32 v2, v2, s33, v0
	v_alignbit_b32 v1, v2, v1, 31
	v_lshlrev_b32_e32 v106, 1, v1
	ds_read_u16 v103, v106
	s_waitcnt lgkmcnt(0)
	v_add_u16_e32 v1, 1, v103
	ds_write_b16 v106, v1
	v_lshlrev_b32_e32 v1, s24, v45
	v_lshrrev_b32_e32 v2, 19, v1
	v_and_or_b32 v2, v2, s33, v0
	v_alignbit_b32 v1, v2, v1, 31
	v_lshlrev_b32_e32 v108, 1, v1
	ds_read_u16 v105, v108
	s_waitcnt lgkmcnt(0)
	v_add_u16_e32 v1, 1, v105
	ds_write_b16 v108, v1
	v_lshlrev_b32_e32 v1, s24, v47
	v_lshrrev_b32_e32 v2, 19, v1
	v_and_or_b32 v2, v2, s33, v0
	v_alignbit_b32 v1, v2, v1, 31
	v_lshlrev_b32_e32 v110, 1, v1
	ds_read_u16 v107, v110
	s_waitcnt lgkmcnt(0)
	v_add_u16_e32 v1, 1, v107
	ds_write_b16 v110, v1
	v_lshlrev_b32_e32 v1, s24, v48
	v_lshrrev_b32_e32 v2, 19, v1
	v_and_or_b32 v2, v2, s33, v0
	v_alignbit_b32 v1, v2, v1, 31
	v_lshlrev_b32_e32 v111, 1, v1
	ds_read_u16 v109, v111
	s_waitcnt lgkmcnt(0)
	v_add_u16_e32 v1, 1, v109
	ds_write_b16 v111, v1
	s_waitcnt lgkmcnt(0)
	s_barrier
	ds_read2_b64 v[5:8], v9 offset1:1
	ds_read2_b64 v[1:4], v9 offset0:2 offset1:3
	s_waitcnt lgkmcnt(1)
	v_add_u32_e32 v112, v6, v5
	v_add3_u32 v112, v112, v7, v8
	s_waitcnt lgkmcnt(0)
	v_add3_u32 v112, v112, v1, v2
	v_add3_u32 v4, v112, v3, v4
	s_nop 1
	v_mov_b32_dpp v112, v4 row_shr:1 row_mask:0xf bank_mask:0xf
	v_cndmask_b32_e64 v112, v112, 0, s[8:9]
	v_add_u32_e32 v4, v112, v4
	s_nop 1
	v_mov_b32_dpp v112, v4 row_shr:2 row_mask:0xf bank_mask:0xf
	v_cndmask_b32_e64 v112, 0, v112, s[10:11]
	v_add_u32_e32 v4, v4, v112
	;; [unrolled: 4-line block ×4, first 2 shown]
	s_nop 1
	v_mov_b32_dpp v112, v4 row_bcast:15 row_mask:0xf bank_mask:0xf
	v_cndmask_b32_e64 v112, v112, 0, s[16:17]
	v_add_u32_e32 v4, v4, v112
	s_nop 1
	v_mov_b32_dpp v112, v4 row_bcast:31 row_mask:0xf bank_mask:0xf
	v_cndmask_b32_e64 v112, 0, v112, s[6:7]
	v_add_u32_e32 v4, v4, v112
	s_and_saveexec_b64 s[24:25], s[2:3]
; %bb.7:                                ;   in Loop: Header=BB43_4 Depth=2
	ds_write_b32 v12, v4 offset:16384
; %bb.8:                                ;   in Loop: Header=BB43_4 Depth=2
	s_or_b64 exec, exec, s[24:25]
	s_waitcnt lgkmcnt(0)
	s_barrier
	s_and_saveexec_b64 s[24:25], vcc
	s_cbranch_execz .LBB43_10
; %bb.9:                                ;   in Loop: Header=BB43_4 Depth=2
	ds_read_b32 v112, v13 offset:16384
	s_waitcnt lgkmcnt(0)
	s_nop 0
	v_mov_b32_dpp v113, v112 row_shr:1 row_mask:0xf bank_mask:0xf
	v_cndmask_b32_e64 v113, v113, 0, s[18:19]
	v_add_u32_e32 v112, v113, v112
	s_nop 1
	v_mov_b32_dpp v113, v112 row_shr:2 row_mask:0xf bank_mask:0xf
	v_cndmask_b32_e64 v113, 0, v113, s[20:21]
	v_add_u32_e32 v112, v112, v113
	;; [unrolled: 4-line block ×3, first 2 shown]
	ds_write_b32 v13, v112 offset:16384
.LBB43_10:                              ;   in Loop: Header=BB43_4 Depth=2
	s_or_b64 exec, exec, s[24:25]
	v_mov_b32_e32 v112, 0
	s_waitcnt lgkmcnt(0)
	s_barrier
	s_and_saveexec_b64 s[24:25], s[0:1]
	s_cbranch_execz .LBB43_3
; %bb.11:                               ;   in Loop: Header=BB43_4 Depth=2
	ds_read_b32 v112, v12 offset:16380
	s_branch .LBB43_3
.LBB43_12:
	ds_read_u16 v0, v50
	ds_read_u16 v1, v52
	;; [unrolled: 1-line block ×16, first 2 shown]
	s_waitcnt lgkmcnt(7)
	v_add_u32_sdwa v10, v8, v59 dst_sel:DWORD dst_unused:UNUSED_PAD src0_sel:DWORD src1_sel:WORD_0
	ds_read_u16 v8, v81
	ds_read_u16 v19, v84
	;; [unrolled: 1-line block ×8, first 2 shown]
	s_waitcnt lgkmcnt(7)
	v_add_u32_sdwa v18, v8, v75 dst_sel:DWORD dst_unused:UNUSED_PAD src0_sel:DWORD src1_sel:WORD_0
	ds_read_u16 v8, v97
	ds_read_u16 v27, v100
	;; [unrolled: 1-line block ×8, first 2 shown]
	s_add_u32 s0, s26, s28
	v_add_u32_sdwa v0, v0, v36 dst_sel:DWORD dst_unused:UNUSED_PAD src0_sel:DWORD src1_sel:WORD_0
	v_add_u32_sdwa v1, v1, v46 dst_sel:DWORD dst_unused:UNUSED_PAD src0_sel:DWORD src1_sel:WORD_0
	;; [unrolled: 1-line block ×4, first 2 shown]
	s_waitcnt lgkmcnt(7)
	v_add_u32_sdwa v26, v8, v91 dst_sel:DWORD dst_unused:UNUSED_PAD src0_sel:DWORD src1_sel:WORD_0
	s_addc_u32 s1, s27, s29
	v_lshlrev_b32_e32 v8, 2, v9
	v_add_u32_sdwa v4, v4, v55 dst_sel:DWORD dst_unused:UNUSED_PAD src0_sel:DWORD src1_sel:WORD_0
	v_add_u32_sdwa v5, v5, v57 dst_sel:DWORD dst_unused:UNUSED_PAD src0_sel:DWORD src1_sel:WORD_0
	;; [unrolled: 1-line block ×18, first 2 shown]
	s_waitcnt lgkmcnt(6)
	v_add_u32_sdwa v27, v27, v94 dst_sel:DWORD dst_unused:UNUSED_PAD src0_sel:DWORD src1_sel:WORD_0
	s_waitcnt lgkmcnt(5)
	v_add_u32_sdwa v28, v28, v98 dst_sel:DWORD dst_unused:UNUSED_PAD src0_sel:DWORD src1_sel:WORD_0
	s_waitcnt lgkmcnt(4)
	v_add_u32_sdwa v29, v29, v101 dst_sel:DWORD dst_unused:UNUSED_PAD src0_sel:DWORD src1_sel:WORD_0
	s_waitcnt lgkmcnt(3)
	v_add_u32_sdwa v30, v30, v103 dst_sel:DWORD dst_unused:UNUSED_PAD src0_sel:DWORD src1_sel:WORD_0
	s_waitcnt lgkmcnt(2)
	v_add_u32_sdwa v31, v31, v105 dst_sel:DWORD dst_unused:UNUSED_PAD src0_sel:DWORD src1_sel:WORD_0
	s_waitcnt lgkmcnt(1)
	v_add_u32_sdwa v32, v32, v107 dst_sel:DWORD dst_unused:UNUSED_PAD src0_sel:DWORD src1_sel:WORD_0
	s_waitcnt lgkmcnt(0)
	v_add_u32_sdwa v33, v33, v109 dst_sel:DWORD dst_unused:UNUSED_PAD src0_sel:DWORD src1_sel:WORD_0
	global_store_dwordx4 v8, v[0:3], s[0:1]
	global_store_dwordx4 v8, v[4:7], s[0:1] offset:16
	global_store_dwordx4 v8, v[10:13], s[0:1] offset:32
	;; [unrolled: 1-line block ×7, first 2 shown]
	s_endpgm
	.section	.rodata,"a",@progbits
	.p2align	6, 0x0
	.amdhsa_kernel _Z11rank_kernelIiLj4ELb0EL18RadixRankAlgorithm1ELj512ELj32ELj10EEvPKT_Pi
		.amdhsa_group_segment_fixed_size 16416
		.amdhsa_private_segment_fixed_size 0
		.amdhsa_kernarg_size 16
		.amdhsa_user_sgpr_count 6
		.amdhsa_user_sgpr_private_segment_buffer 1
		.amdhsa_user_sgpr_dispatch_ptr 0
		.amdhsa_user_sgpr_queue_ptr 0
		.amdhsa_user_sgpr_kernarg_segment_ptr 1
		.amdhsa_user_sgpr_dispatch_id 0
		.amdhsa_user_sgpr_flat_scratch_init 0
		.amdhsa_user_sgpr_private_segment_size 0
		.amdhsa_uses_dynamic_stack 0
		.amdhsa_system_sgpr_private_segment_wavefront_offset 0
		.amdhsa_system_sgpr_workgroup_id_x 1
		.amdhsa_system_sgpr_workgroup_id_y 0
		.amdhsa_system_sgpr_workgroup_id_z 0
		.amdhsa_system_sgpr_workgroup_info 0
		.amdhsa_system_vgpr_workitem_id 0
		.amdhsa_next_free_vgpr 114
		.amdhsa_next_free_sgpr 93
		.amdhsa_reserve_vcc 1
		.amdhsa_reserve_flat_scratch 0
		.amdhsa_float_round_mode_32 0
		.amdhsa_float_round_mode_16_64 0
		.amdhsa_float_denorm_mode_32 3
		.amdhsa_float_denorm_mode_16_64 3
		.amdhsa_dx10_clamp 1
		.amdhsa_ieee_mode 1
		.amdhsa_fp16_overflow 0
		.amdhsa_exception_fp_ieee_invalid_op 0
		.amdhsa_exception_fp_denorm_src 0
		.amdhsa_exception_fp_ieee_div_zero 0
		.amdhsa_exception_fp_ieee_overflow 0
		.amdhsa_exception_fp_ieee_underflow 0
		.amdhsa_exception_fp_ieee_inexact 0
		.amdhsa_exception_int_div_zero 0
	.end_amdhsa_kernel
	.section	.text._Z11rank_kernelIiLj4ELb0EL18RadixRankAlgorithm1ELj512ELj32ELj10EEvPKT_Pi,"axG",@progbits,_Z11rank_kernelIiLj4ELb0EL18RadixRankAlgorithm1ELj512ELj32ELj10EEvPKT_Pi,comdat
.Lfunc_end43:
	.size	_Z11rank_kernelIiLj4ELb0EL18RadixRankAlgorithm1ELj512ELj32ELj10EEvPKT_Pi, .Lfunc_end43-_Z11rank_kernelIiLj4ELb0EL18RadixRankAlgorithm1ELj512ELj32ELj10EEvPKT_Pi
                                        ; -- End function
	.set _Z11rank_kernelIiLj4ELb0EL18RadixRankAlgorithm1ELj512ELj32ELj10EEvPKT_Pi.num_vgpr, 114
	.set _Z11rank_kernelIiLj4ELb0EL18RadixRankAlgorithm1ELj512ELj32ELj10EEvPKT_Pi.num_agpr, 0
	.set _Z11rank_kernelIiLj4ELb0EL18RadixRankAlgorithm1ELj512ELj32ELj10EEvPKT_Pi.numbered_sgpr, 37
	.set _Z11rank_kernelIiLj4ELb0EL18RadixRankAlgorithm1ELj512ELj32ELj10EEvPKT_Pi.num_named_barrier, 0
	.set _Z11rank_kernelIiLj4ELb0EL18RadixRankAlgorithm1ELj512ELj32ELj10EEvPKT_Pi.private_seg_size, 0
	.set _Z11rank_kernelIiLj4ELb0EL18RadixRankAlgorithm1ELj512ELj32ELj10EEvPKT_Pi.uses_vcc, 1
	.set _Z11rank_kernelIiLj4ELb0EL18RadixRankAlgorithm1ELj512ELj32ELj10EEvPKT_Pi.uses_flat_scratch, 0
	.set _Z11rank_kernelIiLj4ELb0EL18RadixRankAlgorithm1ELj512ELj32ELj10EEvPKT_Pi.has_dyn_sized_stack, 0
	.set _Z11rank_kernelIiLj4ELb0EL18RadixRankAlgorithm1ELj512ELj32ELj10EEvPKT_Pi.has_recursion, 0
	.set _Z11rank_kernelIiLj4ELb0EL18RadixRankAlgorithm1ELj512ELj32ELj10EEvPKT_Pi.has_indirect_call, 0
	.section	.AMDGPU.csdata,"",@progbits
; Kernel info:
; codeLenInByte = 3460
; TotalNumSgprs: 41
; NumVgprs: 114
; ScratchSize: 0
; MemoryBound: 0
; FloatMode: 240
; IeeeMode: 1
; LDSByteSize: 16416 bytes/workgroup (compile time only)
; SGPRBlocks: 12
; VGPRBlocks: 28
; NumSGPRsForWavesPerEU: 97
; NumVGPRsForWavesPerEU: 114
; Occupancy: 2
; WaveLimiterHint : 0
; COMPUTE_PGM_RSRC2:SCRATCH_EN: 0
; COMPUTE_PGM_RSRC2:USER_SGPR: 6
; COMPUTE_PGM_RSRC2:TRAP_HANDLER: 0
; COMPUTE_PGM_RSRC2:TGID_X_EN: 1
; COMPUTE_PGM_RSRC2:TGID_Y_EN: 0
; COMPUTE_PGM_RSRC2:TGID_Z_EN: 0
; COMPUTE_PGM_RSRC2:TIDIG_COMP_CNT: 0
	.section	.text._Z11rank_kernelIiLj4ELb0EL18RadixRankAlgorithm2ELj512ELj32ELj10EEvPKT_Pi,"axG",@progbits,_Z11rank_kernelIiLj4ELb0EL18RadixRankAlgorithm2ELj512ELj32ELj10EEvPKT_Pi,comdat
	.protected	_Z11rank_kernelIiLj4ELb0EL18RadixRankAlgorithm2ELj512ELj32ELj10EEvPKT_Pi ; -- Begin function _Z11rank_kernelIiLj4ELb0EL18RadixRankAlgorithm2ELj512ELj32ELj10EEvPKT_Pi
	.globl	_Z11rank_kernelIiLj4ELb0EL18RadixRankAlgorithm2ELj512ELj32ELj10EEvPKT_Pi
	.p2align	8
	.type	_Z11rank_kernelIiLj4ELb0EL18RadixRankAlgorithm2ELj512ELj32ELj10EEvPKT_Pi,@function
_Z11rank_kernelIiLj4ELb0EL18RadixRankAlgorithm2ELj512ELj32ELj10EEvPKT_Pi: ; @_Z11rank_kernelIiLj4ELb0EL18RadixRankAlgorithm2ELj512ELj32ELj10EEvPKT_Pi
; %bb.0:
	s_mov_b64 s[42:43], s[2:3]
	s_mov_b64 s[40:41], s[0:1]
	s_load_dwordx4 s[28:31], s[4:5], 0x0
	s_load_dword s20, s[4:5], 0x1c
	s_add_u32 s40, s40, s7
	s_addc_u32 s41, s41, 0
	s_lshl_b32 s36, s6, 14
	s_mov_b32 s37, 0
	s_lshl_b64 s[34:35], s[36:37], 2
	s_waitcnt lgkmcnt(0)
	s_add_u32 s0, s28, s34
	s_addc_u32 s1, s29, s35
	v_lshlrev_b32_e32 v3, 7, v0
	global_load_dwordx4 v[7:10], v3, s[0:1]
	global_load_dwordx4 v[11:14], v3, s[0:1] offset:16
	global_load_dwordx4 v[21:24], v3, s[0:1] offset:32
	;; [unrolled: 1-line block ×7, first 2 shown]
	v_mbcnt_lo_u32_b32 v4, -1, 0
	v_lshlrev_b32_e32 v5, 5, v0
	buffer_store_dword v5, off, s[40:43], 0 offset:32 ; 4-byte Folded Spill
	v_mbcnt_hi_u32_b32 v4, -1, v4
	v_or_b32_e32 v5, 63, v0
	v_lshrrev_b32_e32 v15, 4, v0
	v_cmp_eq_u32_e64 s[4:5], v0, v5
	v_subrev_co_u32_e64 v5, s[6:7], 1, v4
	v_and_b32_e32 v18, 64, v4
	s_lshr_b32 s21, s20, 16
	v_and_b32_e32 v15, 28, v15
	v_cmp_lt_i32_e64 s[18:19], v5, v18
	s_and_b32 s20, s20, 0xffff
	v_mad_u32_u24 v1, v2, s21, v1
	v_lshlrev_b32_e32 v6, 2, v0
	v_cmp_gt_u32_e32 vcc, 8, v0
	v_cmp_lt_u32_e64 s[0:1], 63, v0
	v_and_b32_e32 v16, 15, v4
	v_and_b32_e32 v17, 16, v4
	v_cmp_lt_u32_e64 s[2:3], 31, v4
	buffer_store_dword v15, off, s[40:43], 0 ; 4-byte Folded Spill
	v_and_b32_e32 v15, 7, v4
	v_cndmask_b32_e64 v4, v5, v4, s[18:19]
	v_mad_u64_u32 v[0:1], s[20:21], v1, s20, v[0:1]
	v_lshlrev_b32_e32 v1, 2, v4
	buffer_store_dword v1, off, s[40:43], 0 offset:4 ; 4-byte Folded Spill
	v_lshrrev_b32_e32 v0, 4, v0
	v_mov_b32_e32 v3, 0
	v_cmp_eq_u32_e64 s[8:9], 0, v16
	v_cmp_lt_u32_e64 s[10:11], 1, v16
	v_cmp_lt_u32_e64 s[12:13], 3, v16
	;; [unrolled: 1-line block ×3, first 2 shown]
	v_cmp_eq_u32_e64 s[16:17], 0, v17
	v_cmp_eq_u32_e64 s[18:19], 0, v15
	v_cmp_lt_u32_e64 s[20:21], 1, v15
	v_cmp_lt_u32_e64 s[22:23], 3, v15
	v_and_b32_e32 v2, 0xffffffc, v0
	s_waitcnt vmcnt(10)
	v_xor_b32_e32 v1, 0x80000000, v7
	buffer_store_dword v1, off, s[40:43], 0 offset:8 ; 4-byte Folded Spill
	v_xor_b32_e32 v1, 0x80000000, v8
	buffer_store_dword v1, off, s[40:43], 0 offset:12 ; 4-byte Folded Spill
	;; [unrolled: 2-line block ×4, first 2 shown]
	s_waitcnt vmcnt(13)
	v_xor_b32_e32 v1, 0x80000000, v11
	buffer_store_dword v1, off, s[40:43], 0 offset:24 ; 4-byte Folded Spill
	v_xor_b32_e32 v1, 0x80000000, v12
	v_xor_b32_e32 v19, 0x80000000, v13
	v_xor_b32_e32 v20, 0x80000000, v14
	s_waitcnt vmcnt(13)
	v_xor_b32_e32 v21, 0x80000000, v21
	v_xor_b32_e32 v22, 0x80000000, v22
	v_xor_b32_e32 v23, 0x80000000, v23
	v_xor_b32_e32 v24, 0x80000000, v24
	s_waitcnt vmcnt(12)
	v_xor_b32_e32 v25, 0x80000000, v25
	;; [unrolled: 5-line block ×6, first 2 shown]
	v_xor_b32_e32 v43, 0x80000000, v43
	v_xor_b32_e32 v44, 0x80000000, v44
	;; [unrolled: 1-line block ×3, first 2 shown]
	buffer_store_dword v1, off, s[40:43], 0 offset:28 ; 4-byte Folded Spill
	s_branch .LBB44_2
.LBB44_1:                               ;   in Loop: Header=BB44_2 Depth=1
	s_add_i32 s37, s37, 1
	s_cmp_eq_u32 s37, 10
	s_cbranch_scc1 .LBB44_74
.LBB44_2:                               ; =>This Loop Header: Depth=1
                                        ;     Child Loop BB44_4 Depth 2
	s_mov_b32 s28, -4
	s_mov_b32 s29, 28
	s_branch .LBB44_4
.LBB44_3:                               ;   in Loop: Header=BB44_4 Depth=2
	s_or_b64 exec, exec, s[24:25]
	buffer_load_dword v17, off, s[40:43], 0 offset:4 ; 4-byte Folded Reload
	s_waitcnt lgkmcnt(0)
	v_add_u32_e32 v0, v1, v0
	s_add_i32 s29, s29, -4
	s_add_i32 s28, s28, 4
	s_cmp_lt_u32 s28, 28
	s_waitcnt vmcnt(0)
	ds_bpermute_b32 v0, v17, v0
	s_waitcnt lgkmcnt(0)
	v_cndmask_b32_e64 v0, v0, v1, s[6:7]
	ds_write_b32 v6, v0 offset:32
	s_waitcnt lgkmcnt(0)
	s_barrier
	s_cbranch_scc0 .LBB44_1
.LBB44_4:                               ;   Parent Loop BB44_2 Depth=1
                                        ; =>  This Inner Loop Header: Depth=2
	ds_write_b32 v6, v3 offset:32
	s_waitcnt vmcnt(0) lgkmcnt(0)
	s_barrier
	buffer_load_dword v0, off, s[40:43], 0 offset:8 ; 4-byte Folded Reload
	; wave barrier
	s_waitcnt vmcnt(0)
	v_lshlrev_b32_e32 v0, s29, v0
	v_lshrrev_b32_e32 v0, 28, v0
	v_and_b32_e32 v1, 1, v0
	v_add_co_u32_e64 v4, s[24:25], -1, v1
	v_addc_co_u32_e64 v5, s[24:25], 0, -1, s[24:25]
	v_cmp_ne_u32_e64 s[24:25], 0, v1
	v_xor_b32_e32 v4, s24, v4
	v_xor_b32_e32 v1, s25, v5
	v_and_b32_e32 v5, exec_lo, v4
	v_lshlrev_b32_e32 v4, 30, v0
	v_cmp_gt_i64_e64 s[24:25], 0, v[3:4]
	v_not_b32_e32 v4, v4
	v_ashrrev_i32_e32 v4, 31, v4
	v_xor_b32_e32 v8, s25, v4
	v_xor_b32_e32 v4, s24, v4
	v_and_b32_e32 v5, v5, v4
	v_lshlrev_b32_e32 v4, 29, v0
	v_cmp_gt_i64_e64 s[24:25], 0, v[3:4]
	v_not_b32_e32 v4, v4
	v_and_b32_e32 v1, exec_hi, v1
	v_ashrrev_i32_e32 v4, 31, v4
	v_and_b32_e32 v1, v1, v8
	v_xor_b32_e32 v8, s25, v4
	v_xor_b32_e32 v4, s24, v4
	v_and_b32_e32 v5, v5, v4
	v_lshlrev_b32_e32 v4, 28, v0
	v_mul_u32_u24_e32 v7, 36, v0
	v_cmp_gt_i64_e64 s[24:25], 0, v[3:4]
	v_not_b32_e32 v0, v4
	v_ashrrev_i32_e32 v0, 31, v0
	v_xor_b32_e32 v4, s25, v0
	v_xor_b32_e32 v0, s24, v0
	v_and_b32_e32 v1, v1, v8
	v_and_b32_e32 v0, v5, v0
	;; [unrolled: 1-line block ×3, first 2 shown]
	v_mbcnt_lo_u32_b32 v4, v0, 0
	v_mbcnt_hi_u32_b32 v8, v1, v4
	v_cmp_ne_u64_e64 s[24:25], 0, v[0:1]
	v_cmp_eq_u32_e64 s[26:27], 0, v8
	s_and_b64 s[26:27], s[26:27], s[24:25]
	s_and_saveexec_b64 s[24:25], s[26:27]
; %bb.5:                                ;   in Loop: Header=BB44_4 Depth=2
	v_bcnt_u32_b32 v0, v0, 0
	v_bcnt_u32_b32 v0, v1, v0
	v_add_u32_e32 v1, v2, v7
	ds_write_b32 v1, v0 offset:32
; %bb.6:                                ;   in Loop: Header=BB44_4 Depth=2
	s_or_b64 exec, exec, s[24:25]
	; wave barrier
	buffer_load_dword v0, off, s[40:43], 0 offset:12 ; 4-byte Folded Reload
	s_waitcnt vmcnt(0)
	v_lshlrev_b32_e32 v0, s29, v0
	v_lshrrev_b32_e32 v0, 28, v0
	v_mad_u32_u24 v1, v0, 36, v2
	ds_read_b32 v9, v1 offset:32
	v_and_b32_e32 v1, 1, v0
	v_add_co_u32_e64 v4, s[24:25], -1, v1
	v_addc_co_u32_e64 v5, s[24:25], 0, -1, s[24:25]
	v_cmp_ne_u32_e64 s[24:25], 0, v1
	v_xor_b32_e32 v4, s24, v4
	v_xor_b32_e32 v1, s25, v5
	v_and_b32_e32 v5, exec_lo, v4
	v_lshlrev_b32_e32 v4, 30, v0
	v_cmp_gt_i64_e64 s[24:25], 0, v[3:4]
	v_not_b32_e32 v4, v4
	v_ashrrev_i32_e32 v4, 31, v4
	v_xor_b32_e32 v10, s25, v4
	v_xor_b32_e32 v4, s24, v4
	v_and_b32_e32 v5, v5, v4
	v_lshlrev_b32_e32 v4, 29, v0
	v_cmp_gt_i64_e64 s[24:25], 0, v[3:4]
	v_not_b32_e32 v4, v4
	v_and_b32_e32 v1, exec_hi, v1
	v_ashrrev_i32_e32 v4, 31, v4
	v_and_b32_e32 v1, v1, v10
	v_xor_b32_e32 v10, s25, v4
	v_xor_b32_e32 v4, s24, v4
	v_and_b32_e32 v5, v5, v4
	v_lshlrev_b32_e32 v4, 28, v0
	v_mul_u32_u24_e32 v11, 36, v0
	v_cmp_gt_i64_e64 s[24:25], 0, v[3:4]
	v_not_b32_e32 v0, v4
	v_ashrrev_i32_e32 v0, 31, v0
	v_xor_b32_e32 v4, s25, v0
	v_xor_b32_e32 v0, s24, v0
	v_and_b32_e32 v1, v1, v10
	v_and_b32_e32 v0, v5, v0
	;; [unrolled: 1-line block ×3, first 2 shown]
	v_mbcnt_lo_u32_b32 v4, v0, 0
	v_mbcnt_hi_u32_b32 v31, v1, v4
	v_cmp_ne_u64_e64 s[24:25], 0, v[0:1]
	v_cmp_eq_u32_e64 s[26:27], 0, v31
	s_and_b64 s[26:27], s[24:25], s[26:27]
	; wave barrier
	s_and_saveexec_b64 s[24:25], s[26:27]
	s_cbranch_execz .LBB44_8
; %bb.7:                                ;   in Loop: Header=BB44_4 Depth=2
	v_bcnt_u32_b32 v0, v0, 0
	v_bcnt_u32_b32 v0, v1, v0
	s_waitcnt lgkmcnt(0)
	v_add_u32_e32 v0, v9, v0
	v_add_u32_e32 v1, v2, v11
	ds_write_b32 v1, v0 offset:32
.LBB44_8:                               ;   in Loop: Header=BB44_4 Depth=2
	s_or_b64 exec, exec, s[24:25]
	; wave barrier
	buffer_load_dword v0, off, s[40:43], 0 offset:16 ; 4-byte Folded Reload
	s_waitcnt vmcnt(0)
	v_lshlrev_b32_e32 v0, s29, v0
	v_lshrrev_b32_e32 v0, 28, v0
	v_mad_u32_u24 v1, v0, 36, v2
	ds_read_b32 v46, v1 offset:32
	v_and_b32_e32 v1, 1, v0
	v_add_co_u32_e64 v4, s[24:25], -1, v1
	v_addc_co_u32_e64 v5, s[24:25], 0, -1, s[24:25]
	v_cmp_ne_u32_e64 s[24:25], 0, v1
	v_xor_b32_e32 v4, s24, v4
	v_xor_b32_e32 v1, s25, v5
	v_and_b32_e32 v5, exec_lo, v4
	v_lshlrev_b32_e32 v4, 30, v0
	v_cmp_gt_i64_e64 s[24:25], 0, v[3:4]
	v_not_b32_e32 v4, v4
	v_ashrrev_i32_e32 v4, 31, v4
	v_xor_b32_e32 v10, s25, v4
	v_xor_b32_e32 v4, s24, v4
	v_and_b32_e32 v5, v5, v4
	v_lshlrev_b32_e32 v4, 29, v0
	v_cmp_gt_i64_e64 s[24:25], 0, v[3:4]
	v_not_b32_e32 v4, v4
	v_and_b32_e32 v1, exec_hi, v1
	v_ashrrev_i32_e32 v4, 31, v4
	v_and_b32_e32 v1, v1, v10
	v_xor_b32_e32 v10, s25, v4
	v_xor_b32_e32 v4, s24, v4
	v_and_b32_e32 v5, v5, v4
	v_lshlrev_b32_e32 v4, 28, v0
	v_mul_u32_u24_e32 v47, 36, v0
	v_cmp_gt_i64_e64 s[24:25], 0, v[3:4]
	v_not_b32_e32 v0, v4
	v_ashrrev_i32_e32 v0, 31, v0
	v_xor_b32_e32 v4, s25, v0
	v_xor_b32_e32 v0, s24, v0
	v_and_b32_e32 v1, v1, v10
	v_and_b32_e32 v0, v5, v0
	;; [unrolled: 1-line block ×3, first 2 shown]
	v_mbcnt_lo_u32_b32 v4, v0, 0
	v_mbcnt_hi_u32_b32 v48, v1, v4
	v_cmp_ne_u64_e64 s[24:25], 0, v[0:1]
	v_cmp_eq_u32_e64 s[26:27], 0, v48
	s_and_b64 s[26:27], s[24:25], s[26:27]
	; wave barrier
	s_and_saveexec_b64 s[24:25], s[26:27]
	s_cbranch_execz .LBB44_10
; %bb.9:                                ;   in Loop: Header=BB44_4 Depth=2
	v_bcnt_u32_b32 v0, v0, 0
	v_bcnt_u32_b32 v0, v1, v0
	s_waitcnt lgkmcnt(0)
	v_add_u32_e32 v0, v46, v0
	v_add_u32_e32 v1, v2, v47
	ds_write_b32 v1, v0 offset:32
.LBB44_10:                              ;   in Loop: Header=BB44_4 Depth=2
	s_or_b64 exec, exec, s[24:25]
	; wave barrier
	buffer_load_dword v0, off, s[40:43], 0 offset:20 ; 4-byte Folded Reload
	s_waitcnt vmcnt(0)
	v_lshlrev_b32_e32 v0, s29, v0
	v_lshrrev_b32_e32 v0, 28, v0
	v_mad_u32_u24 v1, v0, 36, v2
	ds_read_b32 v49, v1 offset:32
	v_and_b32_e32 v1, 1, v0
	v_add_co_u32_e64 v4, s[24:25], -1, v1
	v_addc_co_u32_e64 v5, s[24:25], 0, -1, s[24:25]
	v_cmp_ne_u32_e64 s[24:25], 0, v1
	v_xor_b32_e32 v4, s24, v4
	v_xor_b32_e32 v1, s25, v5
	v_and_b32_e32 v5, exec_lo, v4
	v_lshlrev_b32_e32 v4, 30, v0
	v_cmp_gt_i64_e64 s[24:25], 0, v[3:4]
	v_not_b32_e32 v4, v4
	v_ashrrev_i32_e32 v4, 31, v4
	v_xor_b32_e32 v10, s25, v4
	v_xor_b32_e32 v4, s24, v4
	v_and_b32_e32 v5, v5, v4
	v_lshlrev_b32_e32 v4, 29, v0
	v_cmp_gt_i64_e64 s[24:25], 0, v[3:4]
	v_not_b32_e32 v4, v4
	v_and_b32_e32 v1, exec_hi, v1
	v_ashrrev_i32_e32 v4, 31, v4
	v_and_b32_e32 v1, v1, v10
	v_xor_b32_e32 v10, s25, v4
	v_xor_b32_e32 v4, s24, v4
	v_and_b32_e32 v5, v5, v4
	v_lshlrev_b32_e32 v4, 28, v0
	v_mul_u32_u24_e32 v50, 36, v0
	v_cmp_gt_i64_e64 s[24:25], 0, v[3:4]
	v_not_b32_e32 v0, v4
	v_ashrrev_i32_e32 v0, 31, v0
	v_xor_b32_e32 v4, s25, v0
	v_xor_b32_e32 v0, s24, v0
	v_and_b32_e32 v1, v1, v10
	v_and_b32_e32 v0, v5, v0
	v_and_b32_e32 v1, v1, v4
	v_mbcnt_lo_u32_b32 v4, v0, 0
	v_mbcnt_hi_u32_b32 v51, v1, v4
	v_cmp_ne_u64_e64 s[24:25], 0, v[0:1]
	v_cmp_eq_u32_e64 s[26:27], 0, v51
	s_and_b64 s[26:27], s[24:25], s[26:27]
	; wave barrier
	s_and_saveexec_b64 s[24:25], s[26:27]
	s_cbranch_execz .LBB44_12
; %bb.11:                               ;   in Loop: Header=BB44_4 Depth=2
	v_bcnt_u32_b32 v0, v0, 0
	v_bcnt_u32_b32 v0, v1, v0
	s_waitcnt lgkmcnt(0)
	v_add_u32_e32 v0, v49, v0
	v_add_u32_e32 v1, v2, v50
	ds_write_b32 v1, v0 offset:32
.LBB44_12:                              ;   in Loop: Header=BB44_4 Depth=2
	s_or_b64 exec, exec, s[24:25]
	; wave barrier
	buffer_load_dword v0, off, s[40:43], 0 offset:24 ; 4-byte Folded Reload
	s_waitcnt vmcnt(0)
	v_lshlrev_b32_e32 v0, s29, v0
	v_lshrrev_b32_e32 v0, 28, v0
	v_mad_u32_u24 v1, v0, 36, v2
	ds_read_b32 v52, v1 offset:32
	v_and_b32_e32 v1, 1, v0
	v_add_co_u32_e64 v4, s[24:25], -1, v1
	v_addc_co_u32_e64 v5, s[24:25], 0, -1, s[24:25]
	v_cmp_ne_u32_e64 s[24:25], 0, v1
	v_xor_b32_e32 v4, s24, v4
	v_xor_b32_e32 v1, s25, v5
	v_and_b32_e32 v5, exec_lo, v4
	v_lshlrev_b32_e32 v4, 30, v0
	v_cmp_gt_i64_e64 s[24:25], 0, v[3:4]
	v_not_b32_e32 v4, v4
	v_ashrrev_i32_e32 v4, 31, v4
	v_xor_b32_e32 v10, s25, v4
	v_xor_b32_e32 v4, s24, v4
	v_and_b32_e32 v5, v5, v4
	v_lshlrev_b32_e32 v4, 29, v0
	v_cmp_gt_i64_e64 s[24:25], 0, v[3:4]
	v_not_b32_e32 v4, v4
	v_and_b32_e32 v1, exec_hi, v1
	v_ashrrev_i32_e32 v4, 31, v4
	v_and_b32_e32 v1, v1, v10
	v_xor_b32_e32 v10, s25, v4
	v_xor_b32_e32 v4, s24, v4
	v_and_b32_e32 v5, v5, v4
	v_lshlrev_b32_e32 v4, 28, v0
	v_mul_u32_u24_e32 v53, 36, v0
	v_cmp_gt_i64_e64 s[24:25], 0, v[3:4]
	v_not_b32_e32 v0, v4
	v_ashrrev_i32_e32 v0, 31, v0
	v_xor_b32_e32 v4, s25, v0
	v_xor_b32_e32 v0, s24, v0
	v_and_b32_e32 v1, v1, v10
	v_and_b32_e32 v0, v5, v0
	v_and_b32_e32 v1, v1, v4
	v_mbcnt_lo_u32_b32 v4, v0, 0
	v_mbcnt_hi_u32_b32 v54, v1, v4
	v_cmp_ne_u64_e64 s[24:25], 0, v[0:1]
	v_cmp_eq_u32_e64 s[26:27], 0, v54
	s_and_b64 s[26:27], s[24:25], s[26:27]
	; wave barrier
	s_and_saveexec_b64 s[24:25], s[26:27]
	s_cbranch_execz .LBB44_14
; %bb.13:                               ;   in Loop: Header=BB44_4 Depth=2
	v_bcnt_u32_b32 v0, v0, 0
	v_bcnt_u32_b32 v0, v1, v0
	s_waitcnt lgkmcnt(0)
	v_add_u32_e32 v0, v52, v0
	v_add_u32_e32 v1, v2, v53
	ds_write_b32 v1, v0 offset:32
.LBB44_14:                              ;   in Loop: Header=BB44_4 Depth=2
	;; [unrolled: 57-line block ×3, first 2 shown]
	s_or_b64 exec, exec, s[24:25]
	v_lshlrev_b32_e32 v0, s29, v19
	v_lshrrev_b32_e32 v0, 28, v0
	v_mad_u32_u24 v1, v0, 36, v2
	; wave barrier
	ds_read_b32 v58, v1 offset:32
	v_and_b32_e32 v1, 1, v0
	v_add_co_u32_e64 v4, s[24:25], -1, v1
	v_addc_co_u32_e64 v5, s[24:25], 0, -1, s[24:25]
	v_cmp_ne_u32_e64 s[24:25], 0, v1
	v_xor_b32_e32 v4, s24, v4
	v_xor_b32_e32 v1, s25, v5
	v_and_b32_e32 v5, exec_lo, v4
	v_lshlrev_b32_e32 v4, 30, v0
	v_cmp_gt_i64_e64 s[24:25], 0, v[3:4]
	v_not_b32_e32 v4, v4
	v_ashrrev_i32_e32 v4, 31, v4
	v_xor_b32_e32 v10, s25, v4
	v_xor_b32_e32 v4, s24, v4
	v_and_b32_e32 v5, v5, v4
	v_lshlrev_b32_e32 v4, 29, v0
	v_cmp_gt_i64_e64 s[24:25], 0, v[3:4]
	v_not_b32_e32 v4, v4
	v_and_b32_e32 v1, exec_hi, v1
	v_ashrrev_i32_e32 v4, 31, v4
	v_and_b32_e32 v1, v1, v10
	v_xor_b32_e32 v10, s25, v4
	v_xor_b32_e32 v4, s24, v4
	v_and_b32_e32 v5, v5, v4
	v_lshlrev_b32_e32 v4, 28, v0
	v_mul_u32_u24_e32 v59, 36, v0
	v_cmp_gt_i64_e64 s[24:25], 0, v[3:4]
	v_not_b32_e32 v0, v4
	v_ashrrev_i32_e32 v0, 31, v0
	v_xor_b32_e32 v4, s25, v0
	v_xor_b32_e32 v0, s24, v0
	v_and_b32_e32 v1, v1, v10
	v_and_b32_e32 v0, v5, v0
	v_and_b32_e32 v1, v1, v4
	v_mbcnt_lo_u32_b32 v4, v0, 0
	v_mbcnt_hi_u32_b32 v60, v1, v4
	v_cmp_ne_u64_e64 s[24:25], 0, v[0:1]
	v_cmp_eq_u32_e64 s[26:27], 0, v60
	s_and_b64 s[26:27], s[24:25], s[26:27]
	; wave barrier
	s_and_saveexec_b64 s[24:25], s[26:27]
	s_cbranch_execz .LBB44_18
; %bb.17:                               ;   in Loop: Header=BB44_4 Depth=2
	v_bcnt_u32_b32 v0, v0, 0
	v_bcnt_u32_b32 v0, v1, v0
	s_waitcnt lgkmcnt(0)
	v_add_u32_e32 v0, v58, v0
	v_add_u32_e32 v1, v2, v59
	ds_write_b32 v1, v0 offset:32
.LBB44_18:                              ;   in Loop: Header=BB44_4 Depth=2
	s_or_b64 exec, exec, s[24:25]
	v_lshlrev_b32_e32 v0, s29, v20
	v_lshrrev_b32_e32 v0, 28, v0
	v_mad_u32_u24 v1, v0, 36, v2
	; wave barrier
	ds_read_b32 v61, v1 offset:32
	v_and_b32_e32 v1, 1, v0
	v_add_co_u32_e64 v4, s[24:25], -1, v1
	v_addc_co_u32_e64 v5, s[24:25], 0, -1, s[24:25]
	v_cmp_ne_u32_e64 s[24:25], 0, v1
	v_xor_b32_e32 v4, s24, v4
	v_xor_b32_e32 v1, s25, v5
	v_and_b32_e32 v5, exec_lo, v4
	v_lshlrev_b32_e32 v4, 30, v0
	v_cmp_gt_i64_e64 s[24:25], 0, v[3:4]
	v_not_b32_e32 v4, v4
	v_ashrrev_i32_e32 v4, 31, v4
	v_xor_b32_e32 v10, s25, v4
	v_xor_b32_e32 v4, s24, v4
	v_and_b32_e32 v5, v5, v4
	v_lshlrev_b32_e32 v4, 29, v0
	v_cmp_gt_i64_e64 s[24:25], 0, v[3:4]
	v_not_b32_e32 v4, v4
	v_and_b32_e32 v1, exec_hi, v1
	v_ashrrev_i32_e32 v4, 31, v4
	v_and_b32_e32 v1, v1, v10
	v_xor_b32_e32 v10, s25, v4
	v_xor_b32_e32 v4, s24, v4
	v_and_b32_e32 v5, v5, v4
	v_lshlrev_b32_e32 v4, 28, v0
	v_mul_u32_u24_e32 v62, 36, v0
	v_cmp_gt_i64_e64 s[24:25], 0, v[3:4]
	v_not_b32_e32 v0, v4
	v_ashrrev_i32_e32 v0, 31, v0
	v_xor_b32_e32 v4, s25, v0
	v_xor_b32_e32 v0, s24, v0
	v_and_b32_e32 v1, v1, v10
	v_and_b32_e32 v0, v5, v0
	v_and_b32_e32 v1, v1, v4
	v_mbcnt_lo_u32_b32 v4, v0, 0
	v_mbcnt_hi_u32_b32 v63, v1, v4
	v_cmp_ne_u64_e64 s[24:25], 0, v[0:1]
	v_cmp_eq_u32_e64 s[26:27], 0, v63
	s_and_b64 s[26:27], s[24:25], s[26:27]
	; wave barrier
	s_and_saveexec_b64 s[24:25], s[26:27]
	s_cbranch_execz .LBB44_20
; %bb.19:                               ;   in Loop: Header=BB44_4 Depth=2
	v_bcnt_u32_b32 v0, v0, 0
	v_bcnt_u32_b32 v0, v1, v0
	s_waitcnt lgkmcnt(0)
	v_add_u32_e32 v0, v61, v0
	v_add_u32_e32 v1, v2, v62
	ds_write_b32 v1, v0 offset:32
.LBB44_20:                              ;   in Loop: Header=BB44_4 Depth=2
	;; [unrolled: 55-line block ×26, first 2 shown]
	s_or_b64 exec, exec, s[24:25]
	; wave barrier
	s_waitcnt lgkmcnt(0)
	s_barrier
	ds_read_b32 v0, v6 offset:32
	s_waitcnt lgkmcnt(0)
	s_nop 0
	v_mov_b32_dpp v1, v0 row_shr:1 row_mask:0xf bank_mask:0xf
	v_cndmask_b32_e64 v1, v1, 0, s[8:9]
	v_add_u32_e32 v0, v1, v0
	s_nop 1
	v_mov_b32_dpp v1, v0 row_shr:2 row_mask:0xf bank_mask:0xf
	v_cndmask_b32_e64 v1, 0, v1, s[10:11]
	v_add_u32_e32 v0, v0, v1
	;; [unrolled: 4-line block ×4, first 2 shown]
	s_nop 1
	v_mov_b32_dpp v1, v0 row_bcast:15 row_mask:0xf bank_mask:0xf
	v_cndmask_b32_e64 v1, v1, 0, s[16:17]
	v_add_u32_e32 v0, v0, v1
	s_nop 1
	v_mov_b32_dpp v1, v0 row_bcast:31 row_mask:0xf bank_mask:0xf
	v_cndmask_b32_e64 v1, 0, v1, s[2:3]
	v_add_u32_e32 v0, v0, v1
	s_and_saveexec_b64 s[24:25], s[4:5]
	s_cbranch_execz .LBB44_70
; %bb.69:                               ;   in Loop: Header=BB44_4 Depth=2
	buffer_load_dword v1, off, s[40:43], 0  ; 4-byte Folded Reload
	s_waitcnt vmcnt(0)
	ds_write_b32 v1, v0
.LBB44_70:                              ;   in Loop: Header=BB44_4 Depth=2
	s_or_b64 exec, exec, s[24:25]
	s_waitcnt lgkmcnt(0)
	s_barrier
	s_and_saveexec_b64 s[24:25], vcc
	s_cbranch_execz .LBB44_72
; %bb.71:                               ;   in Loop: Header=BB44_4 Depth=2
	ds_read_b32 v1, v6
	s_waitcnt lgkmcnt(0)
	s_nop 0
	v_mov_b32_dpp v17, v1 row_shr:1 row_mask:0xf bank_mask:0xf
	v_cndmask_b32_e64 v17, v17, 0, s[18:19]
	v_add_u32_e32 v1, v17, v1
	s_nop 1
	v_mov_b32_dpp v17, v1 row_shr:2 row_mask:0xf bank_mask:0xf
	v_cndmask_b32_e64 v17, 0, v17, s[20:21]
	v_add_u32_e32 v1, v1, v17
	;; [unrolled: 4-line block ×3, first 2 shown]
	ds_write_b32 v6, v1
.LBB44_72:                              ;   in Loop: Header=BB44_4 Depth=2
	s_or_b64 exec, exec, s[24:25]
	v_mov_b32_e32 v1, 0
	s_waitcnt lgkmcnt(0)
	s_barrier
	s_and_saveexec_b64 s[24:25], s[0:1]
	s_cbranch_execz .LBB44_3
; %bb.73:                               ;   in Loop: Header=BB44_4 Depth=2
	buffer_load_dword v1, off, s[40:43], 0  ; 4-byte Folded Reload
	s_waitcnt vmcnt(0)
	v_add_u32_e32 v1, -4, v1
	ds_read_b32 v1, v1
	s_branch .LBB44_3
.LBB44_74:
	v_add_u32_e32 v0, v2, v16
	v_add_u32_e32 v1, v2, v14
	;; [unrolled: 1-line block ×8, first 2 shown]
	ds_read_b32 v0, v0 offset:32
	ds_read_b32 v1, v1 offset:32
	;; [unrolled: 1-line block ×8, first 2 shown]
	s_waitcnt lgkmcnt(7)
	v_add3_u32 v15, v4, v15, v0
	s_waitcnt lgkmcnt(6)
	v_add3_u32 v14, v13, v12, v1
	s_waitcnt lgkmcnt(4)
	v_add3_u32 v12, v125, v124, v6
	s_waitcnt lgkmcnt(3)
	v_add3_u32 v6, v122, v121, v10
	s_waitcnt lgkmcnt(1)
	v_add3_u32 v4, v116, v115, v16
	v_add_u32_e32 v0, v2, v110
	v_add_u32_e32 v1, v2, v107
	;; [unrolled: 1-line block ×5, first 2 shown]
	v_add3_u32 v13, v5, v127, v3
	v_add3_u32 v5, v119, v118, v18
	s_waitcnt lgkmcnt(0)
	v_add3_u32 v3, v113, v112, v17
	v_add_u32_e32 v17, v2, v98
	v_add_u32_e32 v18, v2, v95
	;; [unrolled: 1-line block ×3, first 2 shown]
	ds_read_b32 v0, v0 offset:32
	ds_read_b32 v1, v1 offset:32
	ds_read_b32 v10, v10 offset:32
	ds_read_b32 v16, v16 offset:32
	ds_read_b32 v21, v17 offset:32
	ds_read_b32 v22, v18 offset:32
	ds_read_b32 v24, v19 offset:32
	ds_read_b32 v20, v20 offset:32
	s_waitcnt lgkmcnt(7)
	v_add3_u32 v19, v111, v109, v0
	s_waitcnt lgkmcnt(6)
	v_add3_u32 v18, v108, v106, v1
	;; [unrolled: 2-line block ×5, first 2 shown]
	v_add_u32_e32 v0, v2, v86
	v_add_u32_e32 v1, v2, v83
	;; [unrolled: 1-line block ×8, first 2 shown]
	ds_read_b32 v0, v0 offset:32
	ds_read_b32 v1, v1 offset:32
	;; [unrolled: 1-line block ×8, first 2 shown]
	s_waitcnt lgkmcnt(7)
	v_add3_u32 v27, v87, v85, v0
	s_waitcnt lgkmcnt(6)
	v_add3_u32 v26, v84, v82, v1
	;; [unrolled: 2-line block ×7, first 2 shown]
	v_add_u32_e32 v0, v2, v62
	v_add_u32_e32 v1, v2, v59
	;; [unrolled: 1-line block ×8, first 2 shown]
	ds_read_b32 v0, v0 offset:32
	ds_read_b32 v1, v1 offset:32
	;; [unrolled: 1-line block ×8, first 2 shown]
	s_waitcnt lgkmcnt(7)
	v_add3_u32 v39, v63, v61, v0
	buffer_load_dword v0, off, s[40:43], 0 offset:32 ; 4-byte Folded Reload
	s_add_u32 s0, s30, s34
	s_waitcnt lgkmcnt(4)
	v_add3_u32 v36, v54, v52, v10
	s_waitcnt lgkmcnt(3)
	v_add3_u32 v11, v51, v49, v28
	;; [unrolled: 2-line block ×4, first 2 shown]
	s_waitcnt lgkmcnt(0)
	v_add_u32_e32 v8, v2, v8
	s_addc_u32 s1, s31, s35
	v_add3_u32 v16, v102, v100, v16
	v_add3_u32 v22, v96, v94, v22
	;; [unrolled: 1-line block ×6, first 2 shown]
	s_waitcnt vmcnt(0)
	v_lshlrev_b32_e32 v0, 2, v0
	global_store_dwordx4 v0, v[8:11], s[0:1]
	global_store_dwordx4 v0, v[36:39], s[0:1] offset:16
	global_store_dwordx4 v0, v[32:35], s[0:1] offset:32
	;; [unrolled: 1-line block ×7, first 2 shown]
	s_endpgm
	.section	.rodata,"a",@progbits
	.p2align	6, 0x0
	.amdhsa_kernel _Z11rank_kernelIiLj4ELb0EL18RadixRankAlgorithm2ELj512ELj32ELj10EEvPKT_Pi
		.amdhsa_group_segment_fixed_size 2080
		.amdhsa_private_segment_fixed_size 40
		.amdhsa_kernarg_size 272
		.amdhsa_user_sgpr_count 6
		.amdhsa_user_sgpr_private_segment_buffer 1
		.amdhsa_user_sgpr_dispatch_ptr 0
		.amdhsa_user_sgpr_queue_ptr 0
		.amdhsa_user_sgpr_kernarg_segment_ptr 1
		.amdhsa_user_sgpr_dispatch_id 0
		.amdhsa_user_sgpr_flat_scratch_init 0
		.amdhsa_user_sgpr_private_segment_size 0
		.amdhsa_uses_dynamic_stack 0
		.amdhsa_system_sgpr_private_segment_wavefront_offset 1
		.amdhsa_system_sgpr_workgroup_id_x 1
		.amdhsa_system_sgpr_workgroup_id_y 0
		.amdhsa_system_sgpr_workgroup_id_z 0
		.amdhsa_system_sgpr_workgroup_info 0
		.amdhsa_system_vgpr_workitem_id 2
		.amdhsa_next_free_vgpr 128
		.amdhsa_next_free_sgpr 44
		.amdhsa_reserve_vcc 1
		.amdhsa_reserve_flat_scratch 0
		.amdhsa_float_round_mode_32 0
		.amdhsa_float_round_mode_16_64 0
		.amdhsa_float_denorm_mode_32 3
		.amdhsa_float_denorm_mode_16_64 3
		.amdhsa_dx10_clamp 1
		.amdhsa_ieee_mode 1
		.amdhsa_fp16_overflow 0
		.amdhsa_exception_fp_ieee_invalid_op 0
		.amdhsa_exception_fp_denorm_src 0
		.amdhsa_exception_fp_ieee_div_zero 0
		.amdhsa_exception_fp_ieee_overflow 0
		.amdhsa_exception_fp_ieee_underflow 0
		.amdhsa_exception_fp_ieee_inexact 0
		.amdhsa_exception_int_div_zero 0
	.end_amdhsa_kernel
	.section	.text._Z11rank_kernelIiLj4ELb0EL18RadixRankAlgorithm2ELj512ELj32ELj10EEvPKT_Pi,"axG",@progbits,_Z11rank_kernelIiLj4ELb0EL18RadixRankAlgorithm2ELj512ELj32ELj10EEvPKT_Pi,comdat
.Lfunc_end44:
	.size	_Z11rank_kernelIiLj4ELb0EL18RadixRankAlgorithm2ELj512ELj32ELj10EEvPKT_Pi, .Lfunc_end44-_Z11rank_kernelIiLj4ELb0EL18RadixRankAlgorithm2ELj512ELj32ELj10EEvPKT_Pi
                                        ; -- End function
	.set _Z11rank_kernelIiLj4ELb0EL18RadixRankAlgorithm2ELj512ELj32ELj10EEvPKT_Pi.num_vgpr, 128
	.set _Z11rank_kernelIiLj4ELb0EL18RadixRankAlgorithm2ELj512ELj32ELj10EEvPKT_Pi.num_agpr, 0
	.set _Z11rank_kernelIiLj4ELb0EL18RadixRankAlgorithm2ELj512ELj32ELj10EEvPKT_Pi.numbered_sgpr, 44
	.set _Z11rank_kernelIiLj4ELb0EL18RadixRankAlgorithm2ELj512ELj32ELj10EEvPKT_Pi.num_named_barrier, 0
	.set _Z11rank_kernelIiLj4ELb0EL18RadixRankAlgorithm2ELj512ELj32ELj10EEvPKT_Pi.private_seg_size, 40
	.set _Z11rank_kernelIiLj4ELb0EL18RadixRankAlgorithm2ELj512ELj32ELj10EEvPKT_Pi.uses_vcc, 1
	.set _Z11rank_kernelIiLj4ELb0EL18RadixRankAlgorithm2ELj512ELj32ELj10EEvPKT_Pi.uses_flat_scratch, 0
	.set _Z11rank_kernelIiLj4ELb0EL18RadixRankAlgorithm2ELj512ELj32ELj10EEvPKT_Pi.has_dyn_sized_stack, 0
	.set _Z11rank_kernelIiLj4ELb0EL18RadixRankAlgorithm2ELj512ELj32ELj10EEvPKT_Pi.has_recursion, 0
	.set _Z11rank_kernelIiLj4ELb0EL18RadixRankAlgorithm2ELj512ELj32ELj10EEvPKT_Pi.has_indirect_call, 0
	.section	.AMDGPU.csdata,"",@progbits
; Kernel info:
; codeLenInByte = 10492
; TotalNumSgprs: 48
; NumVgprs: 128
; ScratchSize: 40
; MemoryBound: 0
; FloatMode: 240
; IeeeMode: 1
; LDSByteSize: 2080 bytes/workgroup (compile time only)
; SGPRBlocks: 5
; VGPRBlocks: 31
; NumSGPRsForWavesPerEU: 48
; NumVGPRsForWavesPerEU: 128
; Occupancy: 2
; WaveLimiterHint : 0
; COMPUTE_PGM_RSRC2:SCRATCH_EN: 1
; COMPUTE_PGM_RSRC2:USER_SGPR: 6
; COMPUTE_PGM_RSRC2:TRAP_HANDLER: 0
; COMPUTE_PGM_RSRC2:TGID_X_EN: 1
; COMPUTE_PGM_RSRC2:TGID_Y_EN: 0
; COMPUTE_PGM_RSRC2:TGID_Z_EN: 0
; COMPUTE_PGM_RSRC2:TIDIG_COMP_CNT: 2
	.section	.text._Z11rank_kernelIhLj4ELb0EL18RadixRankAlgorithm0ELj128ELj1ELj10EEvPKT_Pi,"axG",@progbits,_Z11rank_kernelIhLj4ELb0EL18RadixRankAlgorithm0ELj128ELj1ELj10EEvPKT_Pi,comdat
	.protected	_Z11rank_kernelIhLj4ELb0EL18RadixRankAlgorithm0ELj128ELj1ELj10EEvPKT_Pi ; -- Begin function _Z11rank_kernelIhLj4ELb0EL18RadixRankAlgorithm0ELj128ELj1ELj10EEvPKT_Pi
	.globl	_Z11rank_kernelIhLj4ELb0EL18RadixRankAlgorithm0ELj128ELj1ELj10EEvPKT_Pi
	.p2align	8
	.type	_Z11rank_kernelIhLj4ELb0EL18RadixRankAlgorithm0ELj128ELj1ELj10EEvPKT_Pi,@function
_Z11rank_kernelIhLj4ELb0EL18RadixRankAlgorithm0ELj128ELj1ELj10EEvPKT_Pi: ; @_Z11rank_kernelIhLj4ELb0EL18RadixRankAlgorithm0ELj128ELj1ELj10EEvPKT_Pi
; %bb.0:
	s_load_dwordx4 s[36:39], s[4:5], 0x0
	s_lshl_b32 s40, s6, 7
	v_mbcnt_lo_u32_b32 v3, -1, 0
	v_mbcnt_hi_u32_b32 v4, -1, v3
	v_or_b32_e32 v3, 63, v0
	s_waitcnt lgkmcnt(0)
	s_add_u32 s0, s36, s40
	s_addc_u32 s1, s37, 0
	global_load_ubyte v5, v0, s[0:1]
	v_lshrrev_b32_e32 v6, 4, v0
	v_subrev_co_u32_e64 v10, s[20:21], 1, v4
	v_and_b32_e32 v11, 64, v4
	v_and_b32_e32 v8, 15, v4
	;; [unrolled: 1-line block ×3, first 2 shown]
	v_cmp_eq_u32_e64 s[18:19], v0, v3
	v_and_b32_e32 v3, 4, v6
	v_and_b32_e32 v6, 1, v4
	v_cmp_lt_i32_e64 s[34:35], v10, v11
	s_movk_i32 s36, 0x380
	v_cmp_lt_u32_e64 s[16:17], 31, v4
	v_cmp_eq_u32_e64 s[22:23], 0, v8
	v_cmp_lt_u32_e64 s[24:25], 1, v8
	v_cmp_lt_u32_e64 s[26:27], 3, v8
	;; [unrolled: 1-line block ×3, first 2 shown]
	v_cmp_eq_u32_e64 s[30:31], 0, v9
	v_cndmask_b32_e64 v4, v10, v4, s[34:35]
	v_cmp_eq_u32_e64 s[34:35], 0, v6
	s_movk_i32 s4, 0x300
	s_movk_i32 s6, 0x280
	;; [unrolled: 1-line block ×6, first 2 shown]
	v_lshlrev_b32_e32 v2, 5, v0
	v_mul_i32_i24_e32 v7, 0xffffffe4, v0
	s_mov_b32 s41, 0
	v_mov_b32_e32 v1, 0
	s_mov_b32 s33, 10
	v_cmp_gt_u32_e32 vcc, 2, v0
	v_cmp_lt_u32_e64 s[0:1], 63, v0
	v_cmp_gt_u32_e64 s[2:3], s36, v0
	v_cmp_gt_u32_e64 s[4:5], s4, v0
	;; [unrolled: 1-line block ×7, first 2 shown]
	v_lshlrev_b32_e32 v4, 2, v4
	v_add_u32_e32 v7, v2, v7
	s_waitcnt vmcnt(0)
	v_lshlrev_b32_e32 v6, 3, v5
	v_lshrrev_b32_e32 v8, 6, v5
	v_lshlrev_b32_e32 v9, 7, v5
	v_lshrrev_b32_e32 v5, 2, v5
	v_and_or_b32 v6, v6, s36, v0
	v_and_b32_e32 v8, 2, v8
	v_and_or_b32 v9, v9, s36, v0
	v_and_b32_e32 v10, 2, v5
	v_lshl_or_b32 v5, v6, 2, v8
	v_lshl_or_b32 v6, v9, 2, v10
	s_branch .LBB45_2
.LBB45_1:                               ;   in Loop: Header=BB45_2 Depth=1
	s_or_b64 exec, exec, s[36:37]
	s_waitcnt lgkmcnt(0)
	v_add_u32_e32 v9, v10, v9
	ds_bpermute_b32 v9, v4, v9
	ds_read_b32 v17, v1 offset:4100
	ds_read2_b64 v[11:14], v2 offset1:1
	ds_read_b64 v[15:16], v2 offset:16
	ds_read_b32 v18, v2 offset:24
	s_add_i32 s33, s33, -1
	s_cmp_eq_u32 s33, 0
	s_waitcnt lgkmcnt(4)
	v_cndmask_b32_e64 v9, v9, v10, s[20:21]
	s_waitcnt lgkmcnt(3)
	v_lshl_add_u32 v9, v17, 16, v9
	s_waitcnt lgkmcnt(2)
	v_add_u32_e32 v10, v9, v11
	v_add_u32_e32 v11, v12, v10
	;; [unrolled: 1-line block ×3, first 2 shown]
	ds_write2_b64 v2, v[9:10], v[11:12] offset1:1
	v_add_u32_e32 v9, v14, v12
	s_waitcnt lgkmcnt(2)
	v_add_u32_e32 v10, v15, v9
	v_add_u32_e32 v11, v16, v10
	s_waitcnt lgkmcnt(1)
	v_add_u32_e32 v12, v18, v11
	ds_write2_b64 v2, v[9:10], v[11:12] offset0:2 offset1:3
	s_waitcnt lgkmcnt(0)
	s_barrier
	s_cbranch_scc1 .LBB45_30
.LBB45_2:                               ; =>This Inner Loop Header: Depth=1
	ds_write_b32 v7, v1
	s_and_saveexec_b64 s[36:37], s[2:3]
	s_cbranch_execz .LBB45_10
; %bb.3:                                ;   in Loop: Header=BB45_2 Depth=1
	ds_write_b32 v7, v1 offset:512
	s_and_b64 exec, exec, s[4:5]
	s_cbranch_execz .LBB45_10
; %bb.4:                                ;   in Loop: Header=BB45_2 Depth=1
	ds_write_b32 v7, v1 offset:1024
	s_and_b64 exec, exec, s[6:7]
	;; [unrolled: 4-line block ×6, first 2 shown]
; %bb.9:                                ;   in Loop: Header=BB45_2 Depth=1
	ds_write_b32 v7, v1 offset:3584
.LBB45_10:                              ;   in Loop: Header=BB45_2 Depth=1
	s_or_b64 exec, exec, s[36:37]
	ds_read_u16 v8, v6
	s_waitcnt lgkmcnt(0)
	v_add_u16_e32 v8, 1, v8
	ds_write_b16 v6, v8
	s_waitcnt lgkmcnt(0)
	s_barrier
	ds_read2_b64 v[8:11], v2 offset1:1
	ds_read2_b64 v[12:15], v2 offset0:2 offset1:3
	s_waitcnt lgkmcnt(1)
	v_add_u32_e32 v8, v9, v8
	v_add3_u32 v8, v8, v10, v11
	s_waitcnt lgkmcnt(0)
	v_add3_u32 v8, v8, v12, v13
	v_add3_u32 v8, v8, v14, v15
	s_nop 1
	v_mov_b32_dpp v9, v8 row_shr:1 row_mask:0xf bank_mask:0xf
	v_cndmask_b32_e64 v9, v9, 0, s[22:23]
	v_add_u32_e32 v8, v9, v8
	s_nop 1
	v_mov_b32_dpp v9, v8 row_shr:2 row_mask:0xf bank_mask:0xf
	v_cndmask_b32_e64 v9, 0, v9, s[24:25]
	v_add_u32_e32 v8, v8, v9
	;; [unrolled: 4-line block ×4, first 2 shown]
	s_nop 1
	v_mov_b32_dpp v9, v8 row_bcast:15 row_mask:0xf bank_mask:0xf
	v_cndmask_b32_e64 v9, v9, 0, s[30:31]
	v_add_u32_e32 v8, v8, v9
	s_nop 1
	v_mov_b32_dpp v9, v8 row_bcast:31 row_mask:0xf bank_mask:0xf
	v_cndmask_b32_e64 v9, 0, v9, s[16:17]
	v_add_u32_e32 v8, v8, v9
	s_and_saveexec_b64 s[36:37], s[18:19]
; %bb.11:                               ;   in Loop: Header=BB45_2 Depth=1
	ds_write_b32 v3, v8 offset:4096
; %bb.12:                               ;   in Loop: Header=BB45_2 Depth=1
	s_or_b64 exec, exec, s[36:37]
	s_waitcnt lgkmcnt(0)
	s_barrier
	s_and_saveexec_b64 s[36:37], vcc
	s_cbranch_execz .LBB45_14
; %bb.13:                               ;   in Loop: Header=BB45_2 Depth=1
	ds_read_b32 v9, v7 offset:4096
	s_waitcnt lgkmcnt(0)
	s_nop 0
	v_mov_b32_dpp v10, v9 row_shr:1 row_mask:0xf bank_mask:0xf
	v_cndmask_b32_e64 v10, v10, 0, s[34:35]
	v_add_u32_e32 v9, v10, v9
	ds_write_b32 v7, v9 offset:4096
.LBB45_14:                              ;   in Loop: Header=BB45_2 Depth=1
	s_or_b64 exec, exec, s[36:37]
	v_mov_b32_e32 v9, 0
	s_waitcnt lgkmcnt(0)
	s_barrier
	s_and_saveexec_b64 s[36:37], s[0:1]
; %bb.15:                               ;   in Loop: Header=BB45_2 Depth=1
	ds_read_b32 v9, v3 offset:4092
; %bb.16:                               ;   in Loop: Header=BB45_2 Depth=1
	s_or_b64 exec, exec, s[36:37]
	s_waitcnt lgkmcnt(0)
	v_add_u32_e32 v8, v9, v8
	ds_bpermute_b32 v8, v4, v8
	ds_read_b32 v16, v1 offset:4100
	ds_read2_b64 v[10:13], v2 offset1:1
	ds_read_b64 v[14:15], v2 offset:16
	ds_read_b32 v17, v2 offset:24
	s_waitcnt lgkmcnt(4)
	v_cndmask_b32_e64 v8, v8, v9, s[20:21]
	s_waitcnt lgkmcnt(3)
	v_lshl_add_u32 v8, v16, 16, v8
	s_waitcnt lgkmcnt(2)
	v_add_u32_e32 v9, v8, v10
	v_add_u32_e32 v10, v11, v9
	;; [unrolled: 1-line block ×3, first 2 shown]
	ds_write2_b64 v2, v[8:9], v[10:11] offset1:1
	v_add_u32_e32 v8, v13, v11
	s_waitcnt lgkmcnt(2)
	v_add_u32_e32 v9, v14, v8
	v_add_u32_e32 v10, v15, v9
	s_waitcnt lgkmcnt(1)
	v_add_u32_e32 v11, v17, v10
	ds_write2_b64 v2, v[8:9], v[10:11] offset0:2 offset1:3
	s_waitcnt lgkmcnt(0)
	s_barrier
	ds_write_b32 v7, v1
	s_and_saveexec_b64 s[36:37], s[2:3]
	s_cbranch_execz .LBB45_24
; %bb.17:                               ;   in Loop: Header=BB45_2 Depth=1
	ds_write_b32 v7, v1 offset:512
	s_and_b64 exec, exec, s[4:5]
	s_cbranch_execz .LBB45_24
; %bb.18:                               ;   in Loop: Header=BB45_2 Depth=1
	ds_write_b32 v7, v1 offset:1024
	s_and_b64 exec, exec, s[6:7]
	;; [unrolled: 4-line block ×6, first 2 shown]
; %bb.23:                               ;   in Loop: Header=BB45_2 Depth=1
	ds_write_b32 v7, v1 offset:3584
.LBB45_24:                              ;   in Loop: Header=BB45_2 Depth=1
	s_or_b64 exec, exec, s[36:37]
	ds_read_u16 v8, v5
	s_waitcnt lgkmcnt(0)
	v_add_u16_e32 v9, 1, v8
	ds_write_b16 v5, v9
	s_waitcnt lgkmcnt(0)
	s_barrier
	ds_read2_b64 v[9:12], v2 offset1:1
	ds_read2_b64 v[13:16], v2 offset0:2 offset1:3
	s_waitcnt lgkmcnt(1)
	v_add_u32_e32 v9, v10, v9
	v_add3_u32 v9, v9, v11, v12
	s_waitcnt lgkmcnt(0)
	v_add3_u32 v9, v9, v13, v14
	v_add3_u32 v9, v9, v15, v16
	s_nop 1
	v_mov_b32_dpp v10, v9 row_shr:1 row_mask:0xf bank_mask:0xf
	v_cndmask_b32_e64 v10, v10, 0, s[22:23]
	v_add_u32_e32 v9, v10, v9
	s_nop 1
	v_mov_b32_dpp v10, v9 row_shr:2 row_mask:0xf bank_mask:0xf
	v_cndmask_b32_e64 v10, 0, v10, s[24:25]
	v_add_u32_e32 v9, v9, v10
	;; [unrolled: 4-line block ×4, first 2 shown]
	s_nop 1
	v_mov_b32_dpp v10, v9 row_bcast:15 row_mask:0xf bank_mask:0xf
	v_cndmask_b32_e64 v10, v10, 0, s[30:31]
	v_add_u32_e32 v9, v9, v10
	s_nop 1
	v_mov_b32_dpp v10, v9 row_bcast:31 row_mask:0xf bank_mask:0xf
	v_cndmask_b32_e64 v10, 0, v10, s[16:17]
	v_add_u32_e32 v9, v9, v10
	s_and_saveexec_b64 s[36:37], s[18:19]
; %bb.25:                               ;   in Loop: Header=BB45_2 Depth=1
	ds_write_b32 v3, v9 offset:4096
; %bb.26:                               ;   in Loop: Header=BB45_2 Depth=1
	s_or_b64 exec, exec, s[36:37]
	s_waitcnt lgkmcnt(0)
	s_barrier
	s_and_saveexec_b64 s[36:37], vcc
	s_cbranch_execz .LBB45_28
; %bb.27:                               ;   in Loop: Header=BB45_2 Depth=1
	ds_read_b32 v10, v7 offset:4096
	s_waitcnt lgkmcnt(0)
	s_nop 0
	v_mov_b32_dpp v11, v10 row_shr:1 row_mask:0xf bank_mask:0xf
	v_cndmask_b32_e64 v11, v11, 0, s[34:35]
	v_add_u32_e32 v10, v11, v10
	ds_write_b32 v7, v10 offset:4096
.LBB45_28:                              ;   in Loop: Header=BB45_2 Depth=1
	s_or_b64 exec, exec, s[36:37]
	v_mov_b32_e32 v10, 0
	s_waitcnt lgkmcnt(0)
	s_barrier
	s_and_saveexec_b64 s[36:37], s[0:1]
	s_cbranch_execz .LBB45_1
; %bb.29:                               ;   in Loop: Header=BB45_2 Depth=1
	ds_read_b32 v10, v3 offset:4092
	s_branch .LBB45_1
.LBB45_30:
	ds_read_u16 v1, v5
	s_lshl_b64 s[0:1], s[40:41], 2
	s_add_u32 s0, s38, s0
	s_addc_u32 s1, s39, s1
	v_lshlrev_b32_e32 v0, 2, v0
	s_waitcnt lgkmcnt(0)
	v_add_u32_sdwa v1, v1, v8 dst_sel:DWORD dst_unused:UNUSED_PAD src0_sel:DWORD src1_sel:WORD_0
	global_store_dword v0, v1, s[0:1]
	s_endpgm
	.section	.rodata,"a",@progbits
	.p2align	6, 0x0
	.amdhsa_kernel _Z11rank_kernelIhLj4ELb0EL18RadixRankAlgorithm0ELj128ELj1ELj10EEvPKT_Pi
		.amdhsa_group_segment_fixed_size 4104
		.amdhsa_private_segment_fixed_size 0
		.amdhsa_kernarg_size 16
		.amdhsa_user_sgpr_count 6
		.amdhsa_user_sgpr_private_segment_buffer 1
		.amdhsa_user_sgpr_dispatch_ptr 0
		.amdhsa_user_sgpr_queue_ptr 0
		.amdhsa_user_sgpr_kernarg_segment_ptr 1
		.amdhsa_user_sgpr_dispatch_id 0
		.amdhsa_user_sgpr_flat_scratch_init 0
		.amdhsa_user_sgpr_private_segment_size 0
		.amdhsa_uses_dynamic_stack 0
		.amdhsa_system_sgpr_private_segment_wavefront_offset 0
		.amdhsa_system_sgpr_workgroup_id_x 1
		.amdhsa_system_sgpr_workgroup_id_y 0
		.amdhsa_system_sgpr_workgroup_id_z 0
		.amdhsa_system_sgpr_workgroup_info 0
		.amdhsa_system_vgpr_workitem_id 0
		.amdhsa_next_free_vgpr 29
		.amdhsa_next_free_sgpr 61
		.amdhsa_reserve_vcc 1
		.amdhsa_reserve_flat_scratch 0
		.amdhsa_float_round_mode_32 0
		.amdhsa_float_round_mode_16_64 0
		.amdhsa_float_denorm_mode_32 3
		.amdhsa_float_denorm_mode_16_64 3
		.amdhsa_dx10_clamp 1
		.amdhsa_ieee_mode 1
		.amdhsa_fp16_overflow 0
		.amdhsa_exception_fp_ieee_invalid_op 0
		.amdhsa_exception_fp_denorm_src 0
		.amdhsa_exception_fp_ieee_div_zero 0
		.amdhsa_exception_fp_ieee_overflow 0
		.amdhsa_exception_fp_ieee_underflow 0
		.amdhsa_exception_fp_ieee_inexact 0
		.amdhsa_exception_int_div_zero 0
	.end_amdhsa_kernel
	.section	.text._Z11rank_kernelIhLj4ELb0EL18RadixRankAlgorithm0ELj128ELj1ELj10EEvPKT_Pi,"axG",@progbits,_Z11rank_kernelIhLj4ELb0EL18RadixRankAlgorithm0ELj128ELj1ELj10EEvPKT_Pi,comdat
.Lfunc_end45:
	.size	_Z11rank_kernelIhLj4ELb0EL18RadixRankAlgorithm0ELj128ELj1ELj10EEvPKT_Pi, .Lfunc_end45-_Z11rank_kernelIhLj4ELb0EL18RadixRankAlgorithm0ELj128ELj1ELj10EEvPKT_Pi
                                        ; -- End function
	.set _Z11rank_kernelIhLj4ELb0EL18RadixRankAlgorithm0ELj128ELj1ELj10EEvPKT_Pi.num_vgpr, 19
	.set _Z11rank_kernelIhLj4ELb0EL18RadixRankAlgorithm0ELj128ELj1ELj10EEvPKT_Pi.num_agpr, 0
	.set _Z11rank_kernelIhLj4ELb0EL18RadixRankAlgorithm0ELj128ELj1ELj10EEvPKT_Pi.numbered_sgpr, 42
	.set _Z11rank_kernelIhLj4ELb0EL18RadixRankAlgorithm0ELj128ELj1ELj10EEvPKT_Pi.num_named_barrier, 0
	.set _Z11rank_kernelIhLj4ELb0EL18RadixRankAlgorithm0ELj128ELj1ELj10EEvPKT_Pi.private_seg_size, 0
	.set _Z11rank_kernelIhLj4ELb0EL18RadixRankAlgorithm0ELj128ELj1ELj10EEvPKT_Pi.uses_vcc, 1
	.set _Z11rank_kernelIhLj4ELb0EL18RadixRankAlgorithm0ELj128ELj1ELj10EEvPKT_Pi.uses_flat_scratch, 0
	.set _Z11rank_kernelIhLj4ELb0EL18RadixRankAlgorithm0ELj128ELj1ELj10EEvPKT_Pi.has_dyn_sized_stack, 0
	.set _Z11rank_kernelIhLj4ELb0EL18RadixRankAlgorithm0ELj128ELj1ELj10EEvPKT_Pi.has_recursion, 0
	.set _Z11rank_kernelIhLj4ELb0EL18RadixRankAlgorithm0ELj128ELj1ELj10EEvPKT_Pi.has_indirect_call, 0
	.section	.AMDGPU.csdata,"",@progbits
; Kernel info:
; codeLenInByte = 1608
; TotalNumSgprs: 46
; NumVgprs: 19
; ScratchSize: 0
; MemoryBound: 0
; FloatMode: 240
; IeeeMode: 1
; LDSByteSize: 4104 bytes/workgroup (compile time only)
; SGPRBlocks: 8
; VGPRBlocks: 7
; NumSGPRsForWavesPerEU: 65
; NumVGPRsForWavesPerEU: 29
; Occupancy: 8
; WaveLimiterHint : 0
; COMPUTE_PGM_RSRC2:SCRATCH_EN: 0
; COMPUTE_PGM_RSRC2:USER_SGPR: 6
; COMPUTE_PGM_RSRC2:TRAP_HANDLER: 0
; COMPUTE_PGM_RSRC2:TGID_X_EN: 1
; COMPUTE_PGM_RSRC2:TGID_Y_EN: 0
; COMPUTE_PGM_RSRC2:TGID_Z_EN: 0
; COMPUTE_PGM_RSRC2:TIDIG_COMP_CNT: 0
	.section	.text._Z11rank_kernelIhLj4ELb0EL18RadixRankAlgorithm1ELj128ELj1ELj10EEvPKT_Pi,"axG",@progbits,_Z11rank_kernelIhLj4ELb0EL18RadixRankAlgorithm1ELj128ELj1ELj10EEvPKT_Pi,comdat
	.protected	_Z11rank_kernelIhLj4ELb0EL18RadixRankAlgorithm1ELj128ELj1ELj10EEvPKT_Pi ; -- Begin function _Z11rank_kernelIhLj4ELb0EL18RadixRankAlgorithm1ELj128ELj1ELj10EEvPKT_Pi
	.globl	_Z11rank_kernelIhLj4ELb0EL18RadixRankAlgorithm1ELj128ELj1ELj10EEvPKT_Pi
	.p2align	8
	.type	_Z11rank_kernelIhLj4ELb0EL18RadixRankAlgorithm1ELj128ELj1ELj10EEvPKT_Pi,@function
_Z11rank_kernelIhLj4ELb0EL18RadixRankAlgorithm1ELj128ELj1ELj10EEvPKT_Pi: ; @_Z11rank_kernelIhLj4ELb0EL18RadixRankAlgorithm1ELj128ELj1ELj10EEvPKT_Pi
; %bb.0:
	s_load_dwordx4 s[36:39], s[4:5], 0x0
	s_lshl_b32 s40, s6, 7
	v_mbcnt_lo_u32_b32 v2, -1, 0
	v_mbcnt_hi_u32_b32 v2, -1, v2
	v_or_b32_e32 v3, 63, v0
	s_waitcnt lgkmcnt(0)
	s_add_u32 s0, s36, s40
	s_addc_u32 s1, s37, 0
	global_load_ubyte v1, v0, s[0:1]
	v_cmp_eq_u32_e64 s[18:19], v0, v3
	v_subrev_co_u32_e64 v3, s[20:21], 1, v2
	v_and_b32_e32 v8, 64, v2
	v_lshrrev_b32_e32 v4, 4, v0
	v_cmp_lt_i32_e64 s[34:35], v3, v8
	v_and_b32_e32 v6, 15, v2
	v_and_b32_e32 v7, 16, v2
	v_cmp_lt_u32_e64 s[16:17], 31, v2
	v_and_b32_e32 v11, 4, v4
	v_and_b32_e32 v4, 1, v2
	v_cndmask_b32_e64 v2, v3, v2, s[34:35]
	s_movk_i32 s36, 0x380
	v_cmp_eq_u32_e64 s[34:35], 0, v4
	v_lshlrev_b32_e32 v12, 2, v2
	s_movk_i32 s4, 0x300
	s_movk_i32 s6, 0x280
	;; [unrolled: 1-line block ×6, first 2 shown]
	v_lshlrev_b32_e32 v10, 5, v0
	v_mul_i32_i24_e32 v5, 0xffffffe4, v0
	s_mov_b32 s41, 0
	v_mov_b32_e32 v9, 0
	s_mov_b32 s33, 10
	v_cmp_gt_u32_e32 vcc, 2, v0
	v_cmp_lt_u32_e64 s[0:1], 63, v0
	v_cmp_gt_u32_e64 s[2:3], s36, v0
	v_cmp_gt_u32_e64 s[4:5], s4, v0
	;; [unrolled: 1-line block ×7, first 2 shown]
	v_cmp_eq_u32_e64 s[22:23], 0, v6
	v_cmp_lt_u32_e64 s[24:25], 1, v6
	v_cmp_lt_u32_e64 s[26:27], 3, v6
	;; [unrolled: 1-line block ×3, first 2 shown]
	v_cmp_eq_u32_e64 s[30:31], 0, v7
	v_add_u32_e32 v15, v10, v5
	s_waitcnt vmcnt(0)
	v_lshlrev_b32_e32 v2, 3, v1
	v_lshrrev_b32_e32 v3, 6, v1
	v_lshlrev_b32_e32 v4, 7, v1
	v_lshrrev_b32_e32 v1, 2, v1
	v_and_or_b32 v2, v2, s36, v0
	v_and_b32_e32 v3, 2, v3
	v_and_or_b32 v4, v4, s36, v0
	v_and_b32_e32 v1, 2, v1
	v_lshl_or_b32 v13, v2, 2, v3
	v_lshl_or_b32 v14, v4, 2, v1
	s_branch .LBB46_2
.LBB46_1:                               ;   in Loop: Header=BB46_2 Depth=1
	s_or_b64 exec, exec, s[36:37]
	s_waitcnt lgkmcnt(0)
	v_add_u32_e32 v4, v17, v4
	ds_bpermute_b32 v4, v12, v4
	ds_read_b32 v18, v9 offset:4100
	s_add_i32 s33, s33, -1
	s_cmp_eq_u32 s33, 0
	s_waitcnt lgkmcnt(1)
	v_cndmask_b32_e64 v4, v4, v17, s[20:21]
	s_waitcnt lgkmcnt(0)
	v_lshl_add_u32 v4, v18, 16, v4
	v_add_u32_e32 v5, v4, v5
	v_add_u32_e32 v6, v5, v6
	;; [unrolled: 1-line block ×7, first 2 shown]
	ds_write2_b64 v10, v[4:5], v[6:7] offset1:1
	ds_write2_b64 v10, v[17:18], v[1:2] offset0:2 offset1:3
	s_waitcnt lgkmcnt(0)
	s_barrier
	s_cbranch_scc1 .LBB46_30
.LBB46_2:                               ; =>This Inner Loop Header: Depth=1
	ds_write_b32 v15, v9
	s_and_saveexec_b64 s[36:37], s[2:3]
	s_cbranch_execz .LBB46_10
; %bb.3:                                ;   in Loop: Header=BB46_2 Depth=1
	ds_write_b32 v15, v9 offset:512
	s_and_b64 exec, exec, s[4:5]
	s_cbranch_execz .LBB46_10
; %bb.4:                                ;   in Loop: Header=BB46_2 Depth=1
	ds_write_b32 v15, v9 offset:1024
	s_and_b64 exec, exec, s[6:7]
	;; [unrolled: 4-line block ×6, first 2 shown]
; %bb.9:                                ;   in Loop: Header=BB46_2 Depth=1
	ds_write_b32 v15, v9 offset:3584
.LBB46_10:                              ;   in Loop: Header=BB46_2 Depth=1
	s_or_b64 exec, exec, s[36:37]
	ds_read_u16 v1, v14
	s_waitcnt lgkmcnt(0)
	v_add_u16_e32 v1, 1, v1
	ds_write_b16 v14, v1
	s_waitcnt lgkmcnt(0)
	s_barrier
	ds_read2_b64 v[5:8], v10 offset1:1
	ds_read2_b64 v[1:4], v10 offset0:2 offset1:3
	s_waitcnt lgkmcnt(1)
	v_add_u32_e32 v16, v6, v5
	v_add3_u32 v16, v16, v7, v8
	s_waitcnt lgkmcnt(0)
	v_add3_u32 v16, v16, v1, v2
	v_add3_u32 v4, v16, v3, v4
	s_nop 1
	v_mov_b32_dpp v16, v4 row_shr:1 row_mask:0xf bank_mask:0xf
	v_cndmask_b32_e64 v16, v16, 0, s[22:23]
	v_add_u32_e32 v4, v16, v4
	s_nop 1
	v_mov_b32_dpp v16, v4 row_shr:2 row_mask:0xf bank_mask:0xf
	v_cndmask_b32_e64 v16, 0, v16, s[24:25]
	v_add_u32_e32 v4, v4, v16
	;; [unrolled: 4-line block ×4, first 2 shown]
	s_nop 1
	v_mov_b32_dpp v16, v4 row_bcast:15 row_mask:0xf bank_mask:0xf
	v_cndmask_b32_e64 v16, v16, 0, s[30:31]
	v_add_u32_e32 v4, v4, v16
	s_nop 1
	v_mov_b32_dpp v16, v4 row_bcast:31 row_mask:0xf bank_mask:0xf
	v_cndmask_b32_e64 v16, 0, v16, s[16:17]
	v_add_u32_e32 v4, v4, v16
	s_and_saveexec_b64 s[36:37], s[18:19]
; %bb.11:                               ;   in Loop: Header=BB46_2 Depth=1
	ds_write_b32 v11, v4 offset:4096
; %bb.12:                               ;   in Loop: Header=BB46_2 Depth=1
	s_or_b64 exec, exec, s[36:37]
	s_waitcnt lgkmcnt(0)
	s_barrier
	s_and_saveexec_b64 s[36:37], vcc
	s_cbranch_execz .LBB46_14
; %bb.13:                               ;   in Loop: Header=BB46_2 Depth=1
	ds_read_b32 v16, v15 offset:4096
	s_waitcnt lgkmcnt(0)
	s_nop 0
	v_mov_b32_dpp v17, v16 row_shr:1 row_mask:0xf bank_mask:0xf
	v_cndmask_b32_e64 v17, v17, 0, s[34:35]
	v_add_u32_e32 v16, v17, v16
	ds_write_b32 v15, v16 offset:4096
.LBB46_14:                              ;   in Loop: Header=BB46_2 Depth=1
	s_or_b64 exec, exec, s[36:37]
	v_mov_b32_e32 v16, 0
	s_waitcnt lgkmcnt(0)
	s_barrier
	s_and_saveexec_b64 s[36:37], s[0:1]
; %bb.15:                               ;   in Loop: Header=BB46_2 Depth=1
	ds_read_b32 v16, v11 offset:4092
; %bb.16:                               ;   in Loop: Header=BB46_2 Depth=1
	s_or_b64 exec, exec, s[36:37]
	s_waitcnt lgkmcnt(0)
	v_add_u32_e32 v4, v16, v4
	ds_bpermute_b32 v4, v12, v4
	ds_read_b32 v17, v9 offset:4100
	s_waitcnt lgkmcnt(1)
	v_cndmask_b32_e64 v4, v4, v16, s[20:21]
	s_waitcnt lgkmcnt(0)
	v_lshl_add_u32 v4, v17, 16, v4
	v_add_u32_e32 v5, v4, v5
	v_add_u32_e32 v6, v5, v6
	;; [unrolled: 1-line block ×7, first 2 shown]
	ds_write2_b64 v10, v[4:5], v[6:7] offset1:1
	ds_write2_b64 v10, v[16:17], v[1:2] offset0:2 offset1:3
	s_waitcnt lgkmcnt(0)
	s_barrier
	ds_write_b32 v15, v9
	s_and_saveexec_b64 s[36:37], s[2:3]
	s_cbranch_execz .LBB46_24
; %bb.17:                               ;   in Loop: Header=BB46_2 Depth=1
	ds_write_b32 v15, v9 offset:512
	s_and_b64 exec, exec, s[4:5]
	s_cbranch_execz .LBB46_24
; %bb.18:                               ;   in Loop: Header=BB46_2 Depth=1
	ds_write_b32 v15, v9 offset:1024
	s_and_b64 exec, exec, s[6:7]
	;; [unrolled: 4-line block ×6, first 2 shown]
; %bb.23:                               ;   in Loop: Header=BB46_2 Depth=1
	ds_write_b32 v15, v9 offset:3584
.LBB46_24:                              ;   in Loop: Header=BB46_2 Depth=1
	s_or_b64 exec, exec, s[36:37]
	ds_read_u16 v16, v13
	s_waitcnt lgkmcnt(0)
	v_add_u16_e32 v1, 1, v16
	ds_write_b16 v13, v1
	s_waitcnt lgkmcnt(0)
	s_barrier
	ds_read2_b64 v[5:8], v10 offset1:1
	ds_read2_b64 v[1:4], v10 offset0:2 offset1:3
	s_waitcnt lgkmcnt(1)
	v_add_u32_e32 v17, v6, v5
	v_add3_u32 v17, v17, v7, v8
	s_waitcnt lgkmcnt(0)
	v_add3_u32 v17, v17, v1, v2
	v_add3_u32 v4, v17, v3, v4
	s_nop 1
	v_mov_b32_dpp v17, v4 row_shr:1 row_mask:0xf bank_mask:0xf
	v_cndmask_b32_e64 v17, v17, 0, s[22:23]
	v_add_u32_e32 v4, v17, v4
	s_nop 1
	v_mov_b32_dpp v17, v4 row_shr:2 row_mask:0xf bank_mask:0xf
	v_cndmask_b32_e64 v17, 0, v17, s[24:25]
	v_add_u32_e32 v4, v4, v17
	;; [unrolled: 4-line block ×4, first 2 shown]
	s_nop 1
	v_mov_b32_dpp v17, v4 row_bcast:15 row_mask:0xf bank_mask:0xf
	v_cndmask_b32_e64 v17, v17, 0, s[30:31]
	v_add_u32_e32 v4, v4, v17
	s_nop 1
	v_mov_b32_dpp v17, v4 row_bcast:31 row_mask:0xf bank_mask:0xf
	v_cndmask_b32_e64 v17, 0, v17, s[16:17]
	v_add_u32_e32 v4, v4, v17
	s_and_saveexec_b64 s[36:37], s[18:19]
; %bb.25:                               ;   in Loop: Header=BB46_2 Depth=1
	ds_write_b32 v11, v4 offset:4096
; %bb.26:                               ;   in Loop: Header=BB46_2 Depth=1
	s_or_b64 exec, exec, s[36:37]
	s_waitcnt lgkmcnt(0)
	s_barrier
	s_and_saveexec_b64 s[36:37], vcc
	s_cbranch_execz .LBB46_28
; %bb.27:                               ;   in Loop: Header=BB46_2 Depth=1
	ds_read_b32 v17, v15 offset:4096
	s_waitcnt lgkmcnt(0)
	s_nop 0
	v_mov_b32_dpp v18, v17 row_shr:1 row_mask:0xf bank_mask:0xf
	v_cndmask_b32_e64 v18, v18, 0, s[34:35]
	v_add_u32_e32 v17, v18, v17
	ds_write_b32 v15, v17 offset:4096
.LBB46_28:                              ;   in Loop: Header=BB46_2 Depth=1
	s_or_b64 exec, exec, s[36:37]
	v_mov_b32_e32 v17, 0
	s_waitcnt lgkmcnt(0)
	s_barrier
	s_and_saveexec_b64 s[36:37], s[0:1]
	s_cbranch_execz .LBB46_1
; %bb.29:                               ;   in Loop: Header=BB46_2 Depth=1
	ds_read_b32 v17, v11 offset:4092
	s_branch .LBB46_1
.LBB46_30:
	ds_read_u16 v1, v13
	s_lshl_b64 s[0:1], s[40:41], 2
	s_add_u32 s0, s38, s0
	s_addc_u32 s1, s39, s1
	v_lshlrev_b32_e32 v0, 2, v0
	s_waitcnt lgkmcnt(0)
	v_add_u32_sdwa v1, v1, v16 dst_sel:DWORD dst_unused:UNUSED_PAD src0_sel:DWORD src1_sel:WORD_0
	global_store_dword v0, v1, s[0:1]
	s_endpgm
	.section	.rodata,"a",@progbits
	.p2align	6, 0x0
	.amdhsa_kernel _Z11rank_kernelIhLj4ELb0EL18RadixRankAlgorithm1ELj128ELj1ELj10EEvPKT_Pi
		.amdhsa_group_segment_fixed_size 4104
		.amdhsa_private_segment_fixed_size 0
		.amdhsa_kernarg_size 16
		.amdhsa_user_sgpr_count 6
		.amdhsa_user_sgpr_private_segment_buffer 1
		.amdhsa_user_sgpr_dispatch_ptr 0
		.amdhsa_user_sgpr_queue_ptr 0
		.amdhsa_user_sgpr_kernarg_segment_ptr 1
		.amdhsa_user_sgpr_dispatch_id 0
		.amdhsa_user_sgpr_flat_scratch_init 0
		.amdhsa_user_sgpr_private_segment_size 0
		.amdhsa_uses_dynamic_stack 0
		.amdhsa_system_sgpr_private_segment_wavefront_offset 0
		.amdhsa_system_sgpr_workgroup_id_x 1
		.amdhsa_system_sgpr_workgroup_id_y 0
		.amdhsa_system_sgpr_workgroup_id_z 0
		.amdhsa_system_sgpr_workgroup_info 0
		.amdhsa_system_vgpr_workitem_id 0
		.amdhsa_next_free_vgpr 29
		.amdhsa_next_free_sgpr 61
		.amdhsa_reserve_vcc 1
		.amdhsa_reserve_flat_scratch 0
		.amdhsa_float_round_mode_32 0
		.amdhsa_float_round_mode_16_64 0
		.amdhsa_float_denorm_mode_32 3
		.amdhsa_float_denorm_mode_16_64 3
		.amdhsa_dx10_clamp 1
		.amdhsa_ieee_mode 1
		.amdhsa_fp16_overflow 0
		.amdhsa_exception_fp_ieee_invalid_op 0
		.amdhsa_exception_fp_denorm_src 0
		.amdhsa_exception_fp_ieee_div_zero 0
		.amdhsa_exception_fp_ieee_overflow 0
		.amdhsa_exception_fp_ieee_underflow 0
		.amdhsa_exception_fp_ieee_inexact 0
		.amdhsa_exception_int_div_zero 0
	.end_amdhsa_kernel
	.section	.text._Z11rank_kernelIhLj4ELb0EL18RadixRankAlgorithm1ELj128ELj1ELj10EEvPKT_Pi,"axG",@progbits,_Z11rank_kernelIhLj4ELb0EL18RadixRankAlgorithm1ELj128ELj1ELj10EEvPKT_Pi,comdat
.Lfunc_end46:
	.size	_Z11rank_kernelIhLj4ELb0EL18RadixRankAlgorithm1ELj128ELj1ELj10EEvPKT_Pi, .Lfunc_end46-_Z11rank_kernelIhLj4ELb0EL18RadixRankAlgorithm1ELj128ELj1ELj10EEvPKT_Pi
                                        ; -- End function
	.set _Z11rank_kernelIhLj4ELb0EL18RadixRankAlgorithm1ELj128ELj1ELj10EEvPKT_Pi.num_vgpr, 19
	.set _Z11rank_kernelIhLj4ELb0EL18RadixRankAlgorithm1ELj128ELj1ELj10EEvPKT_Pi.num_agpr, 0
	.set _Z11rank_kernelIhLj4ELb0EL18RadixRankAlgorithm1ELj128ELj1ELj10EEvPKT_Pi.numbered_sgpr, 42
	.set _Z11rank_kernelIhLj4ELb0EL18RadixRankAlgorithm1ELj128ELj1ELj10EEvPKT_Pi.num_named_barrier, 0
	.set _Z11rank_kernelIhLj4ELb0EL18RadixRankAlgorithm1ELj128ELj1ELj10EEvPKT_Pi.private_seg_size, 0
	.set _Z11rank_kernelIhLj4ELb0EL18RadixRankAlgorithm1ELj128ELj1ELj10EEvPKT_Pi.uses_vcc, 1
	.set _Z11rank_kernelIhLj4ELb0EL18RadixRankAlgorithm1ELj128ELj1ELj10EEvPKT_Pi.uses_flat_scratch, 0
	.set _Z11rank_kernelIhLj4ELb0EL18RadixRankAlgorithm1ELj128ELj1ELj10EEvPKT_Pi.has_dyn_sized_stack, 0
	.set _Z11rank_kernelIhLj4ELb0EL18RadixRankAlgorithm1ELj128ELj1ELj10EEvPKT_Pi.has_recursion, 0
	.set _Z11rank_kernelIhLj4ELb0EL18RadixRankAlgorithm1ELj128ELj1ELj10EEvPKT_Pi.has_indirect_call, 0
	.section	.AMDGPU.csdata,"",@progbits
; Kernel info:
; codeLenInByte = 1536
; TotalNumSgprs: 46
; NumVgprs: 19
; ScratchSize: 0
; MemoryBound: 0
; FloatMode: 240
; IeeeMode: 1
; LDSByteSize: 4104 bytes/workgroup (compile time only)
; SGPRBlocks: 8
; VGPRBlocks: 7
; NumSGPRsForWavesPerEU: 65
; NumVGPRsForWavesPerEU: 29
; Occupancy: 8
; WaveLimiterHint : 0
; COMPUTE_PGM_RSRC2:SCRATCH_EN: 0
; COMPUTE_PGM_RSRC2:USER_SGPR: 6
; COMPUTE_PGM_RSRC2:TRAP_HANDLER: 0
; COMPUTE_PGM_RSRC2:TGID_X_EN: 1
; COMPUTE_PGM_RSRC2:TGID_Y_EN: 0
; COMPUTE_PGM_RSRC2:TGID_Z_EN: 0
; COMPUTE_PGM_RSRC2:TIDIG_COMP_CNT: 0
	.section	.text._Z11rank_kernelIhLj4ELb0EL18RadixRankAlgorithm2ELj128ELj1ELj10EEvPKT_Pi,"axG",@progbits,_Z11rank_kernelIhLj4ELb0EL18RadixRankAlgorithm2ELj128ELj1ELj10EEvPKT_Pi,comdat
	.protected	_Z11rank_kernelIhLj4ELb0EL18RadixRankAlgorithm2ELj128ELj1ELj10EEvPKT_Pi ; -- Begin function _Z11rank_kernelIhLj4ELb0EL18RadixRankAlgorithm2ELj128ELj1ELj10EEvPKT_Pi
	.globl	_Z11rank_kernelIhLj4ELb0EL18RadixRankAlgorithm2ELj128ELj1ELj10EEvPKT_Pi
	.p2align	8
	.type	_Z11rank_kernelIhLj4ELb0EL18RadixRankAlgorithm2ELj128ELj1ELj10EEvPKT_Pi,@function
_Z11rank_kernelIhLj4ELb0EL18RadixRankAlgorithm2ELj128ELj1ELj10EEvPKT_Pi: ; @_Z11rank_kernelIhLj4ELb0EL18RadixRankAlgorithm2ELj128ELj1ELj10EEvPKT_Pi
; %bb.0:
	s_load_dwordx4 s[40:43], s[4:5], 0x0
	s_load_dword s20, s[4:5], 0x1c
	s_lshl_b32 s44, s6, 7
	v_mbcnt_lo_u32_b32 v4, -1, 0
	v_mbcnt_hi_u32_b32 v4, -1, v4
	s_waitcnt lgkmcnt(0)
	s_add_u32 s0, s40, s44
	s_addc_u32 s1, s41, 0
	global_load_ubyte v14, v0, s[0:1]
	s_lshr_b32 s21, s20, 16
	v_subrev_co_u32_e64 v10, s[6:7], 1, v4
	v_and_b32_e32 v11, 64, v4
	s_and_b32 s20, s20, 0xffff
	v_mad_u32_u24 v1, v2, s21, v1
	v_or_b32_e32 v6, 63, v0
	v_lshrrev_b32_e32 v7, 4, v0
	v_cmp_lt_i32_e64 s[18:19], v10, v11
	v_mad_u32_u24 v1, v1, s20, v0
	v_and_b32_e32 v8, 15, v4
	v_and_b32_e32 v9, 16, v4
	v_cmp_lt_u32_e64 s[2:3], 31, v4
	v_cmp_eq_u32_e64 s[4:5], v0, v6
	v_and_b32_e32 v6, 4, v7
	v_and_b32_e32 v7, 1, v4
	v_cndmask_b32_e64 v4, v10, v4, s[18:19]
	v_lshrrev_b32_e32 v1, 4, v1
	v_mov_b32_e32 v3, 0
	v_cmp_eq_u32_e64 s[8:9], 0, v8
	v_cmp_lt_u32_e64 s[10:11], 1, v8
	v_cmp_lt_u32_e64 s[12:13], 3, v8
	v_cmp_lt_u32_e64 s[14:15], 7, v8
	v_cmp_eq_u32_e64 s[16:17], 0, v9
	v_lshlrev_b32_e32 v8, 2, v4
	v_and_b32_e32 v9, 0xffffffc, v1
	s_mov_b32 s45, 0
	s_mov_b32 s33, 10
	v_lshlrev_b32_e32 v5, 2, v0
	v_cmp_gt_u32_e32 vcc, 2, v0
	v_cmp_lt_u32_e64 s[0:1], 63, v0
	v_cmp_eq_u32_e64 s[18:19], 0, v7
	v_add_u32_e32 v7, -4, v6
	s_waitcnt vmcnt(0)
	v_and_b32_e32 v13, 1, v14
	v_add_co_u32_e64 v11, s[20:21], -1, v13
	v_lshrrev_b32_e32 v1, 4, v14
	v_lshlrev_b32_e32 v4, 30, v14
	v_addc_co_u32_e64 v12, s[20:21], 0, -1, s[20:21]
	v_cmp_eq_u32_e64 s[20:21], 1, v13
	v_cmp_gt_i64_e64 s[22:23], 0, v[3:4]
	v_not_b32_e32 v13, v4
	v_lshlrev_b32_e32 v4, 29, v14
	v_and_b32_e32 v16, 1, v1
	v_and_b32_e32 v2, 15, v14
	v_cmp_gt_i64_e64 s[24:25], 0, v[3:4]
	v_not_b32_e32 v17, v4
	v_lshlrev_b32_e32 v4, 28, v14
	v_add_co_u32_e64 v14, s[26:27], -1, v16
	v_mul_u32_u24_e32 v2, 12, v2
	v_addc_co_u32_e64 v15, s[26:27], 0, -1, s[26:27]
	v_cmp_eq_u32_e64 s[26:27], 1, v16
	v_add_u32_e32 v16, v9, v2
	v_cmp_gt_i64_e64 s[28:29], 0, v[3:4]
	v_not_b32_e32 v2, v4
	v_lshlrev_b32_e32 v4, 30, v1
	v_ashrrev_i32_e32 v19, 31, v2
	v_cmp_gt_i64_e64 s[30:31], 0, v[3:4]
	v_not_b32_e32 v2, v4
	v_lshlrev_b32_e32 v4, 29, v1
	v_ashrrev_i32_e32 v21, 31, v2
	v_cmp_gt_i64_e64 s[34:35], 0, v[3:4]
	v_not_b32_e32 v2, v4
	v_lshlrev_b32_e32 v4, 28, v1
	v_mul_u32_u24_e32 v10, 12, v1
	v_not_b32_e32 v1, v4
	v_ashrrev_i32_e32 v13, 31, v13
	v_ashrrev_i32_e32 v17, 31, v17
	;; [unrolled: 1-line block ×3, first 2 shown]
	v_cmp_gt_i64_e64 s[36:37], 0, v[3:4]
	v_ashrrev_i32_e32 v24, 31, v1
	v_mov_b32_e32 v18, v13
	v_mov_b32_e32 v20, v17
	;; [unrolled: 1-line block ×6, first 2 shown]
	s_branch .LBB47_2
.LBB47_1:                               ;   in Loop: Header=BB47_2 Depth=1
	s_or_b64 exec, exec, s[38:39]
	s_waitcnt lgkmcnt(0)
	v_add_u32_e32 v1, v2, v1
	ds_bpermute_b32 v1, v8, v1
	s_add_i32 s33, s33, -1
	s_cmp_eq_u32 s33, 0
	s_waitcnt lgkmcnt(0)
	v_cndmask_b32_e64 v1, v1, v2, s[6:7]
	ds_write_b32 v5, v1 offset:8
	s_waitcnt lgkmcnt(0)
	s_barrier
	s_cbranch_scc1 .LBB47_18
.LBB47_2:                               ; =>This Inner Loop Header: Depth=1
	v_cndmask_b32_e64 v1, 0, 1, s[20:21]
	v_cmp_ne_u32_e64 s[38:39], 0, v1
	v_cndmask_b32_e64 v27, 0, 1, s[22:23]
	v_xor_b32_e32 v1, s39, v12
	v_xor_b32_e32 v2, s38, v11
	v_cmp_ne_u32_e64 s[38:39], 0, v27
	v_and_b32_e32 v1, exec_hi, v1
	v_xor_b32_e32 v27, s39, v18
	v_and_b32_e32 v1, v1, v27
	v_cndmask_b32_e64 v27, 0, 1, s[24:25]
	v_and_b32_e32 v2, exec_lo, v2
	v_xor_b32_e32 v28, s38, v13
	v_cmp_ne_u32_e64 s[38:39], 0, v27
	v_and_b32_e32 v2, v2, v28
	v_xor_b32_e32 v27, s39, v20
	v_xor_b32_e32 v28, s38, v17
	v_and_b32_e32 v1, v1, v27
	v_and_b32_e32 v27, v2, v28
	v_cndmask_b32_e64 v2, 0, 1, s[28:29]
	v_cmp_ne_u32_e64 s[38:39], 0, v2
	v_xor_b32_e32 v2, s39, v22
	v_xor_b32_e32 v28, s38, v19
	v_and_b32_e32 v2, v1, v2
	v_and_b32_e32 v1, v27, v28
	v_mbcnt_lo_u32_b32 v27, v1, 0
	v_mbcnt_hi_u32_b32 v27, v2, v27
	v_cmp_ne_u64_e64 s[38:39], 0, v[1:2]
	v_cmp_eq_u32_e64 s[40:41], 0, v27
	s_and_b64 s[40:41], s[38:39], s[40:41]
	ds_write_b32 v5, v3 offset:8
	s_waitcnt lgkmcnt(0)
	s_barrier
	; wave barrier
	s_and_saveexec_b64 s[38:39], s[40:41]
; %bb.3:                                ;   in Loop: Header=BB47_2 Depth=1
	v_bcnt_u32_b32 v1, v1, 0
	v_bcnt_u32_b32 v1, v2, v1
	ds_write_b32 v16, v1 offset:8
; %bb.4:                                ;   in Loop: Header=BB47_2 Depth=1
	s_or_b64 exec, exec, s[38:39]
	; wave barrier
	s_waitcnt lgkmcnt(0)
	s_barrier
	ds_read_b32 v1, v5 offset:8
	s_waitcnt lgkmcnt(0)
	s_nop 0
	v_mov_b32_dpp v2, v1 row_shr:1 row_mask:0xf bank_mask:0xf
	v_cndmask_b32_e64 v2, v2, 0, s[8:9]
	v_add_u32_e32 v1, v2, v1
	s_nop 1
	v_mov_b32_dpp v2, v1 row_shr:2 row_mask:0xf bank_mask:0xf
	v_cndmask_b32_e64 v2, 0, v2, s[10:11]
	v_add_u32_e32 v1, v1, v2
	;; [unrolled: 4-line block ×4, first 2 shown]
	s_nop 1
	v_mov_b32_dpp v2, v1 row_bcast:15 row_mask:0xf bank_mask:0xf
	v_cndmask_b32_e64 v2, v2, 0, s[16:17]
	v_add_u32_e32 v1, v1, v2
	s_nop 1
	v_mov_b32_dpp v2, v1 row_bcast:31 row_mask:0xf bank_mask:0xf
	v_cndmask_b32_e64 v2, 0, v2, s[2:3]
	v_add_u32_e32 v1, v1, v2
	s_and_saveexec_b64 s[38:39], s[4:5]
; %bb.5:                                ;   in Loop: Header=BB47_2 Depth=1
	ds_write_b32 v6, v1
; %bb.6:                                ;   in Loop: Header=BB47_2 Depth=1
	s_or_b64 exec, exec, s[38:39]
	s_waitcnt lgkmcnt(0)
	s_barrier
	s_and_saveexec_b64 s[38:39], vcc
	s_cbranch_execz .LBB47_8
; %bb.7:                                ;   in Loop: Header=BB47_2 Depth=1
	ds_read_b32 v2, v5
	s_waitcnt lgkmcnt(0)
	s_nop 0
	v_mov_b32_dpp v27, v2 row_shr:1 row_mask:0xf bank_mask:0xf
	v_cndmask_b32_e64 v27, v27, 0, s[18:19]
	v_add_u32_e32 v2, v27, v2
	ds_write_b32 v5, v2
.LBB47_8:                               ;   in Loop: Header=BB47_2 Depth=1
	s_or_b64 exec, exec, s[38:39]
	v_mov_b32_e32 v2, 0
	s_waitcnt lgkmcnt(0)
	s_barrier
	s_and_saveexec_b64 s[38:39], s[0:1]
; %bb.9:                                ;   in Loop: Header=BB47_2 Depth=1
	ds_read_b32 v2, v7
; %bb.10:                               ;   in Loop: Header=BB47_2 Depth=1
	s_or_b64 exec, exec, s[38:39]
	s_waitcnt lgkmcnt(0)
	v_add_u32_e32 v1, v2, v1
	ds_bpermute_b32 v1, v8, v1
	v_cndmask_b32_e64 v27, 0, 1, s[30:31]
	s_waitcnt lgkmcnt(0)
	v_cndmask_b32_e64 v1, v1, v2, s[6:7]
	ds_write_b32 v5, v1 offset:8
	v_cndmask_b32_e64 v1, 0, 1, s[26:27]
	v_cmp_ne_u32_e64 s[38:39], 0, v1
	v_xor_b32_e32 v1, s39, v15
	v_xor_b32_e32 v2, s38, v14
	v_cmp_ne_u32_e64 s[38:39], 0, v27
	v_and_b32_e32 v1, exec_hi, v1
	v_xor_b32_e32 v27, s39, v4
	v_and_b32_e32 v1, v1, v27
	v_cndmask_b32_e64 v27, 0, 1, s[34:35]
	v_and_b32_e32 v2, exec_lo, v2
	v_xor_b32_e32 v28, s38, v21
	v_cmp_ne_u32_e64 s[38:39], 0, v27
	v_and_b32_e32 v2, v2, v28
	v_xor_b32_e32 v27, s39, v25
	v_xor_b32_e32 v28, s38, v23
	v_and_b32_e32 v1, v1, v27
	v_and_b32_e32 v27, v2, v28
	v_cndmask_b32_e64 v2, 0, 1, s[36:37]
	v_cmp_ne_u32_e64 s[38:39], 0, v2
	v_xor_b32_e32 v2, s39, v26
	v_xor_b32_e32 v28, s38, v24
	v_and_b32_e32 v2, v1, v2
	v_and_b32_e32 v1, v27, v28
	v_mbcnt_lo_u32_b32 v27, v1, 0
	v_mbcnt_hi_u32_b32 v27, v2, v27
	v_cmp_ne_u64_e64 s[38:39], 0, v[1:2]
	v_cmp_eq_u32_e64 s[40:41], 0, v27
	s_and_b64 s[40:41], s[38:39], s[40:41]
	s_waitcnt lgkmcnt(0)
	s_barrier
	ds_write_b32 v5, v3 offset:8
	s_waitcnt lgkmcnt(0)
	s_barrier
	; wave barrier
	s_and_saveexec_b64 s[38:39], s[40:41]
; %bb.11:                               ;   in Loop: Header=BB47_2 Depth=1
	v_bcnt_u32_b32 v1, v1, 0
	v_bcnt_u32_b32 v1, v2, v1
	v_add_u32_e32 v2, v9, v10
	ds_write_b32 v2, v1 offset:8
; %bb.12:                               ;   in Loop: Header=BB47_2 Depth=1
	s_or_b64 exec, exec, s[38:39]
	; wave barrier
	s_waitcnt lgkmcnt(0)
	s_barrier
	ds_read_b32 v1, v5 offset:8
	s_waitcnt lgkmcnt(0)
	s_nop 0
	v_mov_b32_dpp v2, v1 row_shr:1 row_mask:0xf bank_mask:0xf
	v_cndmask_b32_e64 v2, v2, 0, s[8:9]
	v_add_u32_e32 v1, v2, v1
	s_nop 1
	v_mov_b32_dpp v2, v1 row_shr:2 row_mask:0xf bank_mask:0xf
	v_cndmask_b32_e64 v2, 0, v2, s[10:11]
	v_add_u32_e32 v1, v1, v2
	;; [unrolled: 4-line block ×4, first 2 shown]
	s_nop 1
	v_mov_b32_dpp v2, v1 row_bcast:15 row_mask:0xf bank_mask:0xf
	v_cndmask_b32_e64 v2, v2, 0, s[16:17]
	v_add_u32_e32 v1, v1, v2
	s_nop 1
	v_mov_b32_dpp v2, v1 row_bcast:31 row_mask:0xf bank_mask:0xf
	v_cndmask_b32_e64 v2, 0, v2, s[2:3]
	v_add_u32_e32 v1, v1, v2
	s_and_saveexec_b64 s[38:39], s[4:5]
; %bb.13:                               ;   in Loop: Header=BB47_2 Depth=1
	ds_write_b32 v6, v1
; %bb.14:                               ;   in Loop: Header=BB47_2 Depth=1
	s_or_b64 exec, exec, s[38:39]
	s_waitcnt lgkmcnt(0)
	s_barrier
	s_and_saveexec_b64 s[38:39], vcc
	s_cbranch_execz .LBB47_16
; %bb.15:                               ;   in Loop: Header=BB47_2 Depth=1
	ds_read_b32 v2, v5
	s_waitcnt lgkmcnt(0)
	s_nop 0
	v_mov_b32_dpp v28, v2 row_shr:1 row_mask:0xf bank_mask:0xf
	v_cndmask_b32_e64 v28, v28, 0, s[18:19]
	v_add_u32_e32 v2, v28, v2
	ds_write_b32 v5, v2
.LBB47_16:                              ;   in Loop: Header=BB47_2 Depth=1
	s_or_b64 exec, exec, s[38:39]
	v_mov_b32_e32 v2, 0
	s_waitcnt lgkmcnt(0)
	s_barrier
	s_and_saveexec_b64 s[38:39], s[0:1]
	s_cbranch_execz .LBB47_1
; %bb.17:                               ;   in Loop: Header=BB47_2 Depth=1
	ds_read_b32 v2, v7
	s_branch .LBB47_1
.LBB47_18:
	v_add_u32_e32 v1, v9, v10
	ds_read_b32 v1, v1 offset:8
	s_lshl_b64 s[0:1], s[44:45], 2
	s_add_u32 s0, s42, s0
	s_addc_u32 s1, s43, s1
	v_lshlrev_b32_e32 v0, 2, v0
	s_waitcnt lgkmcnt(0)
	v_add_u32_e32 v1, v1, v27
	global_store_dword v0, v1, s[0:1]
	s_endpgm
	.section	.rodata,"a",@progbits
	.p2align	6, 0x0
	.amdhsa_kernel _Z11rank_kernelIhLj4ELb0EL18RadixRankAlgorithm2ELj128ELj1ELj10EEvPKT_Pi
		.amdhsa_group_segment_fixed_size 520
		.amdhsa_private_segment_fixed_size 0
		.amdhsa_kernarg_size 272
		.amdhsa_user_sgpr_count 6
		.amdhsa_user_sgpr_private_segment_buffer 1
		.amdhsa_user_sgpr_dispatch_ptr 0
		.amdhsa_user_sgpr_queue_ptr 0
		.amdhsa_user_sgpr_kernarg_segment_ptr 1
		.amdhsa_user_sgpr_dispatch_id 0
		.amdhsa_user_sgpr_flat_scratch_init 0
		.amdhsa_user_sgpr_private_segment_size 0
		.amdhsa_uses_dynamic_stack 0
		.amdhsa_system_sgpr_private_segment_wavefront_offset 0
		.amdhsa_system_sgpr_workgroup_id_x 1
		.amdhsa_system_sgpr_workgroup_id_y 0
		.amdhsa_system_sgpr_workgroup_id_z 0
		.amdhsa_system_sgpr_workgroup_info 0
		.amdhsa_system_vgpr_workitem_id 2
		.amdhsa_next_free_vgpr 29
		.amdhsa_next_free_sgpr 46
		.amdhsa_reserve_vcc 1
		.amdhsa_reserve_flat_scratch 0
		.amdhsa_float_round_mode_32 0
		.amdhsa_float_round_mode_16_64 0
		.amdhsa_float_denorm_mode_32 3
		.amdhsa_float_denorm_mode_16_64 3
		.amdhsa_dx10_clamp 1
		.amdhsa_ieee_mode 1
		.amdhsa_fp16_overflow 0
		.amdhsa_exception_fp_ieee_invalid_op 0
		.amdhsa_exception_fp_denorm_src 0
		.amdhsa_exception_fp_ieee_div_zero 0
		.amdhsa_exception_fp_ieee_overflow 0
		.amdhsa_exception_fp_ieee_underflow 0
		.amdhsa_exception_fp_ieee_inexact 0
		.amdhsa_exception_int_div_zero 0
	.end_amdhsa_kernel
	.section	.text._Z11rank_kernelIhLj4ELb0EL18RadixRankAlgorithm2ELj128ELj1ELj10EEvPKT_Pi,"axG",@progbits,_Z11rank_kernelIhLj4ELb0EL18RadixRankAlgorithm2ELj128ELj1ELj10EEvPKT_Pi,comdat
.Lfunc_end47:
	.size	_Z11rank_kernelIhLj4ELb0EL18RadixRankAlgorithm2ELj128ELj1ELj10EEvPKT_Pi, .Lfunc_end47-_Z11rank_kernelIhLj4ELb0EL18RadixRankAlgorithm2ELj128ELj1ELj10EEvPKT_Pi
                                        ; -- End function
	.set _Z11rank_kernelIhLj4ELb0EL18RadixRankAlgorithm2ELj128ELj1ELj10EEvPKT_Pi.num_vgpr, 29
	.set _Z11rank_kernelIhLj4ELb0EL18RadixRankAlgorithm2ELj128ELj1ELj10EEvPKT_Pi.num_agpr, 0
	.set _Z11rank_kernelIhLj4ELb0EL18RadixRankAlgorithm2ELj128ELj1ELj10EEvPKT_Pi.numbered_sgpr, 46
	.set _Z11rank_kernelIhLj4ELb0EL18RadixRankAlgorithm2ELj128ELj1ELj10EEvPKT_Pi.num_named_barrier, 0
	.set _Z11rank_kernelIhLj4ELb0EL18RadixRankAlgorithm2ELj128ELj1ELj10EEvPKT_Pi.private_seg_size, 0
	.set _Z11rank_kernelIhLj4ELb0EL18RadixRankAlgorithm2ELj128ELj1ELj10EEvPKT_Pi.uses_vcc, 1
	.set _Z11rank_kernelIhLj4ELb0EL18RadixRankAlgorithm2ELj128ELj1ELj10EEvPKT_Pi.uses_flat_scratch, 0
	.set _Z11rank_kernelIhLj4ELb0EL18RadixRankAlgorithm2ELj128ELj1ELj10EEvPKT_Pi.has_dyn_sized_stack, 0
	.set _Z11rank_kernelIhLj4ELb0EL18RadixRankAlgorithm2ELj128ELj1ELj10EEvPKT_Pi.has_recursion, 0
	.set _Z11rank_kernelIhLj4ELb0EL18RadixRankAlgorithm2ELj128ELj1ELj10EEvPKT_Pi.has_indirect_call, 0
	.section	.AMDGPU.csdata,"",@progbits
; Kernel info:
; codeLenInByte = 1604
; TotalNumSgprs: 50
; NumVgprs: 29
; ScratchSize: 0
; MemoryBound: 0
; FloatMode: 240
; IeeeMode: 1
; LDSByteSize: 520 bytes/workgroup (compile time only)
; SGPRBlocks: 6
; VGPRBlocks: 7
; NumSGPRsForWavesPerEU: 50
; NumVGPRsForWavesPerEU: 29
; Occupancy: 8
; WaveLimiterHint : 0
; COMPUTE_PGM_RSRC2:SCRATCH_EN: 0
; COMPUTE_PGM_RSRC2:USER_SGPR: 6
; COMPUTE_PGM_RSRC2:TRAP_HANDLER: 0
; COMPUTE_PGM_RSRC2:TGID_X_EN: 1
; COMPUTE_PGM_RSRC2:TGID_Y_EN: 0
; COMPUTE_PGM_RSRC2:TGID_Z_EN: 0
; COMPUTE_PGM_RSRC2:TIDIG_COMP_CNT: 2
	.section	.text._Z11rank_kernelIhLj4ELb0EL18RadixRankAlgorithm0ELj128ELj4ELj10EEvPKT_Pi,"axG",@progbits,_Z11rank_kernelIhLj4ELb0EL18RadixRankAlgorithm0ELj128ELj4ELj10EEvPKT_Pi,comdat
	.protected	_Z11rank_kernelIhLj4ELb0EL18RadixRankAlgorithm0ELj128ELj4ELj10EEvPKT_Pi ; -- Begin function _Z11rank_kernelIhLj4ELb0EL18RadixRankAlgorithm0ELj128ELj4ELj10EEvPKT_Pi
	.globl	_Z11rank_kernelIhLj4ELb0EL18RadixRankAlgorithm0ELj128ELj4ELj10EEvPKT_Pi
	.p2align	8
	.type	_Z11rank_kernelIhLj4ELb0EL18RadixRankAlgorithm0ELj128ELj4ELj10EEvPKT_Pi,@function
_Z11rank_kernelIhLj4ELb0EL18RadixRankAlgorithm0ELj128ELj4ELj10EEvPKT_Pi: ; @_Z11rank_kernelIhLj4ELb0EL18RadixRankAlgorithm0ELj128ELj4ELj10EEvPKT_Pi
; %bb.0:
	s_load_dwordx4 s[36:39], s[4:5], 0x0
	s_lshl_b32 s40, s6, 9
	v_lshlrev_b32_e32 v1, 2, v0
	v_mbcnt_lo_u32_b32 v4, -1, 0
	v_mbcnt_hi_u32_b32 v5, -1, v4
	s_waitcnt lgkmcnt(0)
	s_add_u32 s0, s36, s40
	s_addc_u32 s1, s37, 0
	global_load_dword v8, v1, s[0:1]
	v_or_b32_e32 v4, 63, v0
	v_lshrrev_b32_e32 v6, 4, v0
	v_subrev_co_u32_e64 v10, s[20:21], 1, v5
	v_and_b32_e32 v11, 64, v5
	s_movk_i32 s36, 0x380
	v_and_b32_e32 v7, 15, v5
	v_and_b32_e32 v9, 16, v5
	v_cmp_eq_u32_e64 s[18:19], v0, v4
	v_and_b32_e32 v4, 4, v6
	v_and_b32_e32 v6, 1, v5
	v_cmp_lt_i32_e64 s[34:35], v10, v11
	v_cmp_lt_u32_e64 s[16:17], 31, v5
	v_cmp_eq_u32_e64 s[22:23], 0, v7
	v_cmp_lt_u32_e64 s[24:25], 1, v7
	v_cmp_lt_u32_e64 s[26:27], 3, v7
	;; [unrolled: 1-line block ×3, first 2 shown]
	v_cmp_eq_u32_e64 s[30:31], 0, v9
	v_cndmask_b32_e64 v5, v10, v5, s[34:35]
	v_cmp_eq_u32_e64 s[34:35], 0, v6
	s_movk_i32 s4, 0x300
	s_movk_i32 s6, 0x280
	;; [unrolled: 1-line block ×6, first 2 shown]
	v_lshlrev_b32_e32 v3, 5, v0
	v_mul_i32_i24_e32 v13, 0xffffffe4, v0
	s_mov_b32 s41, 0
	v_mov_b32_e32 v2, 0
	s_mov_b32 s33, 10
	v_cmp_gt_u32_e32 vcc, 2, v0
	v_cmp_lt_u32_e64 s[0:1], 63, v0
	v_cmp_gt_u32_e64 s[2:3], s36, v0
	v_cmp_gt_u32_e64 s[4:5], s4, v0
	;; [unrolled: 1-line block ×7, first 2 shown]
	v_lshlrev_b32_e32 v5, 2, v5
	v_add_u32_e32 v13, v3, v13
	s_waitcnt vmcnt(0)
	v_lshrrev_b32_e32 v22, 21, v8
	v_lshlrev_b32_e32 v6, 3, v8
	v_lshrrev_b32_e32 v7, 6, v8
	v_lshlrev_b32_e32 v9, 7, v8
	v_lshrrev_b32_e32 v10, 2, v8
	v_lshrrev_b32_e32 v11, 1, v8
	;; [unrolled: 1-line block ×11, first 2 shown]
	v_and_or_b32 v22, v22, s36, v0
	v_and_or_b32 v6, v6, s36, v0
	v_and_b32_e32 v7, 2, v7
	v_and_or_b32 v9, v9, s36, v0
	v_and_b32_e32 v10, 2, v10
	;; [unrolled: 2-line block ×7, first 2 shown]
	v_alignbit_b32 v8, v22, v8, 30
	v_lshl_or_b32 v0, v6, 2, v7
	v_lshl_or_b32 v9, v9, 2, v10
	;; [unrolled: 1-line block ×7, first 2 shown]
	v_and_b32_e32 v8, 0xffe, v8
	s_branch .LBB48_2
.LBB48_1:                               ;   in Loop: Header=BB48_2 Depth=1
	s_or_b64 exec, exec, s[36:37]
	s_waitcnt lgkmcnt(0)
	v_add_u32_e32 v18, v19, v18
	ds_bpermute_b32 v18, v5, v18
	ds_read_b32 v26, v2 offset:4100
	ds_read2_b64 v[20:23], v3 offset1:1
	ds_read_b64 v[24:25], v3 offset:16
	ds_read_b32 v27, v3 offset:24
	s_add_i32 s33, s33, -1
	s_cmp_eq_u32 s33, 0
	s_waitcnt lgkmcnt(4)
	v_cndmask_b32_e64 v18, v18, v19, s[20:21]
	s_waitcnt lgkmcnt(3)
	v_lshl_add_u32 v18, v26, 16, v18
	s_waitcnt lgkmcnt(2)
	v_add_u32_e32 v19, v18, v20
	v_add_u32_e32 v20, v21, v19
	;; [unrolled: 1-line block ×3, first 2 shown]
	ds_write2_b64 v3, v[18:19], v[20:21] offset1:1
	v_add_u32_e32 v18, v23, v21
	s_waitcnt lgkmcnt(2)
	v_add_u32_e32 v19, v24, v18
	v_add_u32_e32 v20, v25, v19
	s_waitcnt lgkmcnt(1)
	v_add_u32_e32 v21, v27, v20
	ds_write2_b64 v3, v[18:19], v[20:21] offset0:2 offset1:3
	s_waitcnt lgkmcnt(0)
	s_barrier
	s_cbranch_scc1 .LBB48_30
.LBB48_2:                               ; =>This Inner Loop Header: Depth=1
	ds_write_b32 v13, v2
	s_and_saveexec_b64 s[36:37], s[2:3]
	s_cbranch_execz .LBB48_10
; %bb.3:                                ;   in Loop: Header=BB48_2 Depth=1
	ds_write_b32 v13, v2 offset:512
	s_and_b64 exec, exec, s[4:5]
	s_cbranch_execz .LBB48_10
; %bb.4:                                ;   in Loop: Header=BB48_2 Depth=1
	ds_write_b32 v13, v2 offset:1024
	s_and_b64 exec, exec, s[6:7]
	;; [unrolled: 4-line block ×6, first 2 shown]
; %bb.9:                                ;   in Loop: Header=BB48_2 Depth=1
	ds_write_b32 v13, v2 offset:3584
.LBB48_10:                              ;   in Loop: Header=BB48_2 Depth=1
	s_or_b64 exec, exec, s[36:37]
	ds_read_u16 v14, v9
	s_waitcnt lgkmcnt(0)
	v_add_u16_e32 v14, 1, v14
	ds_write_b16 v9, v14
	ds_read_u16 v14, v10
	s_waitcnt lgkmcnt(0)
	v_add_u16_e32 v14, 1, v14
	ds_write_b16 v10, v14
	;; [unrolled: 4-line block ×4, first 2 shown]
	s_waitcnt lgkmcnt(0)
	s_barrier
	ds_read2_b64 v[14:17], v3 offset1:1
	ds_read2_b64 v[18:21], v3 offset0:2 offset1:3
	s_waitcnt lgkmcnt(1)
	v_add_u32_e32 v14, v15, v14
	v_add3_u32 v14, v14, v16, v17
	s_waitcnt lgkmcnt(0)
	v_add3_u32 v14, v14, v18, v19
	v_add3_u32 v14, v14, v20, v21
	s_nop 1
	v_mov_b32_dpp v15, v14 row_shr:1 row_mask:0xf bank_mask:0xf
	v_cndmask_b32_e64 v15, v15, 0, s[22:23]
	v_add_u32_e32 v14, v15, v14
	s_nop 1
	v_mov_b32_dpp v15, v14 row_shr:2 row_mask:0xf bank_mask:0xf
	v_cndmask_b32_e64 v15, 0, v15, s[24:25]
	v_add_u32_e32 v14, v14, v15
	;; [unrolled: 4-line block ×4, first 2 shown]
	s_nop 1
	v_mov_b32_dpp v15, v14 row_bcast:15 row_mask:0xf bank_mask:0xf
	v_cndmask_b32_e64 v15, v15, 0, s[30:31]
	v_add_u32_e32 v14, v14, v15
	s_nop 1
	v_mov_b32_dpp v15, v14 row_bcast:31 row_mask:0xf bank_mask:0xf
	v_cndmask_b32_e64 v15, 0, v15, s[16:17]
	v_add_u32_e32 v14, v14, v15
	s_and_saveexec_b64 s[36:37], s[18:19]
; %bb.11:                               ;   in Loop: Header=BB48_2 Depth=1
	ds_write_b32 v4, v14 offset:4096
; %bb.12:                               ;   in Loop: Header=BB48_2 Depth=1
	s_or_b64 exec, exec, s[36:37]
	s_waitcnt lgkmcnt(0)
	s_barrier
	s_and_saveexec_b64 s[36:37], vcc
	s_cbranch_execz .LBB48_14
; %bb.13:                               ;   in Loop: Header=BB48_2 Depth=1
	ds_read_b32 v15, v13 offset:4096
	s_waitcnt lgkmcnt(0)
	s_nop 0
	v_mov_b32_dpp v16, v15 row_shr:1 row_mask:0xf bank_mask:0xf
	v_cndmask_b32_e64 v16, v16, 0, s[34:35]
	v_add_u32_e32 v15, v16, v15
	ds_write_b32 v13, v15 offset:4096
.LBB48_14:                              ;   in Loop: Header=BB48_2 Depth=1
	s_or_b64 exec, exec, s[36:37]
	v_mov_b32_e32 v15, 0
	s_waitcnt lgkmcnt(0)
	s_barrier
	s_and_saveexec_b64 s[36:37], s[0:1]
; %bb.15:                               ;   in Loop: Header=BB48_2 Depth=1
	ds_read_b32 v15, v4 offset:4092
; %bb.16:                               ;   in Loop: Header=BB48_2 Depth=1
	s_or_b64 exec, exec, s[36:37]
	s_waitcnt lgkmcnt(0)
	v_add_u32_e32 v14, v15, v14
	ds_bpermute_b32 v14, v5, v14
	ds_read_b32 v22, v2 offset:4100
	ds_read2_b64 v[16:19], v3 offset1:1
	ds_read_b64 v[20:21], v3 offset:16
	ds_read_b32 v23, v3 offset:24
	s_waitcnt lgkmcnt(4)
	v_cndmask_b32_e64 v14, v14, v15, s[20:21]
	s_waitcnt lgkmcnt(3)
	v_lshl_add_u32 v14, v22, 16, v14
	s_waitcnt lgkmcnt(2)
	v_add_u32_e32 v15, v14, v16
	v_add_u32_e32 v16, v17, v15
	;; [unrolled: 1-line block ×3, first 2 shown]
	ds_write2_b64 v3, v[14:15], v[16:17] offset1:1
	v_add_u32_e32 v14, v19, v17
	s_waitcnt lgkmcnt(2)
	v_add_u32_e32 v15, v20, v14
	v_add_u32_e32 v16, v21, v15
	s_waitcnt lgkmcnt(1)
	v_add_u32_e32 v17, v23, v16
	ds_write2_b64 v3, v[14:15], v[16:17] offset0:2 offset1:3
	s_waitcnt lgkmcnt(0)
	s_barrier
	ds_write_b32 v13, v2
	s_and_saveexec_b64 s[36:37], s[2:3]
	s_cbranch_execz .LBB48_24
; %bb.17:                               ;   in Loop: Header=BB48_2 Depth=1
	ds_write_b32 v13, v2 offset:512
	s_and_b64 exec, exec, s[4:5]
	s_cbranch_execz .LBB48_24
; %bb.18:                               ;   in Loop: Header=BB48_2 Depth=1
	ds_write_b32 v13, v2 offset:1024
	s_and_b64 exec, exec, s[6:7]
	;; [unrolled: 4-line block ×6, first 2 shown]
; %bb.23:                               ;   in Loop: Header=BB48_2 Depth=1
	ds_write_b32 v13, v2 offset:3584
.LBB48_24:                              ;   in Loop: Header=BB48_2 Depth=1
	s_or_b64 exec, exec, s[36:37]
	ds_read_u16 v14, v0
	s_waitcnt lgkmcnt(0)
	v_add_u16_e32 v15, 1, v14
	ds_write_b16 v0, v15
	ds_read_u16 v15, v6
	s_waitcnt lgkmcnt(0)
	v_add_u16_e32 v16, 1, v15
	ds_write_b16 v6, v16
	;; [unrolled: 4-line block ×4, first 2 shown]
	s_waitcnt lgkmcnt(0)
	s_barrier
	ds_read2_b64 v[18:21], v3 offset1:1
	ds_read2_b64 v[22:25], v3 offset0:2 offset1:3
	s_waitcnt lgkmcnt(1)
	v_add_u32_e32 v18, v19, v18
	v_add3_u32 v18, v18, v20, v21
	s_waitcnt lgkmcnt(0)
	v_add3_u32 v18, v18, v22, v23
	v_add3_u32 v18, v18, v24, v25
	s_nop 1
	v_mov_b32_dpp v19, v18 row_shr:1 row_mask:0xf bank_mask:0xf
	v_cndmask_b32_e64 v19, v19, 0, s[22:23]
	v_add_u32_e32 v18, v19, v18
	s_nop 1
	v_mov_b32_dpp v19, v18 row_shr:2 row_mask:0xf bank_mask:0xf
	v_cndmask_b32_e64 v19, 0, v19, s[24:25]
	v_add_u32_e32 v18, v18, v19
	;; [unrolled: 4-line block ×4, first 2 shown]
	s_nop 1
	v_mov_b32_dpp v19, v18 row_bcast:15 row_mask:0xf bank_mask:0xf
	v_cndmask_b32_e64 v19, v19, 0, s[30:31]
	v_add_u32_e32 v18, v18, v19
	s_nop 1
	v_mov_b32_dpp v19, v18 row_bcast:31 row_mask:0xf bank_mask:0xf
	v_cndmask_b32_e64 v19, 0, v19, s[16:17]
	v_add_u32_e32 v18, v18, v19
	s_and_saveexec_b64 s[36:37], s[18:19]
; %bb.25:                               ;   in Loop: Header=BB48_2 Depth=1
	ds_write_b32 v4, v18 offset:4096
; %bb.26:                               ;   in Loop: Header=BB48_2 Depth=1
	s_or_b64 exec, exec, s[36:37]
	s_waitcnt lgkmcnt(0)
	s_barrier
	s_and_saveexec_b64 s[36:37], vcc
	s_cbranch_execz .LBB48_28
; %bb.27:                               ;   in Loop: Header=BB48_2 Depth=1
	ds_read_b32 v19, v13 offset:4096
	s_waitcnt lgkmcnt(0)
	s_nop 0
	v_mov_b32_dpp v20, v19 row_shr:1 row_mask:0xf bank_mask:0xf
	v_cndmask_b32_e64 v20, v20, 0, s[34:35]
	v_add_u32_e32 v19, v20, v19
	ds_write_b32 v13, v19 offset:4096
.LBB48_28:                              ;   in Loop: Header=BB48_2 Depth=1
	s_or_b64 exec, exec, s[36:37]
	v_mov_b32_e32 v19, 0
	s_waitcnt lgkmcnt(0)
	s_barrier
	s_and_saveexec_b64 s[36:37], s[0:1]
	s_cbranch_execz .LBB48_1
; %bb.29:                               ;   in Loop: Header=BB48_2 Depth=1
	ds_read_b32 v19, v4 offset:4092
	s_branch .LBB48_1
.LBB48_30:
	ds_read_u16 v0, v0
	ds_read_u16 v3, v6
	;; [unrolled: 1-line block ×4, first 2 shown]
	s_lshl_b64 s[0:1], s[40:41], 2
	s_add_u32 s0, s38, s0
	s_waitcnt lgkmcnt(3)
	v_add_u32_sdwa v2, v0, v14 dst_sel:DWORD dst_unused:UNUSED_PAD src0_sel:DWORD src1_sel:WORD_0
	s_waitcnt lgkmcnt(2)
	v_add_u32_sdwa v3, v3, v15 dst_sel:DWORD dst_unused:UNUSED_PAD src0_sel:DWORD src1_sel:WORD_0
	s_waitcnt lgkmcnt(1)
	v_add_u32_sdwa v4, v4, v16 dst_sel:DWORD dst_unused:UNUSED_PAD src0_sel:DWORD src1_sel:WORD_0
	s_waitcnt lgkmcnt(0)
	v_add_u32_sdwa v5, v5, v17 dst_sel:DWORD dst_unused:UNUSED_PAD src0_sel:DWORD src1_sel:WORD_0
	s_addc_u32 s1, s39, s1
	v_lshlrev_b32_e32 v0, 2, v1
	global_store_dwordx4 v0, v[2:5], s[0:1]
	s_endpgm
	.section	.rodata,"a",@progbits
	.p2align	6, 0x0
	.amdhsa_kernel _Z11rank_kernelIhLj4ELb0EL18RadixRankAlgorithm0ELj128ELj4ELj10EEvPKT_Pi
		.amdhsa_group_segment_fixed_size 4104
		.amdhsa_private_segment_fixed_size 0
		.amdhsa_kernarg_size 16
		.amdhsa_user_sgpr_count 6
		.amdhsa_user_sgpr_private_segment_buffer 1
		.amdhsa_user_sgpr_dispatch_ptr 0
		.amdhsa_user_sgpr_queue_ptr 0
		.amdhsa_user_sgpr_kernarg_segment_ptr 1
		.amdhsa_user_sgpr_dispatch_id 0
		.amdhsa_user_sgpr_flat_scratch_init 0
		.amdhsa_user_sgpr_private_segment_size 0
		.amdhsa_uses_dynamic_stack 0
		.amdhsa_system_sgpr_private_segment_wavefront_offset 0
		.amdhsa_system_sgpr_workgroup_id_x 1
		.amdhsa_system_sgpr_workgroup_id_y 0
		.amdhsa_system_sgpr_workgroup_id_z 0
		.amdhsa_system_sgpr_workgroup_info 0
		.amdhsa_system_vgpr_workitem_id 0
		.amdhsa_next_free_vgpr 29
		.amdhsa_next_free_sgpr 61
		.amdhsa_reserve_vcc 1
		.amdhsa_reserve_flat_scratch 0
		.amdhsa_float_round_mode_32 0
		.amdhsa_float_round_mode_16_64 0
		.amdhsa_float_denorm_mode_32 3
		.amdhsa_float_denorm_mode_16_64 3
		.amdhsa_dx10_clamp 1
		.amdhsa_ieee_mode 1
		.amdhsa_fp16_overflow 0
		.amdhsa_exception_fp_ieee_invalid_op 0
		.amdhsa_exception_fp_denorm_src 0
		.amdhsa_exception_fp_ieee_div_zero 0
		.amdhsa_exception_fp_ieee_overflow 0
		.amdhsa_exception_fp_ieee_underflow 0
		.amdhsa_exception_fp_ieee_inexact 0
		.amdhsa_exception_int_div_zero 0
	.end_amdhsa_kernel
	.section	.text._Z11rank_kernelIhLj4ELb0EL18RadixRankAlgorithm0ELj128ELj4ELj10EEvPKT_Pi,"axG",@progbits,_Z11rank_kernelIhLj4ELb0EL18RadixRankAlgorithm0ELj128ELj4ELj10EEvPKT_Pi,comdat
.Lfunc_end48:
	.size	_Z11rank_kernelIhLj4ELb0EL18RadixRankAlgorithm0ELj128ELj4ELj10EEvPKT_Pi, .Lfunc_end48-_Z11rank_kernelIhLj4ELb0EL18RadixRankAlgorithm0ELj128ELj4ELj10EEvPKT_Pi
                                        ; -- End function
	.set _Z11rank_kernelIhLj4ELb0EL18RadixRankAlgorithm0ELj128ELj4ELj10EEvPKT_Pi.num_vgpr, 28
	.set _Z11rank_kernelIhLj4ELb0EL18RadixRankAlgorithm0ELj128ELj4ELj10EEvPKT_Pi.num_agpr, 0
	.set _Z11rank_kernelIhLj4ELb0EL18RadixRankAlgorithm0ELj128ELj4ELj10EEvPKT_Pi.numbered_sgpr, 42
	.set _Z11rank_kernelIhLj4ELb0EL18RadixRankAlgorithm0ELj128ELj4ELj10EEvPKT_Pi.num_named_barrier, 0
	.set _Z11rank_kernelIhLj4ELb0EL18RadixRankAlgorithm0ELj128ELj4ELj10EEvPKT_Pi.private_seg_size, 0
	.set _Z11rank_kernelIhLj4ELb0EL18RadixRankAlgorithm0ELj128ELj4ELj10EEvPKT_Pi.uses_vcc, 1
	.set _Z11rank_kernelIhLj4ELb0EL18RadixRankAlgorithm0ELj128ELj4ELj10EEvPKT_Pi.uses_flat_scratch, 0
	.set _Z11rank_kernelIhLj4ELb0EL18RadixRankAlgorithm0ELj128ELj4ELj10EEvPKT_Pi.has_dyn_sized_stack, 0
	.set _Z11rank_kernelIhLj4ELb0EL18RadixRankAlgorithm0ELj128ELj4ELj10EEvPKT_Pi.has_recursion, 0
	.set _Z11rank_kernelIhLj4ELb0EL18RadixRankAlgorithm0ELj128ELj4ELj10EEvPKT_Pi.has_indirect_call, 0
	.section	.AMDGPU.csdata,"",@progbits
; Kernel info:
; codeLenInByte = 1984
; TotalNumSgprs: 46
; NumVgprs: 28
; ScratchSize: 0
; MemoryBound: 0
; FloatMode: 240
; IeeeMode: 1
; LDSByteSize: 4104 bytes/workgroup (compile time only)
; SGPRBlocks: 8
; VGPRBlocks: 7
; NumSGPRsForWavesPerEU: 65
; NumVGPRsForWavesPerEU: 29
; Occupancy: 8
; WaveLimiterHint : 0
; COMPUTE_PGM_RSRC2:SCRATCH_EN: 0
; COMPUTE_PGM_RSRC2:USER_SGPR: 6
; COMPUTE_PGM_RSRC2:TRAP_HANDLER: 0
; COMPUTE_PGM_RSRC2:TGID_X_EN: 1
; COMPUTE_PGM_RSRC2:TGID_Y_EN: 0
; COMPUTE_PGM_RSRC2:TGID_Z_EN: 0
; COMPUTE_PGM_RSRC2:TIDIG_COMP_CNT: 0
	.section	.text._Z11rank_kernelIhLj4ELb0EL18RadixRankAlgorithm1ELj128ELj4ELj10EEvPKT_Pi,"axG",@progbits,_Z11rank_kernelIhLj4ELb0EL18RadixRankAlgorithm1ELj128ELj4ELj10EEvPKT_Pi,comdat
	.protected	_Z11rank_kernelIhLj4ELb0EL18RadixRankAlgorithm1ELj128ELj4ELj10EEvPKT_Pi ; -- Begin function _Z11rank_kernelIhLj4ELb0EL18RadixRankAlgorithm1ELj128ELj4ELj10EEvPKT_Pi
	.globl	_Z11rank_kernelIhLj4ELb0EL18RadixRankAlgorithm1ELj128ELj4ELj10EEvPKT_Pi
	.p2align	8
	.type	_Z11rank_kernelIhLj4ELb0EL18RadixRankAlgorithm1ELj128ELj4ELj10EEvPKT_Pi,@function
_Z11rank_kernelIhLj4ELb0EL18RadixRankAlgorithm1ELj128ELj4ELj10EEvPKT_Pi: ; @_Z11rank_kernelIhLj4ELb0EL18RadixRankAlgorithm1ELj128ELj4ELj10EEvPKT_Pi
; %bb.0:
	s_load_dwordx4 s[36:39], s[4:5], 0x0
	s_lshl_b32 s40, s6, 9
	v_lshlrev_b32_e32 v8, 2, v0
	v_mbcnt_lo_u32_b32 v2, -1, 0
	v_mbcnt_hi_u32_b32 v2, -1, v2
	s_waitcnt lgkmcnt(0)
	s_add_u32 s0, s36, s40
	s_addc_u32 s1, s37, 0
	global_load_dword v1, v8, s[0:1]
	v_or_b32_e32 v3, 63, v0
	v_cmp_eq_u32_e64 s[18:19], v0, v3
	v_subrev_co_u32_e64 v3, s[20:21], 1, v2
	v_and_b32_e32 v12, 64, v2
	v_lshrrev_b32_e32 v4, 4, v0
	v_cmp_lt_i32_e64 s[34:35], v3, v12
	v_and_b32_e32 v6, 15, v2
	v_and_b32_e32 v7, 16, v2
	v_cmp_lt_u32_e64 s[16:17], 31, v2
	v_and_b32_e32 v11, 4, v4
	v_and_b32_e32 v4, 1, v2
	v_cndmask_b32_e64 v2, v3, v2, s[34:35]
	s_movk_i32 s36, 0x380
	s_movk_i32 s4, 0x300
	;; [unrolled: 1-line block ×7, first 2 shown]
	v_cmp_eq_u32_e64 s[30:31], 0, v7
	v_cmp_eq_u32_e64 s[34:35], 0, v4
	v_lshlrev_b32_e32 v12, 2, v2
	v_lshlrev_b32_e32 v10, 5, v0
	v_cmp_gt_u32_e32 vcc, 2, v0
	v_cmp_lt_u32_e64 s[0:1], 63, v0
	v_mul_i32_i24_e32 v5, 0xffffffe4, v0
	v_cmp_gt_u32_e64 s[2:3], s36, v0
	v_cmp_gt_u32_e64 s[4:5], s4, v0
	;; [unrolled: 1-line block ×7, first 2 shown]
	v_cmp_eq_u32_e64 s[22:23], 0, v6
	v_cmp_lt_u32_e64 s[24:25], 1, v6
	v_cmp_lt_u32_e64 s[26:27], 3, v6
	;; [unrolled: 1-line block ×3, first 2 shown]
	s_mov_b32 s41, 0
	v_mov_b32_e32 v9, 0
	s_mov_b32 s33, 10
	s_waitcnt vmcnt(0)
	v_lshlrev_b32_e32 v2, 3, v1
	v_lshlrev_b32_e32 v4, 7, v1
	v_lshrrev_b32_e32 v7, 1, v1
	v_lshrrev_b32_e32 v14, 9, v1
	;; [unrolled: 1-line block ×13, first 2 shown]
	v_and_or_b32 v2, v2, s36, v0
	v_and_or_b32 v4, v4, s36, v0
	;; [unrolled: 1-line block ×8, first 2 shown]
	v_and_b32_e32 v3, 2, v3
	v_and_b32_e32 v6, 2, v6
	;; [unrolled: 1-line block ×7, first 2 shown]
	v_alignbit_b32 v0, v0, v1, 30
	v_lshl_or_b32 v13, v2, 2, v3
	v_lshl_or_b32 v17, v4, 2, v6
	;; [unrolled: 1-line block ×7, first 2 shown]
	v_and_b32_e32 v16, 0xffe, v0
	v_add_u32_e32 v21, v10, v5
	s_branch .LBB49_2
.LBB49_1:                               ;   in Loop: Header=BB49_2 Depth=1
	s_or_b64 exec, exec, s[36:37]
	s_waitcnt lgkmcnt(0)
	v_add_u32_e32 v3, v26, v3
	ds_bpermute_b32 v3, v12, v3
	ds_read_b32 v27, v9 offset:4100
	s_add_i32 s33, s33, -1
	s_cmp_eq_u32 s33, 0
	s_waitcnt lgkmcnt(1)
	v_cndmask_b32_e64 v3, v3, v26, s[20:21]
	s_waitcnt lgkmcnt(0)
	v_lshl_add_u32 v3, v27, 16, v3
	v_add_u32_e32 v4, v3, v4
	v_add_u32_e32 v5, v4, v5
	;; [unrolled: 1-line block ×7, first 2 shown]
	ds_write2_b64 v10, v[3:4], v[5:6] offset1:1
	ds_write2_b64 v10, v[26:27], v[0:1] offset0:2 offset1:3
	s_waitcnt lgkmcnt(0)
	s_barrier
	s_cbranch_scc1 .LBB49_30
.LBB49_2:                               ; =>This Inner Loop Header: Depth=1
	ds_write_b32 v21, v9
	s_and_saveexec_b64 s[36:37], s[2:3]
	s_cbranch_execz .LBB49_10
; %bb.3:                                ;   in Loop: Header=BB49_2 Depth=1
	ds_write_b32 v21, v9 offset:512
	s_and_b64 exec, exec, s[4:5]
	s_cbranch_execz .LBB49_10
; %bb.4:                                ;   in Loop: Header=BB49_2 Depth=1
	ds_write_b32 v21, v9 offset:1024
	s_and_b64 exec, exec, s[6:7]
	;; [unrolled: 4-line block ×6, first 2 shown]
; %bb.9:                                ;   in Loop: Header=BB49_2 Depth=1
	ds_write_b32 v21, v9 offset:3584
.LBB49_10:                              ;   in Loop: Header=BB49_2 Depth=1
	s_or_b64 exec, exec, s[36:37]
	ds_read_u16 v0, v17
	s_waitcnt lgkmcnt(0)
	v_add_u16_e32 v0, 1, v0
	ds_write_b16 v17, v0
	ds_read_u16 v0, v18
	s_waitcnt lgkmcnt(0)
	v_add_u16_e32 v0, 1, v0
	ds_write_b16 v18, v0
	;; [unrolled: 4-line block ×4, first 2 shown]
	s_waitcnt lgkmcnt(0)
	s_barrier
	ds_read2_b64 v[4:7], v10 offset1:1
	ds_read2_b64 v[0:3], v10 offset0:2 offset1:3
	s_waitcnt lgkmcnt(1)
	v_add_u32_e32 v22, v5, v4
	v_add3_u32 v22, v22, v6, v7
	s_waitcnt lgkmcnt(0)
	v_add3_u32 v22, v22, v0, v1
	v_add3_u32 v3, v22, v2, v3
	s_nop 1
	v_mov_b32_dpp v22, v3 row_shr:1 row_mask:0xf bank_mask:0xf
	v_cndmask_b32_e64 v22, v22, 0, s[22:23]
	v_add_u32_e32 v3, v22, v3
	s_nop 1
	v_mov_b32_dpp v22, v3 row_shr:2 row_mask:0xf bank_mask:0xf
	v_cndmask_b32_e64 v22, 0, v22, s[24:25]
	v_add_u32_e32 v3, v3, v22
	;; [unrolled: 4-line block ×4, first 2 shown]
	s_nop 1
	v_mov_b32_dpp v22, v3 row_bcast:15 row_mask:0xf bank_mask:0xf
	v_cndmask_b32_e64 v22, v22, 0, s[30:31]
	v_add_u32_e32 v3, v3, v22
	s_nop 1
	v_mov_b32_dpp v22, v3 row_bcast:31 row_mask:0xf bank_mask:0xf
	v_cndmask_b32_e64 v22, 0, v22, s[16:17]
	v_add_u32_e32 v3, v3, v22
	s_and_saveexec_b64 s[36:37], s[18:19]
; %bb.11:                               ;   in Loop: Header=BB49_2 Depth=1
	ds_write_b32 v11, v3 offset:4096
; %bb.12:                               ;   in Loop: Header=BB49_2 Depth=1
	s_or_b64 exec, exec, s[36:37]
	s_waitcnt lgkmcnt(0)
	s_barrier
	s_and_saveexec_b64 s[36:37], vcc
	s_cbranch_execz .LBB49_14
; %bb.13:                               ;   in Loop: Header=BB49_2 Depth=1
	ds_read_b32 v22, v21 offset:4096
	s_waitcnt lgkmcnt(0)
	s_nop 0
	v_mov_b32_dpp v23, v22 row_shr:1 row_mask:0xf bank_mask:0xf
	v_cndmask_b32_e64 v23, v23, 0, s[34:35]
	v_add_u32_e32 v22, v23, v22
	ds_write_b32 v21, v22 offset:4096
.LBB49_14:                              ;   in Loop: Header=BB49_2 Depth=1
	s_or_b64 exec, exec, s[36:37]
	v_mov_b32_e32 v22, 0
	s_waitcnt lgkmcnt(0)
	s_barrier
	s_and_saveexec_b64 s[36:37], s[0:1]
; %bb.15:                               ;   in Loop: Header=BB49_2 Depth=1
	ds_read_b32 v22, v11 offset:4092
; %bb.16:                               ;   in Loop: Header=BB49_2 Depth=1
	s_or_b64 exec, exec, s[36:37]
	s_waitcnt lgkmcnt(0)
	v_add_u32_e32 v3, v22, v3
	ds_bpermute_b32 v3, v12, v3
	ds_read_b32 v23, v9 offset:4100
	s_waitcnt lgkmcnt(1)
	v_cndmask_b32_e64 v3, v3, v22, s[20:21]
	s_waitcnt lgkmcnt(0)
	v_lshl_add_u32 v3, v23, 16, v3
	v_add_u32_e32 v4, v3, v4
	v_add_u32_e32 v5, v4, v5
	;; [unrolled: 1-line block ×7, first 2 shown]
	ds_write2_b64 v10, v[3:4], v[5:6] offset1:1
	ds_write2_b64 v10, v[22:23], v[0:1] offset0:2 offset1:3
	s_waitcnt lgkmcnt(0)
	s_barrier
	ds_write_b32 v21, v9
	s_and_saveexec_b64 s[36:37], s[2:3]
	s_cbranch_execz .LBB49_24
; %bb.17:                               ;   in Loop: Header=BB49_2 Depth=1
	ds_write_b32 v21, v9 offset:512
	s_and_b64 exec, exec, s[4:5]
	s_cbranch_execz .LBB49_24
; %bb.18:                               ;   in Loop: Header=BB49_2 Depth=1
	ds_write_b32 v21, v9 offset:1024
	s_and_b64 exec, exec, s[6:7]
	s_cbranch_execz .LBB49_24
; %bb.19:                               ;   in Loop: Header=BB49_2 Depth=1
	ds_write_b32 v21, v9 offset:1536
	s_and_b64 exec, exec, s[8:9]
	s_cbranch_execz .LBB49_24
; %bb.20:                               ;   in Loop: Header=BB49_2 Depth=1
	ds_write_b32 v21, v9 offset:2048
	s_and_b64 exec, exec, s[10:11]
	s_cbranch_execz .LBB49_24
; %bb.21:                               ;   in Loop: Header=BB49_2 Depth=1
	ds_write_b32 v21, v9 offset:2560
	s_and_b64 exec, exec, s[12:13]
	s_cbranch_execz .LBB49_24
; %bb.22:                               ;   in Loop: Header=BB49_2 Depth=1
	ds_write_b32 v21, v9 offset:3072
	s_and_b64 exec, exec, s[14:15]
; %bb.23:                               ;   in Loop: Header=BB49_2 Depth=1
	ds_write_b32 v21, v9 offset:3584
.LBB49_24:                              ;   in Loop: Header=BB49_2 Depth=1
	s_or_b64 exec, exec, s[36:37]
	ds_read_u16 v22, v13
	s_waitcnt lgkmcnt(0)
	v_add_u16_e32 v0, 1, v22
	ds_write_b16 v13, v0
	ds_read_u16 v23, v14
	s_waitcnt lgkmcnt(0)
	v_add_u16_e32 v0, 1, v23
	ds_write_b16 v14, v0
	;; [unrolled: 4-line block ×4, first 2 shown]
	s_waitcnt lgkmcnt(0)
	s_barrier
	ds_read2_b64 v[4:7], v10 offset1:1
	ds_read2_b64 v[0:3], v10 offset0:2 offset1:3
	s_waitcnt lgkmcnt(1)
	v_add_u32_e32 v26, v5, v4
	v_add3_u32 v26, v26, v6, v7
	s_waitcnt lgkmcnt(0)
	v_add3_u32 v26, v26, v0, v1
	v_add3_u32 v3, v26, v2, v3
	s_nop 1
	v_mov_b32_dpp v26, v3 row_shr:1 row_mask:0xf bank_mask:0xf
	v_cndmask_b32_e64 v26, v26, 0, s[22:23]
	v_add_u32_e32 v3, v26, v3
	s_nop 1
	v_mov_b32_dpp v26, v3 row_shr:2 row_mask:0xf bank_mask:0xf
	v_cndmask_b32_e64 v26, 0, v26, s[24:25]
	v_add_u32_e32 v3, v3, v26
	;; [unrolled: 4-line block ×4, first 2 shown]
	s_nop 1
	v_mov_b32_dpp v26, v3 row_bcast:15 row_mask:0xf bank_mask:0xf
	v_cndmask_b32_e64 v26, v26, 0, s[30:31]
	v_add_u32_e32 v3, v3, v26
	s_nop 1
	v_mov_b32_dpp v26, v3 row_bcast:31 row_mask:0xf bank_mask:0xf
	v_cndmask_b32_e64 v26, 0, v26, s[16:17]
	v_add_u32_e32 v3, v3, v26
	s_and_saveexec_b64 s[36:37], s[18:19]
; %bb.25:                               ;   in Loop: Header=BB49_2 Depth=1
	ds_write_b32 v11, v3 offset:4096
; %bb.26:                               ;   in Loop: Header=BB49_2 Depth=1
	s_or_b64 exec, exec, s[36:37]
	s_waitcnt lgkmcnt(0)
	s_barrier
	s_and_saveexec_b64 s[36:37], vcc
	s_cbranch_execz .LBB49_28
; %bb.27:                               ;   in Loop: Header=BB49_2 Depth=1
	ds_read_b32 v26, v21 offset:4096
	s_waitcnt lgkmcnt(0)
	s_nop 0
	v_mov_b32_dpp v27, v26 row_shr:1 row_mask:0xf bank_mask:0xf
	v_cndmask_b32_e64 v27, v27, 0, s[34:35]
	v_add_u32_e32 v26, v27, v26
	ds_write_b32 v21, v26 offset:4096
.LBB49_28:                              ;   in Loop: Header=BB49_2 Depth=1
	s_or_b64 exec, exec, s[36:37]
	v_mov_b32_e32 v26, 0
	s_waitcnt lgkmcnt(0)
	s_barrier
	s_and_saveexec_b64 s[36:37], s[0:1]
	s_cbranch_execz .LBB49_1
; %bb.29:                               ;   in Loop: Header=BB49_2 Depth=1
	ds_read_b32 v26, v11 offset:4092
	s_branch .LBB49_1
.LBB49_30:
	ds_read_u16 v0, v13
	ds_read_u16 v1, v14
	;; [unrolled: 1-line block ×4, first 2 shown]
	s_lshl_b64 s[0:1], s[40:41], 2
	s_add_u32 s0, s38, s0
	s_waitcnt lgkmcnt(3)
	v_add_u32_sdwa v0, v0, v22 dst_sel:DWORD dst_unused:UNUSED_PAD src0_sel:DWORD src1_sel:WORD_0
	s_waitcnt lgkmcnt(2)
	v_add_u32_sdwa v1, v1, v23 dst_sel:DWORD dst_unused:UNUSED_PAD src0_sel:DWORD src1_sel:WORD_0
	s_waitcnt lgkmcnt(1)
	v_add_u32_sdwa v2, v2, v24 dst_sel:DWORD dst_unused:UNUSED_PAD src0_sel:DWORD src1_sel:WORD_0
	s_waitcnt lgkmcnt(0)
	v_add_u32_sdwa v3, v3, v25 dst_sel:DWORD dst_unused:UNUSED_PAD src0_sel:DWORD src1_sel:WORD_0
	s_addc_u32 s1, s39, s1
	v_lshlrev_b32_e32 v4, 2, v8
	global_store_dwordx4 v4, v[0:3], s[0:1]
	s_endpgm
	.section	.rodata,"a",@progbits
	.p2align	6, 0x0
	.amdhsa_kernel _Z11rank_kernelIhLj4ELb0EL18RadixRankAlgorithm1ELj128ELj4ELj10EEvPKT_Pi
		.amdhsa_group_segment_fixed_size 4104
		.amdhsa_private_segment_fixed_size 0
		.amdhsa_kernarg_size 16
		.amdhsa_user_sgpr_count 6
		.amdhsa_user_sgpr_private_segment_buffer 1
		.amdhsa_user_sgpr_dispatch_ptr 0
		.amdhsa_user_sgpr_queue_ptr 0
		.amdhsa_user_sgpr_kernarg_segment_ptr 1
		.amdhsa_user_sgpr_dispatch_id 0
		.amdhsa_user_sgpr_flat_scratch_init 0
		.amdhsa_user_sgpr_private_segment_size 0
		.amdhsa_uses_dynamic_stack 0
		.amdhsa_system_sgpr_private_segment_wavefront_offset 0
		.amdhsa_system_sgpr_workgroup_id_x 1
		.amdhsa_system_sgpr_workgroup_id_y 0
		.amdhsa_system_sgpr_workgroup_id_z 0
		.amdhsa_system_sgpr_workgroup_info 0
		.amdhsa_system_vgpr_workitem_id 0
		.amdhsa_next_free_vgpr 29
		.amdhsa_next_free_sgpr 61
		.amdhsa_reserve_vcc 1
		.amdhsa_reserve_flat_scratch 0
		.amdhsa_float_round_mode_32 0
		.amdhsa_float_round_mode_16_64 0
		.amdhsa_float_denorm_mode_32 3
		.amdhsa_float_denorm_mode_16_64 3
		.amdhsa_dx10_clamp 1
		.amdhsa_ieee_mode 1
		.amdhsa_fp16_overflow 0
		.amdhsa_exception_fp_ieee_invalid_op 0
		.amdhsa_exception_fp_denorm_src 0
		.amdhsa_exception_fp_ieee_div_zero 0
		.amdhsa_exception_fp_ieee_overflow 0
		.amdhsa_exception_fp_ieee_underflow 0
		.amdhsa_exception_fp_ieee_inexact 0
		.amdhsa_exception_int_div_zero 0
	.end_amdhsa_kernel
	.section	.text._Z11rank_kernelIhLj4ELb0EL18RadixRankAlgorithm1ELj128ELj4ELj10EEvPKT_Pi,"axG",@progbits,_Z11rank_kernelIhLj4ELb0EL18RadixRankAlgorithm1ELj128ELj4ELj10EEvPKT_Pi,comdat
.Lfunc_end49:
	.size	_Z11rank_kernelIhLj4ELb0EL18RadixRankAlgorithm1ELj128ELj4ELj10EEvPKT_Pi, .Lfunc_end49-_Z11rank_kernelIhLj4ELb0EL18RadixRankAlgorithm1ELj128ELj4ELj10EEvPKT_Pi
                                        ; -- End function
	.set _Z11rank_kernelIhLj4ELb0EL18RadixRankAlgorithm1ELj128ELj4ELj10EEvPKT_Pi.num_vgpr, 28
	.set _Z11rank_kernelIhLj4ELb0EL18RadixRankAlgorithm1ELj128ELj4ELj10EEvPKT_Pi.num_agpr, 0
	.set _Z11rank_kernelIhLj4ELb0EL18RadixRankAlgorithm1ELj128ELj4ELj10EEvPKT_Pi.numbered_sgpr, 42
	.set _Z11rank_kernelIhLj4ELb0EL18RadixRankAlgorithm1ELj128ELj4ELj10EEvPKT_Pi.num_named_barrier, 0
	.set _Z11rank_kernelIhLj4ELb0EL18RadixRankAlgorithm1ELj128ELj4ELj10EEvPKT_Pi.private_seg_size, 0
	.set _Z11rank_kernelIhLj4ELb0EL18RadixRankAlgorithm1ELj128ELj4ELj10EEvPKT_Pi.uses_vcc, 1
	.set _Z11rank_kernelIhLj4ELb0EL18RadixRankAlgorithm1ELj128ELj4ELj10EEvPKT_Pi.uses_flat_scratch, 0
	.set _Z11rank_kernelIhLj4ELb0EL18RadixRankAlgorithm1ELj128ELj4ELj10EEvPKT_Pi.has_dyn_sized_stack, 0
	.set _Z11rank_kernelIhLj4ELb0EL18RadixRankAlgorithm1ELj128ELj4ELj10EEvPKT_Pi.has_recursion, 0
	.set _Z11rank_kernelIhLj4ELb0EL18RadixRankAlgorithm1ELj128ELj4ELj10EEvPKT_Pi.has_indirect_call, 0
	.section	.AMDGPU.csdata,"",@progbits
; Kernel info:
; codeLenInByte = 1912
; TotalNumSgprs: 46
; NumVgprs: 28
; ScratchSize: 0
; MemoryBound: 0
; FloatMode: 240
; IeeeMode: 1
; LDSByteSize: 4104 bytes/workgroup (compile time only)
; SGPRBlocks: 8
; VGPRBlocks: 7
; NumSGPRsForWavesPerEU: 65
; NumVGPRsForWavesPerEU: 29
; Occupancy: 8
; WaveLimiterHint : 0
; COMPUTE_PGM_RSRC2:SCRATCH_EN: 0
; COMPUTE_PGM_RSRC2:USER_SGPR: 6
; COMPUTE_PGM_RSRC2:TRAP_HANDLER: 0
; COMPUTE_PGM_RSRC2:TGID_X_EN: 1
; COMPUTE_PGM_RSRC2:TGID_Y_EN: 0
; COMPUTE_PGM_RSRC2:TGID_Z_EN: 0
; COMPUTE_PGM_RSRC2:TIDIG_COMP_CNT: 0
	.section	.text._Z11rank_kernelIhLj4ELb0EL18RadixRankAlgorithm2ELj128ELj4ELj10EEvPKT_Pi,"axG",@progbits,_Z11rank_kernelIhLj4ELb0EL18RadixRankAlgorithm2ELj128ELj4ELj10EEvPKT_Pi,comdat
	.protected	_Z11rank_kernelIhLj4ELb0EL18RadixRankAlgorithm2ELj128ELj4ELj10EEvPKT_Pi ; -- Begin function _Z11rank_kernelIhLj4ELb0EL18RadixRankAlgorithm2ELj128ELj4ELj10EEvPKT_Pi
	.globl	_Z11rank_kernelIhLj4ELb0EL18RadixRankAlgorithm2ELj128ELj4ELj10EEvPKT_Pi
	.p2align	8
	.type	_Z11rank_kernelIhLj4ELb0EL18RadixRankAlgorithm2ELj128ELj4ELj10EEvPKT_Pi,@function
_Z11rank_kernelIhLj4ELb0EL18RadixRankAlgorithm2ELj128ELj4ELj10EEvPKT_Pi: ; @_Z11rank_kernelIhLj4ELb0EL18RadixRankAlgorithm2ELj128ELj4ELj10EEvPKT_Pi
; %bb.0:
	s_load_dwordx4 s[88:91], s[4:5], 0x0
	s_load_dword s33, s[4:5], 0x1c
	s_lshl_b32 s92, s6, 9
	v_lshlrev_b32_e32 v4, 2, v0
	v_mov_b32_e32 v3, 0
	s_waitcnt lgkmcnt(0)
	s_add_u32 s0, s88, s92
	s_addc_u32 s1, s89, 0
	global_load_dword v28, v4, s[0:1]
	v_mbcnt_lo_u32_b32 v5, -1, 0
	v_mbcnt_hi_u32_b32 v57, -1, v5
	v_mov_b32_e32 v9, v3
	v_mov_b32_e32 v14, 29
	;; [unrolled: 1-line block ×4, first 2 shown]
	v_and_b32_e32 v6, 15, v57
	s_lshr_b32 s8, s33, 16
	v_mov_b32_e32 v5, v3
	v_mov_b32_e32 v18, v3
	;; [unrolled: 1-line block ×4, first 2 shown]
	v_cmp_eq_u32_e64 s[0:1], 0, v6
	v_cmp_lt_u32_e64 s[2:3], 1, v6
	v_cmp_lt_u32_e64 s[4:5], 3, v6
	;; [unrolled: 1-line block ×3, first 2 shown]
	v_mad_u32_u24 v1, v2, s8, v1
	v_mov_b32_e32 v26, v3
	v_mov_b32_e32 v29, 1
	;; [unrolled: 1-line block ×3, first 2 shown]
	v_subrev_co_u32_e32 v30, vcc, 1, v57
	v_and_b32_e32 v31, 64, v57
	v_mov_b32_e32 v16, v3
	s_and_b32 s33, s33, 0xffff
	v_cmp_lt_i32_e64 s[64:65], v30, v31
	v_mov_b32_e32 v15, v3
	v_mov_b32_e32 v22, v3
	v_mad_u32_u24 v1, v1, s33, v0
	v_lshrrev_b32_e32 v1, 4, v1
	v_mov_b32_e32 v11, v3
	v_mov_b32_e32 v13, v3
	v_and_b32_e32 v54, 16, v57
	v_or_b32_e32 v61, 63, v0
	v_and_b32_e32 v81, 1, v57
	s_mov_b32 s93, 0
	s_mov_b32 s33, 10
	v_cmp_eq_u32_e64 s[84:85], 0, v81
	s_waitcnt vmcnt(0)
	v_lshlrev_b32_e32 v10, 28, v28
	v_lshlrev_b32_e32 v8, 29, v28
	v_lshrrev_b32_e32 v34, 16, v28
	v_cmp_gt_i64_e64 s[12:13], 0, v[9:10]
	v_not_b32_e32 v36, v10
	v_lshrrev_b32_e32 v10, 4, v28
	v_lshlrev_b32_e32 v6, 30, v28
	v_lshlrev_b32_sdwa v19, v14, v28 dst_sel:DWORD dst_unused:UNUSED_PAD src0_sel:DWORD src1_sel:BYTE_3
	v_lshrrev_b32_e32 v32, 8, v28
	v_and_b32_e32 v2, 1, v28
	v_lshlrev_b32_sdwa v27, v21, v28 dst_sel:DWORD dst_unused:UNUSED_PAD src0_sel:DWORD src1_sel:BYTE_3
	v_cmp_gt_i64_e64 s[10:11], 0, v[7:8]
	v_not_b32_e32 v35, v8
	v_lshlrev_b32_e32 v21, 30, v34
	v_lshlrev_b32_e32 v25, 28, v34
	;; [unrolled: 1-line block ×3, first 2 shown]
	v_mov_b32_e32 v8, v3
	v_cmp_gt_i64_e64 s[8:9], 0, v[5:6]
	v_cmp_gt_i64_e64 s[16:17], 0, v[18:19]
	v_not_b32_e32 v38, v19
	v_cmp_ne_u64_e64 s[18:19], 0, v[2:3]
	v_add_co_u32_e64 v5, s[68:69], -1, v2
	v_and_b32_e32 v2, 1, v32
	v_cmp_gt_i64_e64 s[28:29], 0, v[20:21]
	v_not_b32_e32 v19, v21
	v_cmp_gt_i64_e64 s[34:35], 0, v[24:25]
	v_not_b32_e32 v21, v25
	;; [unrolled: 2-line block ×3, first 2 shown]
	v_lshlrev_b32_e32 v9, 29, v10
	v_not_b32_e32 v33, v6
	v_cmp_gt_i64_e64 s[20:21], 0, v[26:27]
	v_not_b32_e32 v26, v27
	v_cmp_ne_u64_e64 s[36:37], 0, v[2:3]
	v_add_co_u32_e64 v6, s[72:73], -1, v2
	v_and_b32_e32 v2, 1, v34
	v_cmp_gt_i64_e64 s[42:43], 0, v[8:9]
	v_not_b32_e32 v27, v9
	v_lshlrev_b32_e32 v9, 28, v10
	v_lshrrev_b32_e32 v10, 4, v32
	v_cmp_ne_u64_e64 s[38:39], 0, v[2:3]
	v_add_co_u32_e64 v7, s[74:75], -1, v2
	v_and_b32_sdwa v2, v28, v29 dst_sel:DWORD dst_unused:UNUSED_PAD src0_sel:BYTE_3 src1_sel:DWORD
	v_cmp_gt_i64_e64 s[44:45], 0, v[8:9]
	v_not_b32_e32 v29, v9
	v_lshlrev_b32_e32 v9, 30, v10
	v_cmp_gt_i64_e64 s[46:47], 0, v[8:9]
	v_not_b32_e32 v39, v9
	v_lshlrev_b32_e32 v9, 29, v10
	;; [unrolled: 3-line block ×3, first 2 shown]
	v_lshrrev_b32_e32 v10, 4, v34
	v_cmp_gt_i64_e64 s[50:51], 0, v[8:9]
	v_not_b32_e32 v41, v9
	v_lshlrev_b32_e32 v9, 30, v10
	v_cmp_gt_i64_e64 s[52:53], 0, v[8:9]
	v_not_b32_e32 v42, v9
	v_lshlrev_b32_e32 v9, 29, v10
	;; [unrolled: 3-line block ×3, first 2 shown]
	v_lshrrev_b32_e32 v45, 28, v28
	v_cmp_gt_i64_e64 s[56:57], 0, v[8:9]
	v_not_b32_e32 v44, v9
	v_lshlrev_b32_e32 v9, 30, v45
	v_cmp_gt_i64_e64 s[58:59], 0, v[8:9]
	v_not_b32_e32 v46, v9
	v_lshlrev_b32_e32 v9, 29, v45
	v_lshlrev_b32_sdwa v17, v12, v28 dst_sel:DWORD dst_unused:UNUSED_PAD src0_sel:DWORD src1_sel:BYTE_3
	v_lshlrev_b32_e32 v14, 29, v32
	v_lshlrev_b32_e32 v23, 29, v34
	v_cmp_gt_i64_e64 s[60:61], 0, v[8:9]
	v_not_b32_e32 v47, v9
	v_lshlrev_b32_e32 v9, 28, v45
	v_cmp_gt_i64_e64 s[14:15], 0, v[16:17]
	v_lshlrev_b32_e32 v16, 28, v32
	v_not_b32_e32 v18, v14
	v_not_b32_e32 v20, v23
	v_cmp_gt_i64_e64 s[62:63], 0, v[8:9]
	v_cndmask_b32_e64 v8, v30, v57, s[64:65]
	v_cmp_gt_i64_e64 s[26:27], 0, v[15:16]
	v_cmp_gt_i64_e64 s[30:31], 0, v[22:23]
	v_not_b32_e32 v48, v9
	v_lshlrev_b32_e32 v9, 2, v8
	v_lshrrev_b32_e32 v8, 4, v0
	v_ashrrev_i32_e32 v15, 31, v18
	v_ashrrev_i32_e32 v18, 31, v20
	v_mov_b32_e32 v20, 15
	v_cmp_ne_u64_e64 s[64:65], 0, v[2:3]
	v_ashrrev_i32_e32 v23, 31, v26
	v_add_co_u32_e64 v24, s[76:77], -1, v2
	v_bfe_u32 v2, v28, 4, 1
	v_ashrrev_i32_e32 v26, 31, v27
	v_ashrrev_i32_e32 v27, 31, v29
	v_bfe_u32 v29, v32, 4, 4
	v_lshlrev_b32_e32 v12, 30, v32
	v_and_b32_e32 v10, 4, v8
	v_and_b32_e32 v8, 0xffffffc, v1
	;; [unrolled: 1-line block ×3, first 2 shown]
	v_and_b32_sdwa v20, v28, v20 dst_sel:DWORD dst_unused:UNUSED_PAD src0_sel:BYTE_3 src1_sel:DWORD
	v_bfe_u32 v22, v28, 4, 4
	v_cmp_ne_u64_e64 s[66:67], 0, v[2:3]
	v_add_co_u32_e64 v28, s[78:79], -1, v2
	v_bfe_u32 v2, v32, 4, 1
	v_mul_u32_u24_e32 v52, 12, v29
	v_addc_co_u32_e64 v29, s[68:69], 0, -1, s[68:69]
	v_not_b32_e32 v37, v17
	v_cmp_gt_i64_e64 s[22:23], 0, v[11:12]
	v_ashrrev_i32_e32 v11, 31, v33
	v_cmp_ne_u64_e64 s[68:69], 0, v[2:3]
	v_add_co_u32_e64 v33, s[80:81], -1, v2
	v_bfe_u32 v2, v34, 4, 1
	v_mul_u32_u24_e32 v51, 12, v20
	v_ashrrev_i32_e32 v20, 31, v37
	v_add_co_u32_e64 v37, s[82:83], -1, v2
	v_cmp_ne_u64_e64 s[70:71], 0, v[2:3]
	v_and_b32_e32 v2, 1, v45
	v_addc_co_u32_e64 v72, s[82:83], 0, -1, s[82:83]
	v_not_b32_e32 v17, v12
	v_cmp_gt_i64_e64 s[24:25], 0, v[13:14]
	v_and_b32_e32 v14, 15, v32
	v_add_co_u32_e64 v76, s[82:83], -1, v2
	v_not_b32_e32 v16, v16
	v_mul_u32_u24_e32 v49, 12, v14
	v_ashrrev_i32_e32 v14, 31, v17
	v_and_b32_e32 v17, 15, v34
	v_bfe_u32 v34, v34, 4, 4
	v_addc_co_u32_e64 v77, s[82:83], 0, -1, s[82:83]
	v_ashrrev_i32_e32 v12, 31, v35
	v_ashrrev_i32_e32 v13, 31, v36
	v_mul_u32_u24_e32 v1, 12, v1
	v_ashrrev_i32_e32 v16, 31, v16
	v_mul_u32_u24_e32 v50, 12, v17
	v_ashrrev_i32_e32 v17, 31, v19
	v_ashrrev_i32_e32 v19, 31, v21
	;; [unrolled: 1-line block ×7, first 2 shown]
	v_mul_u32_u24_e32 v53, 12, v34
	v_ashrrev_i32_e32 v34, 31, v42
	v_ashrrev_i32_e32 v35, 31, v43
	;; [unrolled: 1-line block ×3, first 2 shown]
	v_mul_u32_u24_e32 v43, 12, v45
	v_ashrrev_i32_e32 v38, 31, v46
	v_ashrrev_i32_e32 v39, 31, v47
	;; [unrolled: 1-line block ×3, first 2 shown]
	v_add_u32_e32 v41, v8, v52
	v_addc_co_u32_e64 v52, s[72:73], 0, -1, s[72:73]
	v_addc_co_u32_e64 v56, s[74:75], 0, -1, s[74:75]
	;; [unrolled: 1-line block ×5, first 2 shown]
	v_cmp_ne_u64_e64 s[82:83], 0, v[2:3]
	v_mul_u32_u24_e32 v22, 12, v22
	v_add_u32_e32 v44, v8, v1
	v_add_u32_e32 v45, v8, v49
	;; [unrolled: 1-line block ×6, first 2 shown]
	v_add_u32_e32 v48, -4, v10
	v_mov_b32_e32 v49, v11
	v_mov_b32_e32 v50, v12
	;; [unrolled: 1-line block ×3, first 2 shown]
	v_cmp_eq_u32_e64 s[72:73], 0, v54
	v_mov_b32_e32 v53, v14
	v_mov_b32_e32 v54, v15
	;; [unrolled: 1-line block ×3, first 2 shown]
	v_cmp_lt_u32_e64 s[74:75], 31, v57
	v_mov_b32_e32 v57, v17
	v_mov_b32_e32 v58, v18
	;; [unrolled: 1-line block ×3, first 2 shown]
	v_cmp_eq_u32_e64 s[76:77], v0, v61
	v_mov_b32_e32 v61, v20
	v_mov_b32_e32 v62, v21
	;; [unrolled: 1-line block ×3, first 2 shown]
	v_cmp_gt_u32_e64 s[78:79], 2, v0
	v_mov_b32_e32 v65, v25
	v_mov_b32_e32 v66, v26
	;; [unrolled: 1-line block ×3, first 2 shown]
	v_cmp_lt_u32_e64 s[80:81], 63, v0
	v_mov_b32_e32 v69, v30
	v_mov_b32_e32 v70, v31
	;; [unrolled: 1-line block ×9, first 2 shown]
	s_branch .LBB50_2
.LBB50_1:                               ;   in Loop: Header=BB50_2 Depth=1
	s_or_b64 exec, exec, s[86:87]
	s_waitcnt lgkmcnt(0)
	v_add_u32_e32 v0, v1, v0
	ds_bpermute_b32 v0, v9, v0
	s_add_i32 s33, s33, -1
	s_cmp_eq_u32 s33, 0
	s_waitcnt lgkmcnt(0)
	v_cndmask_b32_e32 v0, v0, v1, vcc
	ds_write_b32 v4, v0 offset:8
	s_waitcnt lgkmcnt(0)
	s_barrier
	s_cbranch_scc1 .LBB50_30
.LBB50_2:                               ; =>This Inner Loop Header: Depth=1
	v_cndmask_b32_e64 v0, 0, 1, s[18:19]
	v_cmp_ne_u32_e64 s[86:87], 0, v0
	v_cndmask_b32_e64 v2, 0, 1, s[8:9]
	v_xor_b32_e32 v0, s87, v29
	v_xor_b32_e32 v1, s86, v5
	v_cmp_ne_u32_e64 s[86:87], 0, v2
	v_and_b32_e32 v0, exec_hi, v0
	v_xor_b32_e32 v2, s87, v49
	v_and_b32_e32 v0, v0, v2
	v_cndmask_b32_e64 v2, 0, 1, s[10:11]
	v_and_b32_e32 v1, exec_lo, v1
	v_xor_b32_e32 v81, s86, v11
	v_cmp_ne_u32_e64 s[86:87], 0, v2
	v_and_b32_e32 v1, v1, v81
	v_xor_b32_e32 v2, s87, v50
	v_xor_b32_e32 v81, s86, v12
	v_and_b32_e32 v0, v0, v2
	v_and_b32_e32 v2, v1, v81
	v_cndmask_b32_e64 v1, 0, 1, s[12:13]
	v_cmp_ne_u32_e64 s[86:87], 0, v1
	v_xor_b32_e32 v1, s87, v51
	v_xor_b32_e32 v81, s86, v13
	v_and_b32_e32 v1, v0, v1
	v_and_b32_e32 v0, v2, v81
	v_mbcnt_lo_u32_b32 v2, v0, 0
	v_mbcnt_hi_u32_b32 v2, v1, v2
	v_cmp_ne_u64_e64 s[86:87], 0, v[0:1]
	v_cmp_eq_u32_e64 s[88:89], 0, v2
	s_and_b64 s[88:89], s[86:87], s[88:89]
	ds_write_b32 v4, v3 offset:8
	s_waitcnt lgkmcnt(0)
	s_barrier
	; wave barrier
	s_and_saveexec_b64 s[86:87], s[88:89]
; %bb.3:                                ;   in Loop: Header=BB50_2 Depth=1
	v_bcnt_u32_b32 v0, v0, 0
	v_bcnt_u32_b32 v0, v1, v0
	ds_write_b32 v44, v0 offset:8
; %bb.4:                                ;   in Loop: Header=BB50_2 Depth=1
	s_or_b64 exec, exec, s[86:87]
	v_cndmask_b32_e64 v0, 0, 1, s[36:37]
	v_cmp_ne_u32_e64 s[86:87], 0, v0
	v_cndmask_b32_e64 v81, 0, 1, s[22:23]
	v_xor_b32_e32 v0, s87, v52
	v_xor_b32_e32 v1, s86, v6
	v_cmp_ne_u32_e64 s[86:87], 0, v81
	v_and_b32_e32 v0, exec_hi, v0
	v_xor_b32_e32 v81, s87, v53
	v_and_b32_e32 v0, v0, v81
	v_cndmask_b32_e64 v81, 0, 1, s[24:25]
	v_and_b32_e32 v1, exec_lo, v1
	v_xor_b32_e32 v82, s86, v14
	v_cmp_ne_u32_e64 s[86:87], 0, v81
	v_and_b32_e32 v1, v1, v82
	v_xor_b32_e32 v81, s87, v54
	v_xor_b32_e32 v82, s86, v15
	v_and_b32_e32 v0, v0, v81
	v_and_b32_e32 v81, v1, v82
	v_cndmask_b32_e64 v1, 0, 1, s[26:27]
	v_cmp_ne_u32_e64 s[86:87], 0, v1
	v_xor_b32_e32 v1, s87, v55
	v_xor_b32_e32 v82, s86, v16
	; wave barrier
	ds_read_b32 v2, v45 offset:8
	v_and_b32_e32 v1, v0, v1
	v_and_b32_e32 v0, v81, v82
	v_mbcnt_lo_u32_b32 v81, v0, 0
	v_mbcnt_hi_u32_b32 v81, v1, v81
	v_cmp_ne_u64_e64 s[86:87], 0, v[0:1]
	v_cmp_eq_u32_e64 s[88:89], 0, v81
	s_and_b64 s[88:89], s[86:87], s[88:89]
	; wave barrier
	s_and_saveexec_b64 s[86:87], s[88:89]
	s_cbranch_execz .LBB50_6
; %bb.5:                                ;   in Loop: Header=BB50_2 Depth=1
	v_bcnt_u32_b32 v0, v0, 0
	v_bcnt_u32_b32 v0, v1, v0
	s_waitcnt lgkmcnt(0)
	v_add_u32_e32 v0, v2, v0
	ds_write_b32 v45, v0 offset:8
.LBB50_6:                               ;   in Loop: Header=BB50_2 Depth=1
	s_or_b64 exec, exec, s[86:87]
	v_cndmask_b32_e64 v0, 0, 1, s[38:39]
	v_cmp_ne_u32_e64 s[86:87], 0, v0
	v_cndmask_b32_e64 v81, 0, 1, s[28:29]
	v_xor_b32_e32 v0, s87, v56
	v_xor_b32_e32 v1, s86, v7
	v_cmp_ne_u32_e64 s[86:87], 0, v81
	v_and_b32_e32 v0, exec_hi, v0
	v_xor_b32_e32 v81, s87, v57
	v_and_b32_e32 v0, v0, v81
	v_cndmask_b32_e64 v81, 0, 1, s[30:31]
	v_and_b32_e32 v1, exec_lo, v1
	v_xor_b32_e32 v82, s86, v17
	v_cmp_ne_u32_e64 s[86:87], 0, v81
	v_and_b32_e32 v1, v1, v82
	v_xor_b32_e32 v81, s87, v58
	v_xor_b32_e32 v82, s86, v18
	v_and_b32_e32 v0, v0, v81
	v_and_b32_e32 v81, v1, v82
	v_cndmask_b32_e64 v1, 0, 1, s[34:35]
	v_cmp_ne_u32_e64 s[86:87], 0, v1
	v_xor_b32_e32 v1, s87, v59
	v_xor_b32_e32 v82, s86, v19
	; wave barrier
	s_waitcnt lgkmcnt(0)
	ds_read_b32 v2, v46 offset:8
	v_and_b32_e32 v1, v0, v1
	v_and_b32_e32 v0, v81, v82
	v_mbcnt_lo_u32_b32 v81, v0, 0
	v_mbcnt_hi_u32_b32 v81, v1, v81
	v_cmp_ne_u64_e64 s[86:87], 0, v[0:1]
	v_cmp_eq_u32_e64 s[88:89], 0, v81
	s_and_b64 s[88:89], s[86:87], s[88:89]
	; wave barrier
	s_and_saveexec_b64 s[86:87], s[88:89]
	s_cbranch_execz .LBB50_8
; %bb.7:                                ;   in Loop: Header=BB50_2 Depth=1
	v_bcnt_u32_b32 v0, v0, 0
	v_bcnt_u32_b32 v0, v1, v0
	s_waitcnt lgkmcnt(0)
	v_add_u32_e32 v0, v2, v0
	ds_write_b32 v46, v0 offset:8
.LBB50_8:                               ;   in Loop: Header=BB50_2 Depth=1
	s_or_b64 exec, exec, s[86:87]
	v_cndmask_b32_e64 v0, 0, 1, s[64:65]
	v_cmp_ne_u32_e64 s[86:87], 0, v0
	v_cndmask_b32_e64 v81, 0, 1, s[14:15]
	v_xor_b32_e32 v0, s87, v60
	v_xor_b32_e32 v1, s86, v24
	v_cmp_ne_u32_e64 s[86:87], 0, v81
	v_and_b32_e32 v0, exec_hi, v0
	v_xor_b32_e32 v81, s87, v61
	v_and_b32_e32 v0, v0, v81
	v_cndmask_b32_e64 v81, 0, 1, s[16:17]
	v_and_b32_e32 v1, exec_lo, v1
	v_xor_b32_e32 v82, s86, v20
	v_cmp_ne_u32_e64 s[86:87], 0, v81
	v_and_b32_e32 v1, v1, v82
	v_xor_b32_e32 v81, s87, v62
	v_xor_b32_e32 v82, s86, v21
	v_and_b32_e32 v0, v0, v81
	v_and_b32_e32 v81, v1, v82
	v_cndmask_b32_e64 v1, 0, 1, s[20:21]
	v_cmp_ne_u32_e64 s[86:87], 0, v1
	v_xor_b32_e32 v1, s87, v63
	v_xor_b32_e32 v82, s86, v23
	; wave barrier
	s_waitcnt lgkmcnt(0)
	ds_read_b32 v2, v47 offset:8
	v_and_b32_e32 v1, v0, v1
	v_and_b32_e32 v0, v81, v82
	v_mbcnt_lo_u32_b32 v81, v0, 0
	v_mbcnt_hi_u32_b32 v81, v1, v81
	v_cmp_ne_u64_e64 s[86:87], 0, v[0:1]
	v_cmp_eq_u32_e64 s[88:89], 0, v81
	s_and_b64 s[88:89], s[86:87], s[88:89]
	; wave barrier
	s_and_saveexec_b64 s[86:87], s[88:89]
	s_cbranch_execz .LBB50_10
; %bb.9:                                ;   in Loop: Header=BB50_2 Depth=1
	v_bcnt_u32_b32 v0, v0, 0
	v_bcnt_u32_b32 v0, v1, v0
	s_waitcnt lgkmcnt(0)
	v_add_u32_e32 v0, v2, v0
	ds_write_b32 v47, v0 offset:8
.LBB50_10:                              ;   in Loop: Header=BB50_2 Depth=1
	s_or_b64 exec, exec, s[86:87]
	; wave barrier
	s_waitcnt lgkmcnt(0)
	s_barrier
	ds_read_b32 v0, v4 offset:8
	s_waitcnt lgkmcnt(0)
	s_nop 0
	v_mov_b32_dpp v1, v0 row_shr:1 row_mask:0xf bank_mask:0xf
	v_cndmask_b32_e64 v1, v1, 0, s[0:1]
	v_add_u32_e32 v0, v1, v0
	s_nop 1
	v_mov_b32_dpp v1, v0 row_shr:2 row_mask:0xf bank_mask:0xf
	v_cndmask_b32_e64 v1, 0, v1, s[2:3]
	v_add_u32_e32 v0, v0, v1
	;; [unrolled: 4-line block ×4, first 2 shown]
	s_nop 1
	v_mov_b32_dpp v1, v0 row_bcast:15 row_mask:0xf bank_mask:0xf
	v_cndmask_b32_e64 v1, v1, 0, s[72:73]
	v_add_u32_e32 v0, v0, v1
	s_nop 1
	v_mov_b32_dpp v1, v0 row_bcast:31 row_mask:0xf bank_mask:0xf
	v_cndmask_b32_e64 v1, 0, v1, s[74:75]
	v_add_u32_e32 v0, v0, v1
	s_and_saveexec_b64 s[86:87], s[76:77]
; %bb.11:                               ;   in Loop: Header=BB50_2 Depth=1
	ds_write_b32 v10, v0
; %bb.12:                               ;   in Loop: Header=BB50_2 Depth=1
	s_or_b64 exec, exec, s[86:87]
	s_waitcnt lgkmcnt(0)
	s_barrier
	s_and_saveexec_b64 s[86:87], s[78:79]
	s_cbranch_execz .LBB50_14
; %bb.13:                               ;   in Loop: Header=BB50_2 Depth=1
	ds_read_b32 v1, v4
	s_waitcnt lgkmcnt(0)
	s_nop 0
	v_mov_b32_dpp v2, v1 row_shr:1 row_mask:0xf bank_mask:0xf
	v_cndmask_b32_e64 v2, v2, 0, s[84:85]
	v_add_u32_e32 v1, v2, v1
	ds_write_b32 v4, v1
.LBB50_14:                              ;   in Loop: Header=BB50_2 Depth=1
	s_or_b64 exec, exec, s[86:87]
	v_mov_b32_e32 v1, 0
	s_waitcnt lgkmcnt(0)
	s_barrier
	s_and_saveexec_b64 s[86:87], s[80:81]
; %bb.15:                               ;   in Loop: Header=BB50_2 Depth=1
	ds_read_b32 v1, v48
; %bb.16:                               ;   in Loop: Header=BB50_2 Depth=1
	s_or_b64 exec, exec, s[86:87]
	s_waitcnt lgkmcnt(0)
	v_add_u32_e32 v0, v1, v0
	ds_bpermute_b32 v0, v9, v0
	v_cndmask_b32_e64 v2, 0, 1, s[40:41]
	s_waitcnt lgkmcnt(0)
	v_cndmask_b32_e32 v0, v0, v1, vcc
	ds_write_b32 v4, v0 offset:8
	v_cndmask_b32_e64 v0, 0, 1, s[66:67]
	v_cmp_ne_u32_e64 s[86:87], 0, v0
	v_xor_b32_e32 v0, s87, v64
	v_xor_b32_e32 v1, s86, v28
	v_cmp_ne_u32_e64 s[86:87], 0, v2
	v_and_b32_e32 v0, exec_hi, v0
	v_xor_b32_e32 v2, s87, v65
	v_and_b32_e32 v0, v0, v2
	v_cndmask_b32_e64 v2, 0, 1, s[42:43]
	v_and_b32_e32 v1, exec_lo, v1
	v_xor_b32_e32 v81, s86, v25
	v_cmp_ne_u32_e64 s[86:87], 0, v2
	v_and_b32_e32 v1, v1, v81
	v_xor_b32_e32 v2, s87, v66
	v_xor_b32_e32 v81, s86, v26
	v_and_b32_e32 v0, v0, v2
	v_and_b32_e32 v2, v1, v81
	v_cndmask_b32_e64 v1, 0, 1, s[44:45]
	v_cmp_ne_u32_e64 s[86:87], 0, v1
	v_xor_b32_e32 v1, s87, v67
	v_xor_b32_e32 v81, s86, v27
	v_and_b32_e32 v1, v0, v1
	v_and_b32_e32 v0, v2, v81
	v_mbcnt_lo_u32_b32 v2, v0, 0
	v_mbcnt_hi_u32_b32 v2, v1, v2
	v_cmp_ne_u64_e64 s[86:87], 0, v[0:1]
	v_cmp_eq_u32_e64 s[88:89], 0, v2
	s_and_b64 s[88:89], s[86:87], s[88:89]
	s_waitcnt lgkmcnt(0)
	s_barrier
	ds_write_b32 v4, v3 offset:8
	s_waitcnt lgkmcnt(0)
	s_barrier
	; wave barrier
	s_and_saveexec_b64 s[86:87], s[88:89]
; %bb.17:                               ;   in Loop: Header=BB50_2 Depth=1
	v_bcnt_u32_b32 v0, v0, 0
	v_bcnt_u32_b32 v0, v1, v0
	v_add_u32_e32 v1, v8, v22
	ds_write_b32 v1, v0 offset:8
; %bb.18:                               ;   in Loop: Header=BB50_2 Depth=1
	s_or_b64 exec, exec, s[86:87]
	v_cndmask_b32_e64 v0, 0, 1, s[68:69]
	v_cmp_ne_u32_e64 s[86:87], 0, v0
	v_cndmask_b32_e64 v82, 0, 1, s[46:47]
	v_xor_b32_e32 v0, s87, v68
	v_xor_b32_e32 v1, s86, v33
	v_cmp_ne_u32_e64 s[86:87], 0, v82
	v_and_b32_e32 v0, exec_hi, v0
	v_xor_b32_e32 v82, s87, v69
	v_and_b32_e32 v0, v0, v82
	v_cndmask_b32_e64 v82, 0, 1, s[48:49]
	v_and_b32_e32 v1, exec_lo, v1
	v_xor_b32_e32 v83, s86, v30
	v_cmp_ne_u32_e64 s[86:87], 0, v82
	v_and_b32_e32 v1, v1, v83
	v_xor_b32_e32 v82, s87, v70
	v_xor_b32_e32 v83, s86, v31
	v_and_b32_e32 v0, v0, v82
	v_and_b32_e32 v82, v1, v83
	v_cndmask_b32_e64 v1, 0, 1, s[50:51]
	v_cmp_ne_u32_e64 s[86:87], 0, v1
	v_xor_b32_e32 v1, s87, v71
	v_xor_b32_e32 v83, s86, v32
	; wave barrier
	ds_read_b32 v81, v41 offset:8
	v_and_b32_e32 v1, v0, v1
	v_and_b32_e32 v0, v82, v83
	v_mbcnt_lo_u32_b32 v82, v0, 0
	v_mbcnt_hi_u32_b32 v82, v1, v82
	v_cmp_ne_u64_e64 s[86:87], 0, v[0:1]
	v_cmp_eq_u32_e64 s[88:89], 0, v82
	s_and_b64 s[88:89], s[86:87], s[88:89]
	; wave barrier
	s_and_saveexec_b64 s[86:87], s[88:89]
	s_cbranch_execz .LBB50_20
; %bb.19:                               ;   in Loop: Header=BB50_2 Depth=1
	v_bcnt_u32_b32 v0, v0, 0
	v_bcnt_u32_b32 v0, v1, v0
	s_waitcnt lgkmcnt(0)
	v_add_u32_e32 v0, v81, v0
	ds_write_b32 v41, v0 offset:8
.LBB50_20:                              ;   in Loop: Header=BB50_2 Depth=1
	s_or_b64 exec, exec, s[86:87]
	v_cndmask_b32_e64 v0, 0, 1, s[70:71]
	v_cmp_ne_u32_e64 s[86:87], 0, v0
	v_cndmask_b32_e64 v84, 0, 1, s[52:53]
	v_xor_b32_e32 v0, s87, v72
	v_xor_b32_e32 v1, s86, v37
	v_cmp_ne_u32_e64 s[86:87], 0, v84
	v_and_b32_e32 v0, exec_hi, v0
	v_xor_b32_e32 v84, s87, v73
	v_and_b32_e32 v0, v0, v84
	v_cndmask_b32_e64 v84, 0, 1, s[54:55]
	v_and_b32_e32 v1, exec_lo, v1
	v_xor_b32_e32 v85, s86, v34
	v_cmp_ne_u32_e64 s[86:87], 0, v84
	v_and_b32_e32 v1, v1, v85
	v_xor_b32_e32 v84, s87, v74
	v_xor_b32_e32 v85, s86, v35
	v_and_b32_e32 v0, v0, v84
	v_and_b32_e32 v84, v1, v85
	v_cndmask_b32_e64 v1, 0, 1, s[56:57]
	v_cmp_ne_u32_e64 s[86:87], 0, v1
	v_xor_b32_e32 v1, s87, v75
	v_xor_b32_e32 v85, s86, v36
	; wave barrier
	ds_read_b32 v83, v42 offset:8
	v_and_b32_e32 v1, v0, v1
	v_and_b32_e32 v0, v84, v85
	v_mbcnt_lo_u32_b32 v84, v0, 0
	v_mbcnt_hi_u32_b32 v84, v1, v84
	v_cmp_ne_u64_e64 s[86:87], 0, v[0:1]
	v_cmp_eq_u32_e64 s[88:89], 0, v84
	s_and_b64 s[88:89], s[86:87], s[88:89]
	; wave barrier
	s_and_saveexec_b64 s[86:87], s[88:89]
	s_cbranch_execz .LBB50_22
; %bb.21:                               ;   in Loop: Header=BB50_2 Depth=1
	v_bcnt_u32_b32 v0, v0, 0
	v_bcnt_u32_b32 v0, v1, v0
	s_waitcnt lgkmcnt(0)
	v_add_u32_e32 v0, v83, v0
	ds_write_b32 v42, v0 offset:8
.LBB50_22:                              ;   in Loop: Header=BB50_2 Depth=1
	;; [unrolled: 42-line block ×3, first 2 shown]
	s_or_b64 exec, exec, s[86:87]
	; wave barrier
	s_waitcnt lgkmcnt(0)
	s_barrier
	ds_read_b32 v0, v4 offset:8
	s_waitcnt lgkmcnt(0)
	s_nop 0
	v_mov_b32_dpp v1, v0 row_shr:1 row_mask:0xf bank_mask:0xf
	v_cndmask_b32_e64 v1, v1, 0, s[0:1]
	v_add_u32_e32 v0, v1, v0
	s_nop 1
	v_mov_b32_dpp v1, v0 row_shr:2 row_mask:0xf bank_mask:0xf
	v_cndmask_b32_e64 v1, 0, v1, s[2:3]
	v_add_u32_e32 v0, v0, v1
	;; [unrolled: 4-line block ×4, first 2 shown]
	s_nop 1
	v_mov_b32_dpp v1, v0 row_bcast:15 row_mask:0xf bank_mask:0xf
	v_cndmask_b32_e64 v1, v1, 0, s[72:73]
	v_add_u32_e32 v0, v0, v1
	s_nop 1
	v_mov_b32_dpp v1, v0 row_bcast:31 row_mask:0xf bank_mask:0xf
	v_cndmask_b32_e64 v1, 0, v1, s[74:75]
	v_add_u32_e32 v0, v0, v1
	s_and_saveexec_b64 s[86:87], s[76:77]
; %bb.25:                               ;   in Loop: Header=BB50_2 Depth=1
	ds_write_b32 v10, v0
; %bb.26:                               ;   in Loop: Header=BB50_2 Depth=1
	s_or_b64 exec, exec, s[86:87]
	s_waitcnt lgkmcnt(0)
	s_barrier
	s_and_saveexec_b64 s[86:87], s[78:79]
	s_cbranch_execz .LBB50_28
; %bb.27:                               ;   in Loop: Header=BB50_2 Depth=1
	ds_read_b32 v1, v4
	s_waitcnt lgkmcnt(0)
	s_nop 0
	v_mov_b32_dpp v87, v1 row_shr:1 row_mask:0xf bank_mask:0xf
	v_cndmask_b32_e64 v87, v87, 0, s[84:85]
	v_add_u32_e32 v1, v87, v1
	ds_write_b32 v4, v1
.LBB50_28:                              ;   in Loop: Header=BB50_2 Depth=1
	s_or_b64 exec, exec, s[86:87]
	v_mov_b32_e32 v1, 0
	s_waitcnt lgkmcnt(0)
	s_barrier
	s_and_saveexec_b64 s[86:87], s[80:81]
	s_cbranch_execz .LBB50_1
; %bb.29:                               ;   in Loop: Header=BB50_2 Depth=1
	ds_read_b32 v1, v48
	s_branch .LBB50_1
.LBB50_30:
	v_add_u32_e32 v0, v8, v22
	ds_read_b32 v0, v0 offset:8
	ds_read_b32 v1, v41 offset:8
	ds_read_b32 v3, v42 offset:8
	ds_read_b32 v5, v43 offset:8
	s_lshl_b64 s[0:1], s[92:93], 2
	s_add_u32 s0, s90, s0
	s_waitcnt lgkmcnt(3)
	v_add_u32_e32 v0, v0, v2
	s_waitcnt lgkmcnt(2)
	v_add3_u32 v1, v82, v81, v1
	s_waitcnt lgkmcnt(1)
	v_add3_u32 v2, v84, v83, v3
	;; [unrolled: 2-line block ×3, first 2 shown]
	s_addc_u32 s1, s91, s1
	v_lshlrev_b32_e32 v4, 2, v4
	global_store_dwordx4 v4, v[0:3], s[0:1]
	s_endpgm
	.section	.rodata,"a",@progbits
	.p2align	6, 0x0
	.amdhsa_kernel _Z11rank_kernelIhLj4ELb0EL18RadixRankAlgorithm2ELj128ELj4ELj10EEvPKT_Pi
		.amdhsa_group_segment_fixed_size 520
		.amdhsa_private_segment_fixed_size 0
		.amdhsa_kernarg_size 272
		.amdhsa_user_sgpr_count 6
		.amdhsa_user_sgpr_private_segment_buffer 1
		.amdhsa_user_sgpr_dispatch_ptr 0
		.amdhsa_user_sgpr_queue_ptr 0
		.amdhsa_user_sgpr_kernarg_segment_ptr 1
		.amdhsa_user_sgpr_dispatch_id 0
		.amdhsa_user_sgpr_flat_scratch_init 0
		.amdhsa_user_sgpr_private_segment_size 0
		.amdhsa_uses_dynamic_stack 0
		.amdhsa_system_sgpr_private_segment_wavefront_offset 0
		.amdhsa_system_sgpr_workgroup_id_x 1
		.amdhsa_system_sgpr_workgroup_id_y 0
		.amdhsa_system_sgpr_workgroup_id_z 0
		.amdhsa_system_sgpr_workgroup_info 0
		.amdhsa_system_vgpr_workitem_id 2
		.amdhsa_next_free_vgpr 88
		.amdhsa_next_free_sgpr 94
		.amdhsa_reserve_vcc 1
		.amdhsa_reserve_flat_scratch 0
		.amdhsa_float_round_mode_32 0
		.amdhsa_float_round_mode_16_64 0
		.amdhsa_float_denorm_mode_32 3
		.amdhsa_float_denorm_mode_16_64 3
		.amdhsa_dx10_clamp 1
		.amdhsa_ieee_mode 1
		.amdhsa_fp16_overflow 0
		.amdhsa_exception_fp_ieee_invalid_op 0
		.amdhsa_exception_fp_denorm_src 0
		.amdhsa_exception_fp_ieee_div_zero 0
		.amdhsa_exception_fp_ieee_overflow 0
		.amdhsa_exception_fp_ieee_underflow 0
		.amdhsa_exception_fp_ieee_inexact 0
		.amdhsa_exception_int_div_zero 0
	.end_amdhsa_kernel
	.section	.text._Z11rank_kernelIhLj4ELb0EL18RadixRankAlgorithm2ELj128ELj4ELj10EEvPKT_Pi,"axG",@progbits,_Z11rank_kernelIhLj4ELb0EL18RadixRankAlgorithm2ELj128ELj4ELj10EEvPKT_Pi,comdat
.Lfunc_end50:
	.size	_Z11rank_kernelIhLj4ELb0EL18RadixRankAlgorithm2ELj128ELj4ELj10EEvPKT_Pi, .Lfunc_end50-_Z11rank_kernelIhLj4ELb0EL18RadixRankAlgorithm2ELj128ELj4ELj10EEvPKT_Pi
                                        ; -- End function
	.set _Z11rank_kernelIhLj4ELb0EL18RadixRankAlgorithm2ELj128ELj4ELj10EEvPKT_Pi.num_vgpr, 88
	.set _Z11rank_kernelIhLj4ELb0EL18RadixRankAlgorithm2ELj128ELj4ELj10EEvPKT_Pi.num_agpr, 0
	.set _Z11rank_kernelIhLj4ELb0EL18RadixRankAlgorithm2ELj128ELj4ELj10EEvPKT_Pi.numbered_sgpr, 94
	.set _Z11rank_kernelIhLj4ELb0EL18RadixRankAlgorithm2ELj128ELj4ELj10EEvPKT_Pi.num_named_barrier, 0
	.set _Z11rank_kernelIhLj4ELb0EL18RadixRankAlgorithm2ELj128ELj4ELj10EEvPKT_Pi.private_seg_size, 0
	.set _Z11rank_kernelIhLj4ELb0EL18RadixRankAlgorithm2ELj128ELj4ELj10EEvPKT_Pi.uses_vcc, 1
	.set _Z11rank_kernelIhLj4ELb0EL18RadixRankAlgorithm2ELj128ELj4ELj10EEvPKT_Pi.uses_flat_scratch, 0
	.set _Z11rank_kernelIhLj4ELb0EL18RadixRankAlgorithm2ELj128ELj4ELj10EEvPKT_Pi.has_dyn_sized_stack, 0
	.set _Z11rank_kernelIhLj4ELb0EL18RadixRankAlgorithm2ELj128ELj4ELj10EEvPKT_Pi.has_recursion, 0
	.set _Z11rank_kernelIhLj4ELb0EL18RadixRankAlgorithm2ELj128ELj4ELj10EEvPKT_Pi.has_indirect_call, 0
	.section	.AMDGPU.csdata,"",@progbits
; Kernel info:
; codeLenInByte = 3768
; TotalNumSgprs: 98
; NumVgprs: 88
; ScratchSize: 0
; MemoryBound: 0
; FloatMode: 240
; IeeeMode: 1
; LDSByteSize: 520 bytes/workgroup (compile time only)
; SGPRBlocks: 12
; VGPRBlocks: 21
; NumSGPRsForWavesPerEU: 98
; NumVGPRsForWavesPerEU: 88
; Occupancy: 2
; WaveLimiterHint : 0
; COMPUTE_PGM_RSRC2:SCRATCH_EN: 0
; COMPUTE_PGM_RSRC2:USER_SGPR: 6
; COMPUTE_PGM_RSRC2:TRAP_HANDLER: 0
; COMPUTE_PGM_RSRC2:TGID_X_EN: 1
; COMPUTE_PGM_RSRC2:TGID_Y_EN: 0
; COMPUTE_PGM_RSRC2:TGID_Z_EN: 0
; COMPUTE_PGM_RSRC2:TIDIG_COMP_CNT: 2
	.section	.text._Z11rank_kernelIhLj4ELb0EL18RadixRankAlgorithm0ELj128ELj8ELj10EEvPKT_Pi,"axG",@progbits,_Z11rank_kernelIhLj4ELb0EL18RadixRankAlgorithm0ELj128ELj8ELj10EEvPKT_Pi,comdat
	.protected	_Z11rank_kernelIhLj4ELb0EL18RadixRankAlgorithm0ELj128ELj8ELj10EEvPKT_Pi ; -- Begin function _Z11rank_kernelIhLj4ELb0EL18RadixRankAlgorithm0ELj128ELj8ELj10EEvPKT_Pi
	.globl	_Z11rank_kernelIhLj4ELb0EL18RadixRankAlgorithm0ELj128ELj8ELj10EEvPKT_Pi
	.p2align	8
	.type	_Z11rank_kernelIhLj4ELb0EL18RadixRankAlgorithm0ELj128ELj8ELj10EEvPKT_Pi,@function
_Z11rank_kernelIhLj4ELb0EL18RadixRankAlgorithm0ELj128ELj8ELj10EEvPKT_Pi: ; @_Z11rank_kernelIhLj4ELb0EL18RadixRankAlgorithm0ELj128ELj8ELj10EEvPKT_Pi
; %bb.0:
	s_load_dwordx4 s[36:39], s[4:5], 0x0
	s_lshl_b32 s40, s6, 10
	v_lshlrev_b32_e32 v1, 3, v0
	v_mbcnt_lo_u32_b32 v4, -1, 0
	v_mbcnt_hi_u32_b32 v5, -1, v4
	s_waitcnt lgkmcnt(0)
	s_add_u32 s0, s36, s40
	s_addc_u32 s1, s37, 0
	global_load_dwordx2 v[20:21], v1, s[0:1]
	v_or_b32_e32 v4, 63, v0
	v_lshrrev_b32_e32 v6, 4, v0
	v_subrev_co_u32_e64 v9, s[6:7], 1, v5
	v_and_b32_e32 v10, 64, v5
	v_and_b32_e32 v7, 15, v5
	v_and_b32_e32 v8, 16, v5
	v_cmp_eq_u32_e64 s[4:5], v0, v4
	v_and_b32_e32 v4, 4, v6
	v_and_b32_e32 v6, 1, v5
	v_cmp_lt_i32_e64 s[18:19], v9, v10
	s_movk_i32 s20, 0x380
	v_cmp_lt_u32_e64 s[2:3], 31, v5
	v_cmp_eq_u32_e64 s[8:9], 0, v7
	v_cmp_lt_u32_e64 s[10:11], 1, v7
	v_cmp_lt_u32_e64 s[12:13], 3, v7
	;; [unrolled: 1-line block ×3, first 2 shown]
	v_cmp_eq_u32_e64 s[16:17], 0, v8
	v_cndmask_b32_e64 v5, v9, v5, s[18:19]
	v_cmp_eq_u32_e64 s[18:19], 0, v6
	v_lshlrev_b32_e32 v3, 5, v0
	v_mul_i32_i24_e32 v23, 0xffffffe4, v0
	s_movk_i32 s22, 0x300
	s_movk_i32 s24, 0x280
	;; [unrolled: 1-line block ×6, first 2 shown]
	s_mov_b32 s33, 10
	s_mov_b32 s41, 0
	v_mov_b32_e32 v2, 0
	v_cmp_gt_u32_e32 vcc, 2, v0
	v_cmp_lt_u32_e64 s[0:1], 63, v0
	v_lshlrev_b32_e32 v5, 2, v5
	v_cmp_gt_u32_e64 s[22:23], s22, v0
	v_cmp_gt_u32_e64 s[24:25], s24, v0
	;; [unrolled: 1-line block ×6, first 2 shown]
	s_waitcnt vmcnt(0)
	v_lshlrev_b32_e32 v6, 3, v20
	v_lshrrev_b32_e32 v7, 6, v20
	v_lshlrev_b32_e32 v8, 7, v20
	v_lshrrev_b32_e32 v9, 2, v20
	v_lshrrev_b32_e32 v10, 1, v20
	v_lshrrev_b32_e32 v11, 10, v20
	v_lshrrev_b32_e32 v12, 9, v20
	v_lshrrev_b32_e32 v13, 18, v20
	v_lshlrev_b32_e32 v16, 7, v21
	v_lshrrev_b32_e32 v17, 2, v21
	v_and_or_b32 v6, v6, s20, v0
	v_and_b32_e32 v7, 2, v7
	v_and_or_b32 v8, v8, s20, v0
	v_and_b32_e32 v9, 2, v9
	;; [unrolled: 2-line block ×5, first 2 shown]
	v_lshl_or_b32 v6, v6, 2, v7
	v_lshl_or_b32 v7, v8, 2, v9
	;; [unrolled: 1-line block ×5, first 2 shown]
	v_lshrrev_b32_e32 v17, 21, v20
	v_lshrrev_b32_e32 v14, 17, v20
	;; [unrolled: 1-line block ×5, first 2 shown]
	v_and_or_b32 v17, v17, s20, v0
	v_and_or_b32 v14, v14, s20, v0
	v_and_b32_e32 v15, 2, v15
	v_and_or_b32 v18, v18, s20, v0
	v_and_b32_e32 v19, 2, v19
	v_alignbit_b32 v17, v17, v20, 30
	v_lshl_or_b32 v11, v14, 2, v15
	v_lshl_or_b32 v14, v18, 2, v19
	v_and_b32_e32 v18, 0xffe, v17
	v_lshlrev_b32_e32 v17, 3, v21
	v_lshrrev_b32_e32 v19, 6, v21
	v_and_or_b32 v17, v17, s20, v0
	v_and_b32_e32 v19, 2, v19
	v_lshrrev_b32_e32 v22, 9, v21
	v_lshrrev_b32_e32 v24, 18, v21
	;; [unrolled: 1-line block ×6, first 2 shown]
	v_lshl_or_b32 v17, v17, 2, v19
	v_lshrrev_b32_e32 v19, 5, v21
	v_lshrrev_b32_e32 v20, 14, v21
	v_and_or_b32 v22, v22, s20, v0
	v_and_b32_e32 v24, 2, v24
	v_and_or_b32 v19, v19, s20, v0
	v_and_b32_e32 v20, 2, v20
	v_lshl_or_b32 v15, v22, 2, v24
	v_lshl_or_b32 v19, v19, 2, v20
	v_lshrrev_b32_e32 v20, 13, v21
	v_lshrrev_b32_e32 v22, 22, v21
	v_and_or_b32 v20, v20, s20, v0
	v_and_b32_e32 v22, 2, v22
	v_lshl_or_b32 v20, v20, 2, v22
	v_lshrrev_b32_e32 v22, 21, v21
	v_lshrrev_b32_e32 v25, 17, v21
	;; [unrolled: 1-line block ×3, first 2 shown]
	v_and_or_b32 v22, v22, s20, v0
	v_and_or_b32 v25, v25, s20, v0
	v_and_b32_e32 v26, 2, v26
	v_and_or_b32 v27, v27, s20, v0
	v_and_b32_e32 v28, 2, v28
	;; [unrolled: 2-line block ×3, first 2 shown]
	v_alignbit_b32 v21, v22, v21, 30
	v_lshl_or_b32 v16, v25, 2, v26
	v_lshl_or_b32 v8, v27, 2, v28
	;; [unrolled: 1-line block ×3, first 2 shown]
	v_and_b32_e32 v21, 0xffe, v21
	v_lshlrev_b32_e32 v22, 2, v0
	v_cmp_gt_u32_e64 s[20:21], s20, v0
	v_add_u32_e32 v0, v3, v23
	s_branch .LBB51_2
.LBB51_1:                               ;   in Loop: Header=BB51_2 Depth=1
	s_or_b64 exec, exec, s[36:37]
	s_waitcnt lgkmcnt(0)
	v_add_u32_e32 v31, v32, v31
	ds_bpermute_b32 v31, v5, v31
	s_add_i32 s33, s33, -1
	s_cmp_eq_u32 s33, 0
	s_waitcnt lgkmcnt(0)
	v_cndmask_b32_e64 v31, v31, v32, s[6:7]
	ds_read_b32 v32, v2 offset:4100
	s_waitcnt lgkmcnt(0)
	v_lshl_add_u32 v35, v32, 16, v31
	ds_read2_b64 v[31:34], v3 offset1:1
	s_waitcnt lgkmcnt(0)
	v_add_u32_e32 v36, v35, v31
	v_add_u32_e32 v31, v32, v36
	;; [unrolled: 1-line block ×3, first 2 shown]
	ds_write2_b64 v3, v[35:36], v[31:32] offset1:1
	v_add_u32_e32 v31, v34, v32
	ds_read_b64 v[32:33], v3 offset:16
	ds_read_b32 v34, v3 offset:24
	s_waitcnt lgkmcnt(1)
	v_add_u32_e32 v32, v32, v31
	v_add_u32_e32 v33, v33, v32
	s_waitcnt lgkmcnt(0)
	v_add_u32_e32 v34, v34, v33
	ds_write2_b64 v3, v[31:32], v[33:34] offset0:2 offset1:3
	s_waitcnt lgkmcnt(0)
	s_barrier
	s_cbranch_scc1 .LBB51_30
.LBB51_2:                               ; =>This Inner Loop Header: Depth=1
	ds_write_b32 v22, v2
	s_and_saveexec_b64 s[36:37], s[20:21]
	s_cbranch_execz .LBB51_10
; %bb.3:                                ;   in Loop: Header=BB51_2 Depth=1
	ds_write_b32 v22, v2 offset:512
	s_and_b64 exec, exec, s[22:23]
	s_cbranch_execz .LBB51_10
; %bb.4:                                ;   in Loop: Header=BB51_2 Depth=1
	ds_write_b32 v22, v2 offset:1024
	s_and_b64 exec, exec, s[24:25]
	s_cbranch_execz .LBB51_10
; %bb.5:                                ;   in Loop: Header=BB51_2 Depth=1
	ds_write_b32 v22, v2 offset:1536
	s_and_b64 exec, exec, s[26:27]
	s_cbranch_execz .LBB51_10
; %bb.6:                                ;   in Loop: Header=BB51_2 Depth=1
	ds_write_b32 v22, v2 offset:2048
	s_and_b64 exec, exec, s[28:29]
	s_cbranch_execz .LBB51_10
; %bb.7:                                ;   in Loop: Header=BB51_2 Depth=1
	ds_write_b32 v22, v2 offset:2560
	s_and_b64 exec, exec, s[30:31]
	s_cbranch_execz .LBB51_10
; %bb.8:                                ;   in Loop: Header=BB51_2 Depth=1
	ds_write_b32 v22, v2 offset:3072
	s_and_b64 exec, exec, s[34:35]
; %bb.9:                                ;   in Loop: Header=BB51_2 Depth=1
	ds_write_b32 v22, v2 offset:3584
.LBB51_10:                              ;   in Loop: Header=BB51_2 Depth=1
	s_or_b64 exec, exec, s[36:37]
	ds_read_u16 v23, v7
	s_waitcnt lgkmcnt(0)
	v_add_u16_e32 v23, 1, v23
	ds_write_b16 v7, v23
	ds_read_u16 v23, v9
	s_waitcnt lgkmcnt(0)
	v_add_u16_e32 v23, 1, v23
	ds_write_b16 v9, v23
	;; [unrolled: 4-line block ×8, first 2 shown]
	s_waitcnt lgkmcnt(0)
	s_barrier
	ds_read2_b64 v[23:26], v3 offset1:1
	ds_read2_b64 v[27:30], v3 offset0:2 offset1:3
	s_waitcnt lgkmcnt(1)
	v_add_u32_e32 v23, v24, v23
	v_add3_u32 v23, v23, v25, v26
	s_waitcnt lgkmcnt(0)
	v_add3_u32 v23, v23, v27, v28
	v_add3_u32 v23, v23, v29, v30
	s_nop 1
	v_mov_b32_dpp v24, v23 row_shr:1 row_mask:0xf bank_mask:0xf
	v_cndmask_b32_e64 v24, v24, 0, s[8:9]
	v_add_u32_e32 v23, v24, v23
	s_nop 1
	v_mov_b32_dpp v24, v23 row_shr:2 row_mask:0xf bank_mask:0xf
	v_cndmask_b32_e64 v24, 0, v24, s[10:11]
	v_add_u32_e32 v23, v23, v24
	;; [unrolled: 4-line block ×4, first 2 shown]
	s_nop 1
	v_mov_b32_dpp v24, v23 row_bcast:15 row_mask:0xf bank_mask:0xf
	v_cndmask_b32_e64 v24, v24, 0, s[16:17]
	v_add_u32_e32 v23, v23, v24
	s_nop 1
	v_mov_b32_dpp v24, v23 row_bcast:31 row_mask:0xf bank_mask:0xf
	v_cndmask_b32_e64 v24, 0, v24, s[2:3]
	v_add_u32_e32 v23, v23, v24
	s_and_saveexec_b64 s[36:37], s[4:5]
; %bb.11:                               ;   in Loop: Header=BB51_2 Depth=1
	ds_write_b32 v4, v23 offset:4096
; %bb.12:                               ;   in Loop: Header=BB51_2 Depth=1
	s_or_b64 exec, exec, s[36:37]
	s_waitcnt lgkmcnt(0)
	s_barrier
	s_and_saveexec_b64 s[36:37], vcc
	s_cbranch_execz .LBB51_14
; %bb.13:                               ;   in Loop: Header=BB51_2 Depth=1
	ds_read_b32 v24, v0 offset:4096
	s_waitcnt lgkmcnt(0)
	s_nop 0
	v_mov_b32_dpp v25, v24 row_shr:1 row_mask:0xf bank_mask:0xf
	v_cndmask_b32_e64 v25, v25, 0, s[18:19]
	v_add_u32_e32 v24, v25, v24
	ds_write_b32 v0, v24 offset:4096
.LBB51_14:                              ;   in Loop: Header=BB51_2 Depth=1
	s_or_b64 exec, exec, s[36:37]
	v_mov_b32_e32 v24, 0
	s_waitcnt lgkmcnt(0)
	s_barrier
	s_and_saveexec_b64 s[36:37], s[0:1]
; %bb.15:                               ;   in Loop: Header=BB51_2 Depth=1
	ds_read_b32 v24, v4 offset:4092
; %bb.16:                               ;   in Loop: Header=BB51_2 Depth=1
	s_or_b64 exec, exec, s[36:37]
	s_waitcnt lgkmcnt(0)
	v_add_u32_e32 v23, v24, v23
	ds_bpermute_b32 v23, v5, v23
	s_waitcnt lgkmcnt(0)
	v_cndmask_b32_e64 v23, v23, v24, s[6:7]
	ds_read_b32 v24, v2 offset:4100
	s_waitcnt lgkmcnt(0)
	v_lshl_add_u32 v27, v24, 16, v23
	ds_read2_b64 v[23:26], v3 offset1:1
	s_waitcnt lgkmcnt(0)
	v_add_u32_e32 v28, v27, v23
	v_add_u32_e32 v23, v24, v28
	;; [unrolled: 1-line block ×3, first 2 shown]
	ds_write2_b64 v3, v[27:28], v[23:24] offset1:1
	v_add_u32_e32 v23, v26, v24
	ds_read_b64 v[24:25], v3 offset:16
	ds_read_b32 v26, v3 offset:24
	s_waitcnt lgkmcnt(1)
	v_add_u32_e32 v24, v24, v23
	v_add_u32_e32 v25, v25, v24
	s_waitcnt lgkmcnt(0)
	v_add_u32_e32 v26, v26, v25
	ds_write2_b64 v3, v[23:24], v[25:26] offset0:2 offset1:3
	s_waitcnt lgkmcnt(0)
	s_barrier
	ds_write_b32 v22, v2
	s_and_saveexec_b64 s[36:37], s[20:21]
	s_cbranch_execz .LBB51_24
; %bb.17:                               ;   in Loop: Header=BB51_2 Depth=1
	ds_write_b32 v22, v2 offset:512
	s_and_b64 exec, exec, s[22:23]
	s_cbranch_execz .LBB51_24
; %bb.18:                               ;   in Loop: Header=BB51_2 Depth=1
	ds_write_b32 v22, v2 offset:1024
	s_and_b64 exec, exec, s[24:25]
	;; [unrolled: 4-line block ×6, first 2 shown]
; %bb.23:                               ;   in Loop: Header=BB51_2 Depth=1
	ds_write_b32 v22, v2 offset:3584
.LBB51_24:                              ;   in Loop: Header=BB51_2 Depth=1
	s_or_b64 exec, exec, s[36:37]
	ds_read_u16 v23, v6
	s_waitcnt lgkmcnt(0)
	v_add_u16_e32 v24, 1, v23
	ds_write_b16 v6, v24
	ds_read_u16 v24, v8
	s_waitcnt lgkmcnt(0)
	v_add_u16_e32 v25, 1, v24
	ds_write_b16 v8, v25
	;; [unrolled: 4-line block ×8, first 2 shown]
	s_waitcnt lgkmcnt(0)
	s_barrier
	ds_read2_b64 v[31:34], v3 offset1:1
	ds_read2_b64 v[35:38], v3 offset0:2 offset1:3
	s_waitcnt lgkmcnt(1)
	v_add_u32_e32 v31, v32, v31
	v_add3_u32 v31, v31, v33, v34
	s_waitcnt lgkmcnt(0)
	v_add3_u32 v31, v31, v35, v36
	v_add3_u32 v31, v31, v37, v38
	s_nop 1
	v_mov_b32_dpp v32, v31 row_shr:1 row_mask:0xf bank_mask:0xf
	v_cndmask_b32_e64 v32, v32, 0, s[8:9]
	v_add_u32_e32 v31, v32, v31
	s_nop 1
	v_mov_b32_dpp v32, v31 row_shr:2 row_mask:0xf bank_mask:0xf
	v_cndmask_b32_e64 v32, 0, v32, s[10:11]
	v_add_u32_e32 v31, v31, v32
	;; [unrolled: 4-line block ×4, first 2 shown]
	s_nop 1
	v_mov_b32_dpp v32, v31 row_bcast:15 row_mask:0xf bank_mask:0xf
	v_cndmask_b32_e64 v32, v32, 0, s[16:17]
	v_add_u32_e32 v31, v31, v32
	s_nop 1
	v_mov_b32_dpp v32, v31 row_bcast:31 row_mask:0xf bank_mask:0xf
	v_cndmask_b32_e64 v32, 0, v32, s[2:3]
	v_add_u32_e32 v31, v31, v32
	s_and_saveexec_b64 s[36:37], s[4:5]
; %bb.25:                               ;   in Loop: Header=BB51_2 Depth=1
	ds_write_b32 v4, v31 offset:4096
; %bb.26:                               ;   in Loop: Header=BB51_2 Depth=1
	s_or_b64 exec, exec, s[36:37]
	s_waitcnt lgkmcnt(0)
	s_barrier
	s_and_saveexec_b64 s[36:37], vcc
	s_cbranch_execz .LBB51_28
; %bb.27:                               ;   in Loop: Header=BB51_2 Depth=1
	ds_read_b32 v32, v0 offset:4096
	s_waitcnt lgkmcnt(0)
	s_nop 0
	v_mov_b32_dpp v33, v32 row_shr:1 row_mask:0xf bank_mask:0xf
	v_cndmask_b32_e64 v33, v33, 0, s[18:19]
	v_add_u32_e32 v32, v33, v32
	ds_write_b32 v0, v32 offset:4096
.LBB51_28:                              ;   in Loop: Header=BB51_2 Depth=1
	s_or_b64 exec, exec, s[36:37]
	v_mov_b32_e32 v32, 0
	s_waitcnt lgkmcnt(0)
	s_barrier
	s_and_saveexec_b64 s[36:37], s[0:1]
	s_cbranch_execz .LBB51_1
; %bb.29:                               ;   in Loop: Header=BB51_2 Depth=1
	ds_read_b32 v32, v4 offset:4092
	s_branch .LBB51_1
.LBB51_30:
	ds_read_u16 v0, v18
	ds_read_u16 v4, v13
	ds_read_u16 v3, v8
	ds_read_u16 v2, v6
	ds_read_u16 v9, v21
	ds_read_u16 v8, v20
	ds_read_u16 v7, v19
	ds_read_u16 v6, v17
	s_lshl_b64 s[0:1], s[40:41], 2
	s_add_u32 s0, s38, s0
	s_waitcnt lgkmcnt(4)
	v_add_u32_sdwa v2, v2, v23 dst_sel:DWORD dst_unused:UNUSED_PAD src0_sel:DWORD src1_sel:WORD_0
	v_add_u32_sdwa v3, v3, v24 dst_sel:DWORD dst_unused:UNUSED_PAD src0_sel:DWORD src1_sel:WORD_0
	;; [unrolled: 1-line block ×4, first 2 shown]
	s_addc_u32 s1, s39, s1
	v_lshlrev_b32_e32 v0, 2, v1
	s_waitcnt lgkmcnt(0)
	v_add_u32_sdwa v6, v6, v27 dst_sel:DWORD dst_unused:UNUSED_PAD src0_sel:DWORD src1_sel:WORD_0
	v_add_u32_sdwa v7, v7, v28 dst_sel:DWORD dst_unused:UNUSED_PAD src0_sel:DWORD src1_sel:WORD_0
	;; [unrolled: 1-line block ×4, first 2 shown]
	global_store_dwordx4 v0, v[2:5], s[0:1]
	global_store_dwordx4 v0, v[6:9], s[0:1] offset:16
	s_endpgm
	.section	.rodata,"a",@progbits
	.p2align	6, 0x0
	.amdhsa_kernel _Z11rank_kernelIhLj4ELb0EL18RadixRankAlgorithm0ELj128ELj8ELj10EEvPKT_Pi
		.amdhsa_group_segment_fixed_size 4104
		.amdhsa_private_segment_fixed_size 0
		.amdhsa_kernarg_size 16
		.amdhsa_user_sgpr_count 6
		.amdhsa_user_sgpr_private_segment_buffer 1
		.amdhsa_user_sgpr_dispatch_ptr 0
		.amdhsa_user_sgpr_queue_ptr 0
		.amdhsa_user_sgpr_kernarg_segment_ptr 1
		.amdhsa_user_sgpr_dispatch_id 0
		.amdhsa_user_sgpr_flat_scratch_init 0
		.amdhsa_user_sgpr_private_segment_size 0
		.amdhsa_uses_dynamic_stack 0
		.amdhsa_system_sgpr_private_segment_wavefront_offset 0
		.amdhsa_system_sgpr_workgroup_id_x 1
		.amdhsa_system_sgpr_workgroup_id_y 0
		.amdhsa_system_sgpr_workgroup_id_z 0
		.amdhsa_system_sgpr_workgroup_info 0
		.amdhsa_system_vgpr_workitem_id 0
		.amdhsa_next_free_vgpr 39
		.amdhsa_next_free_sgpr 61
		.amdhsa_reserve_vcc 1
		.amdhsa_reserve_flat_scratch 0
		.amdhsa_float_round_mode_32 0
		.amdhsa_float_round_mode_16_64 0
		.amdhsa_float_denorm_mode_32 3
		.amdhsa_float_denorm_mode_16_64 3
		.amdhsa_dx10_clamp 1
		.amdhsa_ieee_mode 1
		.amdhsa_fp16_overflow 0
		.amdhsa_exception_fp_ieee_invalid_op 0
		.amdhsa_exception_fp_denorm_src 0
		.amdhsa_exception_fp_ieee_div_zero 0
		.amdhsa_exception_fp_ieee_overflow 0
		.amdhsa_exception_fp_ieee_underflow 0
		.amdhsa_exception_fp_ieee_inexact 0
		.amdhsa_exception_int_div_zero 0
	.end_amdhsa_kernel
	.section	.text._Z11rank_kernelIhLj4ELb0EL18RadixRankAlgorithm0ELj128ELj8ELj10EEvPKT_Pi,"axG",@progbits,_Z11rank_kernelIhLj4ELb0EL18RadixRankAlgorithm0ELj128ELj8ELj10EEvPKT_Pi,comdat
.Lfunc_end51:
	.size	_Z11rank_kernelIhLj4ELb0EL18RadixRankAlgorithm0ELj128ELj8ELj10EEvPKT_Pi, .Lfunc_end51-_Z11rank_kernelIhLj4ELb0EL18RadixRankAlgorithm0ELj128ELj8ELj10EEvPKT_Pi
                                        ; -- End function
	.set _Z11rank_kernelIhLj4ELb0EL18RadixRankAlgorithm0ELj128ELj8ELj10EEvPKT_Pi.num_vgpr, 39
	.set _Z11rank_kernelIhLj4ELb0EL18RadixRankAlgorithm0ELj128ELj8ELj10EEvPKT_Pi.num_agpr, 0
	.set _Z11rank_kernelIhLj4ELb0EL18RadixRankAlgorithm0ELj128ELj8ELj10EEvPKT_Pi.numbered_sgpr, 42
	.set _Z11rank_kernelIhLj4ELb0EL18RadixRankAlgorithm0ELj128ELj8ELj10EEvPKT_Pi.num_named_barrier, 0
	.set _Z11rank_kernelIhLj4ELb0EL18RadixRankAlgorithm0ELj128ELj8ELj10EEvPKT_Pi.private_seg_size, 0
	.set _Z11rank_kernelIhLj4ELb0EL18RadixRankAlgorithm0ELj128ELj8ELj10EEvPKT_Pi.uses_vcc, 1
	.set _Z11rank_kernelIhLj4ELb0EL18RadixRankAlgorithm0ELj128ELj8ELj10EEvPKT_Pi.uses_flat_scratch, 0
	.set _Z11rank_kernelIhLj4ELb0EL18RadixRankAlgorithm0ELj128ELj8ELj10EEvPKT_Pi.has_dyn_sized_stack, 0
	.set _Z11rank_kernelIhLj4ELb0EL18RadixRankAlgorithm0ELj128ELj8ELj10EEvPKT_Pi.has_recursion, 0
	.set _Z11rank_kernelIhLj4ELb0EL18RadixRankAlgorithm0ELj128ELj8ELj10EEvPKT_Pi.has_indirect_call, 0
	.section	.AMDGPU.csdata,"",@progbits
; Kernel info:
; codeLenInByte = 2468
; TotalNumSgprs: 46
; NumVgprs: 39
; ScratchSize: 0
; MemoryBound: 0
; FloatMode: 240
; IeeeMode: 1
; LDSByteSize: 4104 bytes/workgroup (compile time only)
; SGPRBlocks: 8
; VGPRBlocks: 9
; NumSGPRsForWavesPerEU: 65
; NumVGPRsForWavesPerEU: 39
; Occupancy: 6
; WaveLimiterHint : 0
; COMPUTE_PGM_RSRC2:SCRATCH_EN: 0
; COMPUTE_PGM_RSRC2:USER_SGPR: 6
; COMPUTE_PGM_RSRC2:TRAP_HANDLER: 0
; COMPUTE_PGM_RSRC2:TGID_X_EN: 1
; COMPUTE_PGM_RSRC2:TGID_Y_EN: 0
; COMPUTE_PGM_RSRC2:TGID_Z_EN: 0
; COMPUTE_PGM_RSRC2:TIDIG_COMP_CNT: 0
	.section	.text._Z11rank_kernelIhLj4ELb0EL18RadixRankAlgorithm1ELj128ELj8ELj10EEvPKT_Pi,"axG",@progbits,_Z11rank_kernelIhLj4ELb0EL18RadixRankAlgorithm1ELj128ELj8ELj10EEvPKT_Pi,comdat
	.protected	_Z11rank_kernelIhLj4ELb0EL18RadixRankAlgorithm1ELj128ELj8ELj10EEvPKT_Pi ; -- Begin function _Z11rank_kernelIhLj4ELb0EL18RadixRankAlgorithm1ELj128ELj8ELj10EEvPKT_Pi
	.globl	_Z11rank_kernelIhLj4ELb0EL18RadixRankAlgorithm1ELj128ELj8ELj10EEvPKT_Pi
	.p2align	8
	.type	_Z11rank_kernelIhLj4ELb0EL18RadixRankAlgorithm1ELj128ELj8ELj10EEvPKT_Pi,@function
_Z11rank_kernelIhLj4ELb0EL18RadixRankAlgorithm1ELj128ELj8ELj10EEvPKT_Pi: ; @_Z11rank_kernelIhLj4ELb0EL18RadixRankAlgorithm1ELj128ELj8ELj10EEvPKT_Pi
; %bb.0:
	s_load_dwordx4 s[36:39], s[4:5], 0x0
	s_lshl_b32 s40, s6, 10
	v_lshlrev_b32_e32 v8, 3, v0
	v_mbcnt_lo_u32_b32 v3, -1, 0
	v_mbcnt_hi_u32_b32 v3, -1, v3
	s_waitcnt lgkmcnt(0)
	s_add_u32 s0, s36, s40
	s_addc_u32 s1, s37, 0
	global_load_dwordx2 v[1:2], v8, s[0:1]
	v_or_b32_e32 v4, 63, v0
	v_cmp_eq_u32_e64 s[4:5], v0, v4
	v_subrev_co_u32_e64 v4, s[6:7], 1, v3
	v_and_b32_e32 v13, 64, v3
	v_lshrrev_b32_e32 v5, 4, v0
	v_cmp_lt_i32_e64 s[18:19], v4, v13
	v_and_b32_e32 v7, 15, v3
	v_and_b32_e32 v12, 16, v3
	v_cmp_lt_u32_e64 s[2:3], 31, v3
	v_and_b32_e32 v11, 4, v5
	v_and_b32_e32 v5, 1, v3
	v_cndmask_b32_e64 v3, v4, v3, s[18:19]
	s_movk_i32 s20, 0x380
	v_cmp_eq_u32_e64 s[16:17], 0, v12
	v_lshlrev_b32_e32 v12, 2, v3
	v_cmp_eq_u32_e64 s[8:9], 0, v7
	v_cmp_lt_u32_e64 s[10:11], 1, v7
	v_cmp_lt_u32_e64 s[12:13], 3, v7
	;; [unrolled: 1-line block ×3, first 2 shown]
	v_cmp_eq_u32_e64 s[18:19], 0, v5
	v_lshlrev_b32_e32 v10, 5, v0
	v_mul_i32_i24_e32 v6, 0xffffffe4, v0
	s_movk_i32 s22, 0x300
	s_movk_i32 s24, 0x280
	;; [unrolled: 1-line block ×6, first 2 shown]
	s_mov_b32 s33, 10
	s_mov_b32 s41, 0
	v_mov_b32_e32 v9, 0
	v_cmp_gt_u32_e32 vcc, 2, v0
	v_cmp_lt_u32_e64 s[0:1], 63, v0
	v_cmp_gt_u32_e64 s[22:23], s22, v0
	v_cmp_gt_u32_e64 s[24:25], s24, v0
	;; [unrolled: 1-line block ×6, first 2 shown]
	s_waitcnt vmcnt(0)
	v_lshlrev_b32_e32 v3, 3, v1
	v_lshrrev_b32_e32 v4, 6, v1
	v_lshrrev_b32_e32 v13, 1, v1
	v_and_or_b32 v3, v3, s20, v0
	v_and_b32_e32 v4, 2, v4
	v_lshlrev_b32_e32 v19, 7, v2
	v_lshrrev_b32_e32 v20, 2, v2
	v_lshrrev_b32_e32 v29, 13, v1
	v_and_or_b32 v30, v13, s20, v0
	v_lshl_or_b32 v13, v3, 2, v4
	v_lshrrev_b32_e32 v3, 22, v1
	v_and_or_b32 v19, v19, s20, v0
	v_and_b32_e32 v20, 2, v20
	v_and_or_b32 v29, v29, s20, v0
	v_and_b32_e32 v3, 2, v3
	v_lshl_or_b32 v19, v19, 2, v20
	v_lshl_or_b32 v20, v29, 2, v3
	v_lshrrev_b32_e32 v3, 21, v1
	v_lshrrev_b32_e32 v21, 1, v2
	;; [unrolled: 1-line block ×7, first 2 shown]
	v_and_or_b32 v3, v3, s20, v0
	v_lshlrev_b32_e32 v5, 7, v1
	v_lshrrev_b32_e32 v7, 2, v1
	v_lshrrev_b32_e32 v14, 10, v1
	;; [unrolled: 1-line block ×8, first 2 shown]
	v_and_or_b32 v21, v21, s20, v0
	v_and_b32_e32 v22, 2, v22
	v_and_or_b32 v23, v23, s20, v0
	v_and_b32_e32 v24, 2, v24
	;; [unrolled: 2-line block ×3, first 2 shown]
	v_alignbit_b32 v1, v3, v1, 30
	v_lshl_or_b32 v21, v21, 2, v22
	v_lshl_or_b32 v22, v23, 2, v24
	v_lshl_or_b32 v23, v25, 2, v26
	v_and_b32_e32 v25, 0xffe, v1
	v_lshlrev_b32_e32 v1, 3, v2
	v_lshrrev_b32_e32 v3, 6, v2
	v_and_or_b32 v1, v1, s20, v0
	v_and_b32_e32 v3, 2, v3
	v_lshl_or_b32 v24, v1, 2, v3
	v_lshrrev_b32_e32 v1, 5, v2
	v_lshrrev_b32_e32 v3, 14, v2
	v_and_or_b32 v1, v1, s20, v0
	v_and_b32_e32 v3, 2, v3
	v_lshl_or_b32 v26, v1, 2, v3
	v_lshrrev_b32_e32 v1, 13, v2
	v_lshrrev_b32_e32 v3, 22, v2
	v_and_or_b32 v15, v15, s20, v0
	v_and_b32_e32 v32, 2, v16
	v_and_or_b32 v27, v27, s20, v0
	v_and_b32_e32 v28, 2, v28
	;; [unrolled: 2-line block ×3, first 2 shown]
	v_and_or_b32 v33, v17, s20, v0
	v_lshl_or_b32 v17, v15, 2, v32
	v_lshl_or_b32 v15, v27, 2, v28
	;; [unrolled: 1-line block ×3, first 2 shown]
	v_lshrrev_b32_e32 v1, 21, v2
	v_and_or_b32 v1, v1, s20, v0
	v_and_or_b32 v5, v5, s20, v0
	v_and_b32_e32 v7, 2, v7
	v_and_b32_e32 v31, 2, v14
	;; [unrolled: 1-line block ×3, first 2 shown]
	v_alignbit_b32 v1, v1, v2, 30
	v_lshl_or_b32 v14, v5, 2, v7
	v_lshl_or_b32 v16, v30, 2, v31
	;; [unrolled: 1-line block ×3, first 2 shown]
	v_and_b32_e32 v28, 0xffe, v1
	v_lshlrev_b32_e32 v29, 2, v0
	v_cmp_gt_u32_e64 s[20:21], s20, v0
	v_add_u32_e32 v30, v10, v6
	s_branch .LBB52_2
.LBB52_1:                               ;   in Loop: Header=BB52_2 Depth=1
	s_or_b64 exec, exec, s[36:37]
	s_waitcnt lgkmcnt(0)
	v_add_u32_e32 v3, v39, v3
	ds_bpermute_b32 v3, v12, v3
	ds_read_b32 v40, v9 offset:4100
	s_add_i32 s33, s33, -1
	s_cmp_eq_u32 s33, 0
	s_waitcnt lgkmcnt(1)
	v_cndmask_b32_e64 v3, v3, v39, s[6:7]
	s_waitcnt lgkmcnt(0)
	v_lshl_add_u32 v3, v40, 16, v3
	v_add_u32_e32 v4, v3, v4
	v_add_u32_e32 v5, v4, v5
	;; [unrolled: 1-line block ×7, first 2 shown]
	ds_write2_b64 v10, v[3:4], v[5:6] offset1:1
	ds_write2_b64 v10, v[39:40], v[0:1] offset0:2 offset1:3
	s_waitcnt lgkmcnt(0)
	s_barrier
	s_cbranch_scc1 .LBB52_30
.LBB52_2:                               ; =>This Inner Loop Header: Depth=1
	ds_write_b32 v29, v9
	s_and_saveexec_b64 s[36:37], s[20:21]
	s_cbranch_execz .LBB52_10
; %bb.3:                                ;   in Loop: Header=BB52_2 Depth=1
	ds_write_b32 v29, v9 offset:512
	s_and_b64 exec, exec, s[22:23]
	s_cbranch_execz .LBB52_10
; %bb.4:                                ;   in Loop: Header=BB52_2 Depth=1
	ds_write_b32 v29, v9 offset:1024
	s_and_b64 exec, exec, s[24:25]
	;; [unrolled: 4-line block ×6, first 2 shown]
; %bb.9:                                ;   in Loop: Header=BB52_2 Depth=1
	ds_write_b32 v29, v9 offset:3584
.LBB52_10:                              ;   in Loop: Header=BB52_2 Depth=1
	s_or_b64 exec, exec, s[36:37]
	ds_read_u16 v0, v14
	s_waitcnt lgkmcnt(0)
	v_add_u16_e32 v0, 1, v0
	ds_write_b16 v14, v0
	ds_read_u16 v0, v16
	s_waitcnt lgkmcnt(0)
	v_add_u16_e32 v0, 1, v0
	ds_write_b16 v16, v0
	;; [unrolled: 4-line block ×8, first 2 shown]
	s_waitcnt lgkmcnt(0)
	s_barrier
	ds_read2_b64 v[4:7], v10 offset1:1
	ds_read2_b64 v[0:3], v10 offset0:2 offset1:3
	s_waitcnt lgkmcnt(1)
	v_add_u32_e32 v31, v5, v4
	v_add3_u32 v31, v31, v6, v7
	s_waitcnt lgkmcnt(0)
	v_add3_u32 v31, v31, v0, v1
	v_add3_u32 v3, v31, v2, v3
	s_nop 1
	v_mov_b32_dpp v31, v3 row_shr:1 row_mask:0xf bank_mask:0xf
	v_cndmask_b32_e64 v31, v31, 0, s[8:9]
	v_add_u32_e32 v3, v31, v3
	s_nop 1
	v_mov_b32_dpp v31, v3 row_shr:2 row_mask:0xf bank_mask:0xf
	v_cndmask_b32_e64 v31, 0, v31, s[10:11]
	v_add_u32_e32 v3, v3, v31
	;; [unrolled: 4-line block ×4, first 2 shown]
	s_nop 1
	v_mov_b32_dpp v31, v3 row_bcast:15 row_mask:0xf bank_mask:0xf
	v_cndmask_b32_e64 v31, v31, 0, s[16:17]
	v_add_u32_e32 v3, v3, v31
	s_nop 1
	v_mov_b32_dpp v31, v3 row_bcast:31 row_mask:0xf bank_mask:0xf
	v_cndmask_b32_e64 v31, 0, v31, s[2:3]
	v_add_u32_e32 v3, v3, v31
	s_and_saveexec_b64 s[36:37], s[4:5]
; %bb.11:                               ;   in Loop: Header=BB52_2 Depth=1
	ds_write_b32 v11, v3 offset:4096
; %bb.12:                               ;   in Loop: Header=BB52_2 Depth=1
	s_or_b64 exec, exec, s[36:37]
	s_waitcnt lgkmcnt(0)
	s_barrier
	s_and_saveexec_b64 s[36:37], vcc
	s_cbranch_execz .LBB52_14
; %bb.13:                               ;   in Loop: Header=BB52_2 Depth=1
	ds_read_b32 v31, v30 offset:4096
	s_waitcnt lgkmcnt(0)
	s_nop 0
	v_mov_b32_dpp v32, v31 row_shr:1 row_mask:0xf bank_mask:0xf
	v_cndmask_b32_e64 v32, v32, 0, s[18:19]
	v_add_u32_e32 v31, v32, v31
	ds_write_b32 v30, v31 offset:4096
.LBB52_14:                              ;   in Loop: Header=BB52_2 Depth=1
	s_or_b64 exec, exec, s[36:37]
	v_mov_b32_e32 v31, 0
	s_waitcnt lgkmcnt(0)
	s_barrier
	s_and_saveexec_b64 s[36:37], s[0:1]
; %bb.15:                               ;   in Loop: Header=BB52_2 Depth=1
	ds_read_b32 v31, v11 offset:4092
; %bb.16:                               ;   in Loop: Header=BB52_2 Depth=1
	s_or_b64 exec, exec, s[36:37]
	s_waitcnt lgkmcnt(0)
	v_add_u32_e32 v3, v31, v3
	ds_bpermute_b32 v3, v12, v3
	ds_read_b32 v32, v9 offset:4100
	s_waitcnt lgkmcnt(1)
	v_cndmask_b32_e64 v3, v3, v31, s[6:7]
	s_waitcnt lgkmcnt(0)
	v_lshl_add_u32 v3, v32, 16, v3
	v_add_u32_e32 v4, v3, v4
	v_add_u32_e32 v5, v4, v5
	;; [unrolled: 1-line block ×7, first 2 shown]
	ds_write2_b64 v10, v[3:4], v[5:6] offset1:1
	ds_write2_b64 v10, v[31:32], v[0:1] offset0:2 offset1:3
	s_waitcnt lgkmcnt(0)
	s_barrier
	ds_write_b32 v29, v9
	s_and_saveexec_b64 s[36:37], s[20:21]
	s_cbranch_execz .LBB52_24
; %bb.17:                               ;   in Loop: Header=BB52_2 Depth=1
	ds_write_b32 v29, v9 offset:512
	s_and_b64 exec, exec, s[22:23]
	s_cbranch_execz .LBB52_24
; %bb.18:                               ;   in Loop: Header=BB52_2 Depth=1
	ds_write_b32 v29, v9 offset:1024
	s_and_b64 exec, exec, s[24:25]
	;; [unrolled: 4-line block ×6, first 2 shown]
; %bb.23:                               ;   in Loop: Header=BB52_2 Depth=1
	ds_write_b32 v29, v9 offset:3584
.LBB52_24:                              ;   in Loop: Header=BB52_2 Depth=1
	s_or_b64 exec, exec, s[36:37]
	ds_read_u16 v31, v13
	s_waitcnt lgkmcnt(0)
	v_add_u16_e32 v0, 1, v31
	ds_write_b16 v13, v0
	ds_read_u16 v32, v15
	s_waitcnt lgkmcnt(0)
	v_add_u16_e32 v0, 1, v32
	ds_write_b16 v15, v0
	;; [unrolled: 4-line block ×8, first 2 shown]
	s_waitcnt lgkmcnt(0)
	s_barrier
	ds_read2_b64 v[4:7], v10 offset1:1
	ds_read2_b64 v[0:3], v10 offset0:2 offset1:3
	s_waitcnt lgkmcnt(1)
	v_add_u32_e32 v39, v5, v4
	v_add3_u32 v39, v39, v6, v7
	s_waitcnt lgkmcnt(0)
	v_add3_u32 v39, v39, v0, v1
	v_add3_u32 v3, v39, v2, v3
	s_nop 1
	v_mov_b32_dpp v39, v3 row_shr:1 row_mask:0xf bank_mask:0xf
	v_cndmask_b32_e64 v39, v39, 0, s[8:9]
	v_add_u32_e32 v3, v39, v3
	s_nop 1
	v_mov_b32_dpp v39, v3 row_shr:2 row_mask:0xf bank_mask:0xf
	v_cndmask_b32_e64 v39, 0, v39, s[10:11]
	v_add_u32_e32 v3, v3, v39
	;; [unrolled: 4-line block ×4, first 2 shown]
	s_nop 1
	v_mov_b32_dpp v39, v3 row_bcast:15 row_mask:0xf bank_mask:0xf
	v_cndmask_b32_e64 v39, v39, 0, s[16:17]
	v_add_u32_e32 v3, v3, v39
	s_nop 1
	v_mov_b32_dpp v39, v3 row_bcast:31 row_mask:0xf bank_mask:0xf
	v_cndmask_b32_e64 v39, 0, v39, s[2:3]
	v_add_u32_e32 v3, v3, v39
	s_and_saveexec_b64 s[36:37], s[4:5]
; %bb.25:                               ;   in Loop: Header=BB52_2 Depth=1
	ds_write_b32 v11, v3 offset:4096
; %bb.26:                               ;   in Loop: Header=BB52_2 Depth=1
	s_or_b64 exec, exec, s[36:37]
	s_waitcnt lgkmcnt(0)
	s_barrier
	s_and_saveexec_b64 s[36:37], vcc
	s_cbranch_execz .LBB52_28
; %bb.27:                               ;   in Loop: Header=BB52_2 Depth=1
	ds_read_b32 v39, v30 offset:4096
	s_waitcnt lgkmcnt(0)
	s_nop 0
	v_mov_b32_dpp v40, v39 row_shr:1 row_mask:0xf bank_mask:0xf
	v_cndmask_b32_e64 v40, v40, 0, s[18:19]
	v_add_u32_e32 v39, v40, v39
	ds_write_b32 v30, v39 offset:4096
.LBB52_28:                              ;   in Loop: Header=BB52_2 Depth=1
	s_or_b64 exec, exec, s[36:37]
	v_mov_b32_e32 v39, 0
	s_waitcnt lgkmcnt(0)
	s_barrier
	s_and_saveexec_b64 s[36:37], s[0:1]
	s_cbranch_execz .LBB52_1
; %bb.29:                               ;   in Loop: Header=BB52_2 Depth=1
	ds_read_b32 v39, v11 offset:4092
	s_branch .LBB52_1
.LBB52_30:
	ds_read_u16 v3, v25
	ds_read_u16 v2, v20
	;; [unrolled: 1-line block ×8, first 2 shown]
	s_lshl_b64 s[0:1], s[40:41], 2
	s_add_u32 s0, s38, s0
	s_waitcnt lgkmcnt(4)
	v_add_u32_sdwa v0, v0, v31 dst_sel:DWORD dst_unused:UNUSED_PAD src0_sel:DWORD src1_sel:WORD_0
	v_add_u32_sdwa v1, v1, v32 dst_sel:DWORD dst_unused:UNUSED_PAD src0_sel:DWORD src1_sel:WORD_0
	;; [unrolled: 1-line block ×4, first 2 shown]
	s_addc_u32 s1, s39, s1
	v_lshlrev_b32_e32 v8, 2, v8
	s_waitcnt lgkmcnt(0)
	v_add_u32_sdwa v4, v4, v35 dst_sel:DWORD dst_unused:UNUSED_PAD src0_sel:DWORD src1_sel:WORD_0
	v_add_u32_sdwa v5, v5, v36 dst_sel:DWORD dst_unused:UNUSED_PAD src0_sel:DWORD src1_sel:WORD_0
	;; [unrolled: 1-line block ×4, first 2 shown]
	global_store_dwordx4 v8, v[0:3], s[0:1]
	global_store_dwordx4 v8, v[4:7], s[0:1] offset:16
	s_endpgm
	.section	.rodata,"a",@progbits
	.p2align	6, 0x0
	.amdhsa_kernel _Z11rank_kernelIhLj4ELb0EL18RadixRankAlgorithm1ELj128ELj8ELj10EEvPKT_Pi
		.amdhsa_group_segment_fixed_size 4104
		.amdhsa_private_segment_fixed_size 0
		.amdhsa_kernarg_size 16
		.amdhsa_user_sgpr_count 6
		.amdhsa_user_sgpr_private_segment_buffer 1
		.amdhsa_user_sgpr_dispatch_ptr 0
		.amdhsa_user_sgpr_queue_ptr 0
		.amdhsa_user_sgpr_kernarg_segment_ptr 1
		.amdhsa_user_sgpr_dispatch_id 0
		.amdhsa_user_sgpr_flat_scratch_init 0
		.amdhsa_user_sgpr_private_segment_size 0
		.amdhsa_uses_dynamic_stack 0
		.amdhsa_system_sgpr_private_segment_wavefront_offset 0
		.amdhsa_system_sgpr_workgroup_id_x 1
		.amdhsa_system_sgpr_workgroup_id_y 0
		.amdhsa_system_sgpr_workgroup_id_z 0
		.amdhsa_system_sgpr_workgroup_info 0
		.amdhsa_system_vgpr_workitem_id 0
		.amdhsa_next_free_vgpr 41
		.amdhsa_next_free_sgpr 61
		.amdhsa_reserve_vcc 1
		.amdhsa_reserve_flat_scratch 0
		.amdhsa_float_round_mode_32 0
		.amdhsa_float_round_mode_16_64 0
		.amdhsa_float_denorm_mode_32 3
		.amdhsa_float_denorm_mode_16_64 3
		.amdhsa_dx10_clamp 1
		.amdhsa_ieee_mode 1
		.amdhsa_fp16_overflow 0
		.amdhsa_exception_fp_ieee_invalid_op 0
		.amdhsa_exception_fp_denorm_src 0
		.amdhsa_exception_fp_ieee_div_zero 0
		.amdhsa_exception_fp_ieee_overflow 0
		.amdhsa_exception_fp_ieee_underflow 0
		.amdhsa_exception_fp_ieee_inexact 0
		.amdhsa_exception_int_div_zero 0
	.end_amdhsa_kernel
	.section	.text._Z11rank_kernelIhLj4ELb0EL18RadixRankAlgorithm1ELj128ELj8ELj10EEvPKT_Pi,"axG",@progbits,_Z11rank_kernelIhLj4ELb0EL18RadixRankAlgorithm1ELj128ELj8ELj10EEvPKT_Pi,comdat
.Lfunc_end52:
	.size	_Z11rank_kernelIhLj4ELb0EL18RadixRankAlgorithm1ELj128ELj8ELj10EEvPKT_Pi, .Lfunc_end52-_Z11rank_kernelIhLj4ELb0EL18RadixRankAlgorithm1ELj128ELj8ELj10EEvPKT_Pi
                                        ; -- End function
	.set _Z11rank_kernelIhLj4ELb0EL18RadixRankAlgorithm1ELj128ELj8ELj10EEvPKT_Pi.num_vgpr, 41
	.set _Z11rank_kernelIhLj4ELb0EL18RadixRankAlgorithm1ELj128ELj8ELj10EEvPKT_Pi.num_agpr, 0
	.set _Z11rank_kernelIhLj4ELb0EL18RadixRankAlgorithm1ELj128ELj8ELj10EEvPKT_Pi.numbered_sgpr, 42
	.set _Z11rank_kernelIhLj4ELb0EL18RadixRankAlgorithm1ELj128ELj8ELj10EEvPKT_Pi.num_named_barrier, 0
	.set _Z11rank_kernelIhLj4ELb0EL18RadixRankAlgorithm1ELj128ELj8ELj10EEvPKT_Pi.private_seg_size, 0
	.set _Z11rank_kernelIhLj4ELb0EL18RadixRankAlgorithm1ELj128ELj8ELj10EEvPKT_Pi.uses_vcc, 1
	.set _Z11rank_kernelIhLj4ELb0EL18RadixRankAlgorithm1ELj128ELj8ELj10EEvPKT_Pi.uses_flat_scratch, 0
	.set _Z11rank_kernelIhLj4ELb0EL18RadixRankAlgorithm1ELj128ELj8ELj10EEvPKT_Pi.has_dyn_sized_stack, 0
	.set _Z11rank_kernelIhLj4ELb0EL18RadixRankAlgorithm1ELj128ELj8ELj10EEvPKT_Pi.has_recursion, 0
	.set _Z11rank_kernelIhLj4ELb0EL18RadixRankAlgorithm1ELj128ELj8ELj10EEvPKT_Pi.has_indirect_call, 0
	.section	.AMDGPU.csdata,"",@progbits
; Kernel info:
; codeLenInByte = 2396
; TotalNumSgprs: 46
; NumVgprs: 41
; ScratchSize: 0
; MemoryBound: 0
; FloatMode: 240
; IeeeMode: 1
; LDSByteSize: 4104 bytes/workgroup (compile time only)
; SGPRBlocks: 8
; VGPRBlocks: 10
; NumSGPRsForWavesPerEU: 65
; NumVGPRsForWavesPerEU: 41
; Occupancy: 5
; WaveLimiterHint : 0
; COMPUTE_PGM_RSRC2:SCRATCH_EN: 0
; COMPUTE_PGM_RSRC2:USER_SGPR: 6
; COMPUTE_PGM_RSRC2:TRAP_HANDLER: 0
; COMPUTE_PGM_RSRC2:TGID_X_EN: 1
; COMPUTE_PGM_RSRC2:TGID_Y_EN: 0
; COMPUTE_PGM_RSRC2:TGID_Z_EN: 0
; COMPUTE_PGM_RSRC2:TIDIG_COMP_CNT: 0
	.section	.text._Z11rank_kernelIhLj4ELb0EL18RadixRankAlgorithm2ELj128ELj8ELj10EEvPKT_Pi,"axG",@progbits,_Z11rank_kernelIhLj4ELb0EL18RadixRankAlgorithm2ELj128ELj8ELj10EEvPKT_Pi,comdat
	.protected	_Z11rank_kernelIhLj4ELb0EL18RadixRankAlgorithm2ELj128ELj8ELj10EEvPKT_Pi ; -- Begin function _Z11rank_kernelIhLj4ELb0EL18RadixRankAlgorithm2ELj128ELj8ELj10EEvPKT_Pi
	.globl	_Z11rank_kernelIhLj4ELb0EL18RadixRankAlgorithm2ELj128ELj8ELj10EEvPKT_Pi
	.p2align	8
	.type	_Z11rank_kernelIhLj4ELb0EL18RadixRankAlgorithm2ELj128ELj8ELj10EEvPKT_Pi,@function
_Z11rank_kernelIhLj4ELb0EL18RadixRankAlgorithm2ELj128ELj8ELj10EEvPKT_Pi: ; @_Z11rank_kernelIhLj4ELb0EL18RadixRankAlgorithm2ELj128ELj8ELj10EEvPKT_Pi
; %bb.0:
	s_load_dwordx4 s[8:11], s[4:5], 0x0
	s_load_dword s2, s[4:5], 0x1c
	s_lshl_b32 s0, s6, 10
	s_mov_b32 s1, 0
                                        ; implicit-def: $vgpr169 : SGPR spill to VGPR lane
	v_lshlrev_b32_e32 v7, 3, v0
	v_writelane_b32 v169, s0, 0
	v_writelane_b32 v169, s1, 1
	s_waitcnt lgkmcnt(0)
	s_add_u32 s0, s8, s0
	s_addc_u32 s1, s9, 0
	s_mov_b64 s[6:7], s[10:11]
	v_writelane_b32 v169, s4, 2
	global_load_dwordx2 v[5:6], v7, s[0:1]
	v_mbcnt_lo_u32_b32 v4, -1, 0
	v_writelane_b32 v169, s5, 3
	s_lshr_b32 s0, s2, 16
	v_mbcnt_hi_u32_b32 v4, -1, v4
	v_writelane_b32 v169, s6, 4
	s_and_b32 s1, s2, 0xffff
	v_mad_u32_u24 v1, v2, s0, v1
	v_and_b32_e32 v8, 15, v4
	v_writelane_b32 v169, s7, 5
	v_mad_u32_u24 v1, v1, s1, v0
	v_cmp_eq_u32_e64 s[68:69], 0, v8
	v_cmp_lt_u32_e64 s[0:1], 1, v8
	v_cmp_lt_u32_e64 s[2:3], 3, v8
	;; [unrolled: 1-line block ×3, first 2 shown]
	v_and_b32_e32 v8, 16, v4
	v_cmp_eq_u32_e64 s[6:7], 0, v8
	v_or_b32_e32 v8, 63, v0
	v_lshlrev_b32_e32 v2, 2, v0
	v_cmp_eq_u32_e64 s[10:11], v0, v8
	v_cmp_gt_u32_e64 s[12:13], 2, v0
	v_cmp_lt_u32_e64 s[14:15], 63, v0
	v_lshrrev_b32_e32 v0, 4, v0
	v_subrev_co_u32_e64 v8, s[16:17], 1, v4
	v_and_b32_e32 v9, 64, v4
	v_and_b32_e32 v10, 4, v0
	v_and_b32_e32 v0, 1, v4
	v_cmp_lt_i32_e32 vcc, v8, v9
	v_cmp_eq_u32_e64 s[18:19], 0, v0
	v_lshrrev_b32_e32 v0, 4, v1
	v_cndmask_b32_e32 v8, v8, v4, vcc
	v_writelane_b32 v169, s18, 6
	v_writelane_b32 v169, s19, 7
	v_mov_b32_e32 v3, 0
	v_cmp_lt_u32_e64 s[8:9], 31, v4
	v_mov_b32_e32 v70, 30
	v_mov_b32_e32 v72, 29
	;; [unrolled: 1-line block ×5, first 2 shown]
	v_and_b32_e32 v9, 0xffffffc, v0
	s_mov_b32 s33, 10
	v_lshlrev_b32_e32 v8, 2, v8
	v_add_u32_e32 v11, -4, v10
	s_waitcnt vmcnt(0)
	v_and_b32_e32 v1, 1, v5
	v_add_co_u32_e32 v12, vcc, -1, v1
	v_addc_co_u32_e64 v13, s[18:19], 0, -1, vcc
	v_cmp_eq_u32_e64 s[18:19], 1, v1
	v_writelane_b32 v169, s18, 8
	v_lshlrev_b32_e32 v4, 30, v5
	v_writelane_b32 v169, s19, 9
	v_cmp_gt_i64_e64 s[18:19], 0, v[3:4]
	v_not_b32_e32 v1, v4
	v_writelane_b32 v169, s18, 10
	v_lshlrev_b32_e32 v4, 29, v5
	v_writelane_b32 v169, s19, 11
	v_cmp_gt_i64_e64 s[18:19], 0, v[3:4]
	v_ashrrev_i32_e32 v14, 31, v1
	v_writelane_b32 v169, s18, 12
	v_not_b32_e32 v1, v4
	v_lshlrev_b32_e32 v4, 28, v5
	v_writelane_b32 v169, s19, 13
	v_cmp_gt_i64_e64 s[18:19], 0, v[3:4]
	v_ashrrev_i32_e32 v16, 31, v1
	v_not_b32_e32 v1, v4
	v_bfe_u32 v4, v5, 8, 1
	v_writelane_b32 v169, s18, 14
	v_add_co_u32_e32 v20, vcc, -1, v4
	v_writelane_b32 v169, s19, 15
	v_addc_co_u32_e64 v21, s[18:19], 0, -1, vcc
	v_and_b32_e32 v4, 0x100, v5
	v_lshrrev_b32_e32 v26, 8, v5
	v_cmp_ne_u32_e64 s[18:19], 0, v4
	v_writelane_b32 v169, s18, 16
	v_lshlrev_b32_e32 v4, 30, v26
	v_writelane_b32 v169, s19, 17
	v_cmp_gt_i64_e64 s[18:19], 0, v[3:4]
	v_not_b32_e32 v4, v4
	v_writelane_b32 v169, s18, 18
	v_ashrrev_i32_e32 v22, 31, v4
	v_lshlrev_b32_e32 v4, 29, v26
	v_writelane_b32 v169, s19, 19
	v_cmp_gt_i64_e64 s[18:19], 0, v[3:4]
	v_not_b32_e32 v4, v4
	v_writelane_b32 v169, s18, 20
	v_ashrrev_i32_e32 v24, 31, v4
	v_lshlrev_b32_e32 v4, 28, v26
	v_writelane_b32 v169, s19, 21
	v_cmp_gt_i64_e64 s[18:19], 0, v[3:4]
	v_not_b32_e32 v4, v4
	v_ashrrev_i32_e32 v26, 31, v4
	v_bfe_u32 v4, v5, 16, 4
	v_mul_u32_u24_e32 v132, 12, v4
	v_bfe_u32 v4, v5, 16, 1
	v_writelane_b32 v169, s18, 22
	v_add_co_u32_e32 v28, vcc, -1, v4
	v_writelane_b32 v169, s19, 23
	v_addc_co_u32_e64 v29, s[18:19], 0, -1, vcc
	v_and_b32_e32 v4, 0x10000, v5
	v_cmp_ne_u32_e64 s[18:19], 0, v4
	v_writelane_b32 v169, s18, 24
	v_lshlrev_b32_sdwa v4, v70, v5 dst_sel:DWORD dst_unused:UNUSED_PAD src0_sel:DWORD src1_sel:WORD_1
	v_writelane_b32 v169, s19, 25
	v_cmp_gt_i64_e64 s[18:19], 0, v[3:4]
	v_not_b32_e32 v4, v4
	v_writelane_b32 v169, s18, 26
	v_ashrrev_i32_e32 v30, 31, v4
	v_lshlrev_b32_sdwa v4, v72, v5 dst_sel:DWORD dst_unused:UNUSED_PAD src0_sel:DWORD src1_sel:WORD_1
	v_writelane_b32 v169, s19, 27
	v_cmp_gt_i64_e64 s[18:19], 0, v[3:4]
	v_not_b32_e32 v4, v4
	v_writelane_b32 v169, s18, 28
	v_ashrrev_i32_e32 v32, 31, v4
	v_lshlrev_b32_sdwa v4, v74, v5 dst_sel:DWORD dst_unused:UNUSED_PAD src0_sel:DWORD src1_sel:WORD_1
	v_writelane_b32 v169, s19, 29
	v_cmp_gt_i64_e64 s[18:19], 0, v[3:4]
	v_not_b32_e32 v4, v4
	v_ashrrev_i32_e32 v34, 31, v4
	v_and_b32_sdwa v4, v5, v68 dst_sel:DWORD dst_unused:UNUSED_PAD src0_sel:BYTE_3 src1_sel:DWORD
	v_mul_u32_u24_e32 v140, 12, v4
	v_and_b32_sdwa v4, v5, v69 dst_sel:DWORD dst_unused:UNUSED_PAD src0_sel:BYTE_3 src1_sel:DWORD
	v_writelane_b32 v169, s18, 30
	v_add_co_u32_e32 v36, vcc, -1, v4
	v_writelane_b32 v169, s19, 31
	v_addc_co_u32_e64 v37, s[18:19], 0, -1, vcc
	v_cmp_eq_u32_e64 s[18:19], 1, v4
	v_writelane_b32 v169, s18, 32
	v_lshlrev_b32_sdwa v4, v70, v5 dst_sel:DWORD dst_unused:UNUSED_PAD src0_sel:DWORD src1_sel:BYTE_3
	v_writelane_b32 v169, s19, 33
	v_cmp_gt_i64_e64 s[18:19], 0, v[3:4]
	v_not_b32_e32 v4, v4
	v_writelane_b32 v169, s18, 34
	v_ashrrev_i32_e32 v38, 31, v4
	v_lshlrev_b32_sdwa v4, v72, v5 dst_sel:DWORD dst_unused:UNUSED_PAD src0_sel:DWORD src1_sel:BYTE_3
	v_writelane_b32 v169, s19, 35
	v_cmp_gt_i64_e64 s[18:19], 0, v[3:4]
	v_not_b32_e32 v4, v4
	v_writelane_b32 v169, s18, 36
	v_ashrrev_i32_e32 v40, 31, v4
	v_lshlrev_b32_sdwa v4, v74, v5 dst_sel:DWORD dst_unused:UNUSED_PAD src0_sel:DWORD src1_sel:BYTE_3
	v_writelane_b32 v169, s19, 37
	v_cmp_gt_i64_e64 s[18:19], 0, v[3:4]
	v_not_b32_e32 v4, v4
	v_ashrrev_i32_e32 v42, 31, v4
	v_and_b32_e32 v4, 15, v6
	v_mul_u32_u24_e32 v141, 12, v4
	v_and_b32_e32 v4, 1, v6
	v_writelane_b32 v169, s18, 38
	v_add_co_u32_e32 v44, vcc, -1, v4
	v_writelane_b32 v169, s19, 39
	v_addc_co_u32_e64 v45, s[18:19], 0, -1, vcc
	v_cmp_eq_u32_e64 s[18:19], 1, v4
	v_writelane_b32 v169, s18, 40
	v_lshlrev_b32_e32 v4, 30, v6
	v_writelane_b32 v169, s19, 41
	v_cmp_gt_i64_e64 s[18:19], 0, v[3:4]
	v_not_b32_e32 v4, v4
	v_writelane_b32 v169, s18, 42
	v_ashrrev_i32_e32 v46, 31, v4
	v_lshlrev_b32_e32 v4, 29, v6
	v_writelane_b32 v169, s19, 43
	v_cmp_gt_i64_e64 s[18:19], 0, v[3:4]
	v_not_b32_e32 v4, v4
	v_writelane_b32 v169, s18, 44
	v_ashrrev_i32_e32 v48, 31, v4
	v_lshlrev_b32_e32 v4, 28, v6
	v_lshrrev_b32_e32 v118, 8, v6
	v_writelane_b32 v169, s19, 45
	v_cmp_gt_i64_e64 s[18:19], 0, v[3:4]
	v_not_b32_e32 v4, v4
	v_ashrrev_i32_e32 v50, 31, v4
	v_and_b32_e32 v4, 15, v118
	v_mul_u32_u24_e32 v142, 12, v4
	v_and_b32_e32 v4, 1, v118
	v_writelane_b32 v169, s18, 46
	v_add_co_u32_e32 v52, vcc, -1, v4
	v_writelane_b32 v169, s19, 47
	v_addc_co_u32_e64 v53, s[18:19], 0, -1, vcc
	v_cmp_eq_u32_e64 s[18:19], 1, v4
	v_writelane_b32 v169, s18, 48
	v_lshlrev_b32_e32 v4, 30, v118
	v_writelane_b32 v169, s19, 49
	v_cmp_gt_i64_e64 s[18:19], 0, v[3:4]
	v_not_b32_e32 v4, v4
	v_writelane_b32 v169, s18, 50
	v_ashrrev_i32_e32 v54, 31, v4
	v_lshlrev_b32_e32 v4, 29, v118
	v_writelane_b32 v169, s19, 51
	v_cmp_gt_i64_e64 s[18:19], 0, v[3:4]
	v_not_b32_e32 v4, v4
	v_writelane_b32 v169, s18, 52
	v_ashrrev_i32_e32 v56, 31, v4
	v_lshlrev_b32_e32 v4, 28, v118
	v_lshrrev_b32_e32 v126, 16, v6
	v_writelane_b32 v169, s19, 53
	v_cmp_gt_i64_e64 s[18:19], 0, v[3:4]
	v_not_b32_e32 v4, v4
	v_ashrrev_i32_e32 v58, 31, v4
	v_and_b32_e32 v4, 15, v126
	v_mul_u32_u24_e32 v143, 12, v4
	v_and_b32_e32 v4, 1, v126
	v_writelane_b32 v169, s18, 54
	v_add_co_u32_e32 v60, vcc, -1, v4
	v_writelane_b32 v169, s19, 55
	v_addc_co_u32_e64 v61, s[18:19], 0, -1, vcc
	v_cmp_eq_u32_e64 s[18:19], 1, v4
	v_writelane_b32 v169, s18, 56
	v_lshlrev_b32_e32 v4, 30, v126
	v_writelane_b32 v169, s19, 57
	v_cmp_gt_i64_e64 s[18:19], 0, v[3:4]
	v_not_b32_e32 v4, v4
	v_writelane_b32 v169, s18, 58
	v_ashrrev_i32_e32 v62, 31, v4
	v_lshlrev_b32_e32 v4, 29, v126
	v_writelane_b32 v169, s19, 59
	v_cmp_gt_i64_e64 s[18:19], 0, v[3:4]
	v_not_b32_e32 v4, v4
	v_writelane_b32 v169, s18, 60
	v_ashrrev_i32_e32 v64, 31, v4
	v_lshlrev_b32_e32 v4, 28, v126
	v_writelane_b32 v169, s19, 61
	v_cmp_gt_i64_e64 s[18:19], 0, v[3:4]
	v_not_b32_e32 v4, v4
	v_ashrrev_i32_e32 v66, 31, v4
	v_and_b32_sdwa v4, v6, v68 dst_sel:DWORD dst_unused:UNUSED_PAD src0_sel:BYTE_3 src1_sel:DWORD
	v_mul_u32_u24_e32 v149, 12, v4
	v_and_b32_sdwa v4, v6, v69 dst_sel:DWORD dst_unused:UNUSED_PAD src0_sel:BYTE_3 src1_sel:DWORD
	v_add_co_u32_e32 v68, vcc, -1, v4
	v_cmp_eq_u32_e64 s[78:79], 1, v4
	v_lshlrev_b32_sdwa v4, v70, v6 dst_sel:DWORD dst_unused:UNUSED_PAD src0_sel:DWORD src1_sel:BYTE_3
	v_cmp_gt_i64_e64 s[80:81], 0, v[3:4]
	v_not_b32_e32 v4, v4
	v_ashrrev_i32_e32 v70, 31, v4
	v_lshlrev_b32_sdwa v4, v72, v6 dst_sel:DWORD dst_unused:UNUSED_PAD src0_sel:DWORD src1_sel:BYTE_3
	v_cmp_gt_i64_e64 s[82:83], 0, v[3:4]
	v_not_b32_e32 v4, v4
	v_ashrrev_i32_e32 v72, 31, v4
	v_lshlrev_b32_sdwa v4, v74, v6 dst_sel:DWORD dst_unused:UNUSED_PAD src0_sel:DWORD src1_sel:BYTE_3
	v_cmp_gt_i64_e64 s[84:85], 0, v[3:4]
	v_not_b32_e32 v4, v4
	v_ashrrev_i32_e32 v74, 31, v4
	v_bfe_u32 v4, v5, 4, 4
	v_writelane_b32 v169, s18, 62
	v_mul_u32_u24_e32 v76, 12, v4
	v_bfe_u32 v4, v5, 4, 1
	v_writelane_b32 v169, s19, 63
	v_addc_co_u32_e64 v69, s[18:19], 0, -1, vcc
	v_lshrrev_b32_e32 v83, 4, v5
	v_add_co_u32_e32 v77, vcc, -1, v4
	v_and_b32_e32 v4, 16, v5
	v_cmp_ne_u32_e64 s[86:87], 0, v4
	v_lshlrev_b32_e32 v4, 30, v83
	v_cmp_gt_i64_e64 s[88:89], 0, v[3:4]
	v_not_b32_e32 v4, v4
	v_ashrrev_i32_e32 v79, 31, v4
	v_lshlrev_b32_e32 v4, 29, v83
	v_cmp_gt_i64_e64 s[90:91], 0, v[3:4]
	v_not_b32_e32 v4, v4
	v_ashrrev_i32_e32 v81, 31, v4
	;; [unrolled: 4-line block ×3, first 2 shown]
	v_bfe_u32 v4, v5, 12, 4
	v_mul_u32_u24_e32 v153, 12, v4
	v_bfe_u32 v4, v5, 12, 1
	v_addc_co_u32_e64 v78, s[18:19], 0, -1, vcc
	v_lshrrev_b32_e32 v91, 12, v5
	v_add_co_u32_e32 v85, vcc, -1, v4
	v_and_b32_e32 v4, 0x1000, v5
	v_addc_co_u32_e64 v86, s[18:19], 0, -1, vcc
	v_cmp_ne_u32_e64 s[94:95], 0, v4
	v_lshlrev_b32_e32 v4, 30, v91
	v_cmp_gt_i64_e64 s[18:19], 0, v[3:4]
	v_not_b32_e32 v4, v4
	v_ashrrev_i32_e32 v87, 31, v4
	v_lshlrev_b32_e32 v4, 29, v91
	v_cmp_gt_i64_e64 s[20:21], 0, v[3:4]
	v_not_b32_e32 v4, v4
	v_ashrrev_i32_e32 v89, 31, v4
	;; [unrolled: 4-line block ×3, first 2 shown]
	v_bfe_u32 v4, v5, 20, 4
	v_mul_u32_u24_e32 v154, 12, v4
	v_bfe_u32 v4, v5, 20, 1
	v_add_co_u32_e32 v93, vcc, -1, v4
	v_lshrrev_b32_e32 v99, 20, v5
	v_addc_co_u32_e64 v94, s[24:25], 0, -1, vcc
	v_and_b32_e32 v4, 0x100000, v5
	v_cmp_ne_u32_e64 s[24:25], 0, v4
	v_lshlrev_b32_e32 v4, 30, v99
	v_cmp_gt_i64_e64 s[26:27], 0, v[3:4]
	v_not_b32_e32 v4, v4
	v_ashrrev_i32_e32 v95, 31, v4
	v_lshlrev_b32_e32 v4, 29, v99
	v_cmp_gt_i64_e64 s[28:29], 0, v[3:4]
	v_not_b32_e32 v4, v4
	v_ashrrev_i32_e32 v97, 31, v4
	;; [unrolled: 4-line block ×3, first 2 shown]
	v_bfe_u32 v4, v5, 28, 1
	v_add_co_u32_e32 v101, vcc, -1, v4
	v_lshrrev_b32_e32 v105, 28, v5
	v_addc_co_u32_e64 v102, s[34:35], 0, -1, vcc
	v_and_b32_e32 v4, 0x10000000, v5
	v_cmp_ne_u32_e64 s[34:35], 0, v4
	v_lshlrev_b32_e32 v4, 30, v105
	v_cmp_gt_i64_e64 s[36:37], 0, v[3:4]
	v_not_b32_e32 v4, v4
	v_ashrrev_i32_e32 v103, 31, v4
	v_lshlrev_b32_e32 v4, 29, v105
	v_cmp_gt_i64_e64 s[38:39], 0, v[3:4]
	v_not_b32_e32 v4, v4
	v_mul_u32_u24_e32 v155, 12, v105
	v_ashrrev_i32_e32 v105, 31, v4
	v_and_b32_e32 v4, 0xf0000000, v5
	v_cmp_gt_i64_e64 s[40:41], 0, v[3:4]
	v_not_b32_e32 v4, v4
	v_and_b32_e32 v0, 15, v5
	v_ashrrev_i32_e32 v18, 31, v1
	v_bfe_u32 v1, v5, 8, 4
	v_ashrrev_i32_e32 v5, 31, v4
	v_bfe_u32 v4, v6, 4, 4
	v_mul_u32_u24_e32 v156, 12, v4
	v_bfe_u32 v4, v6, 4, 1
	v_add_co_u32_e32 v108, vcc, -1, v4
	v_lshrrev_b32_e32 v114, 4, v6
	v_addc_co_u32_e64 v109, s[42:43], 0, -1, vcc
	v_and_b32_e32 v4, 16, v6
	v_cmp_ne_u32_e64 s[42:43], 0, v4
	v_lshlrev_b32_e32 v4, 30, v114
	v_cmp_gt_i64_e64 s[44:45], 0, v[3:4]
	v_not_b32_e32 v4, v4
	v_ashrrev_i32_e32 v110, 31, v4
	v_lshlrev_b32_e32 v4, 29, v114
	v_cmp_gt_i64_e64 s[46:47], 0, v[3:4]
	v_not_b32_e32 v4, v4
	v_ashrrev_i32_e32 v112, 31, v4
	v_lshlrev_b32_e32 v4, 28, v114
	v_cmp_gt_i64_e64 s[48:49], 0, v[3:4]
	v_not_b32_e32 v4, v4
	v_ashrrev_i32_e32 v114, 31, v4
	v_bfe_u32 v4, v118, 4, 4
	v_mul_u32_u24_e32 v157, 12, v4
	v_bfe_u32 v4, v118, 4, 1
	v_add_co_u32_e32 v116, vcc, -1, v4
	v_lshrrev_b32_e32 v122, 4, v118
	v_addc_co_u32_e64 v117, s[50:51], 0, -1, vcc
	v_and_b32_e32 v4, 16, v118
	v_cmp_ne_u32_e64 s[50:51], 0, v4
	v_lshlrev_b32_e32 v4, 30, v122
	v_cmp_gt_i64_e64 s[52:53], 0, v[3:4]
	v_not_b32_e32 v4, v4
	v_ashrrev_i32_e32 v118, 31, v4
	v_lshlrev_b32_e32 v4, 29, v122
	v_cmp_gt_i64_e64 s[54:55], 0, v[3:4]
	v_not_b32_e32 v4, v4
	v_ashrrev_i32_e32 v120, 31, v4
	v_lshlrev_b32_e32 v4, 28, v122
	v_cmp_gt_i64_e64 s[56:57], 0, v[3:4]
	v_not_b32_e32 v4, v4
	;; [unrolled: 20-line block ×3, first 2 shown]
	v_lshrrev_b32_e32 v138, 28, v6
	v_ashrrev_i32_e32 v130, 31, v4
	v_and_b32_e32 v4, 1, v138
	v_add_co_u32_e32 v6, vcc, -1, v4
	v_addc_co_u32_e64 v133, s[66:67], 0, -1, vcc
	v_cmp_eq_u32_e64 s[66:67], 1, v4
	v_lshlrev_b32_e32 v4, 30, v138
	v_cmp_gt_i64_e64 s[70:71], 0, v[3:4]
	v_not_b32_e32 v4, v4
	v_ashrrev_i32_e32 v134, 31, v4
	v_lshlrev_b32_e32 v4, 29, v138
	v_cmp_gt_i64_e64 s[72:73], 0, v[3:4]
	v_not_b32_e32 v4, v4
	v_ashrrev_i32_e32 v136, 31, v4
	v_lshlrev_b32_e32 v4, 28, v138
	v_cmp_gt_i64_e64 s[74:75], 0, v[3:4]
	v_not_b32_e32 v4, v4
	v_mul_u32_u24_e32 v0, 12, v0
	v_mul_u32_u24_e32 v1, 12, v1
	;; [unrolled: 1-line block ×3, first 2 shown]
	v_ashrrev_i32_e32 v138, 31, v4
	v_mov_b32_e32 v15, v14
	v_mov_b32_e32 v17, v16
	;; [unrolled: 1-line block ×48, first 2 shown]
	v_add_u32_e32 v144, v9, v0
	v_add_u32_e32 v145, v9, v1
	;; [unrolled: 1-line block ×15, first 2 shown]
	s_branch .LBB53_2
.LBB53_1:                               ;   in Loop: Header=BB53_2 Depth=1
	s_or_b64 exec, exec, s[76:77]
	s_waitcnt lgkmcnt(0)
	v_add_u32_e32 v0, v1, v0
	ds_bpermute_b32 v0, v8, v0
	s_add_i32 s33, s33, -1
	s_cmp_eq_u32 s33, 0
	s_waitcnt lgkmcnt(0)
	v_cndmask_b32_e64 v0, v0, v1, s[16:17]
	ds_write_b32 v2, v0 offset:8
	s_waitcnt lgkmcnt(0)
	s_barrier
	s_cbranch_scc1 .LBB53_46
.LBB53_2:                               ; =>This Inner Loop Header: Depth=1
	v_readlane_b32 s76, v169, 8
	v_readlane_b32 s77, v169, 9
	v_cndmask_b32_e64 v0, 0, 1, s[76:77]
	v_readlane_b32 s76, v169, 10
	v_readlane_b32 s77, v169, 11
	v_cmp_ne_u32_e32 vcc, 0, v0
	v_cndmask_b32_e64 v153, 0, 1, s[76:77]
	v_xor_b32_e32 v0, vcc_hi, v13
	v_xor_b32_e32 v1, vcc_lo, v12
	v_cmp_ne_u32_e32 vcc, 0, v153
	v_readlane_b32 s76, v169, 12
	v_and_b32_e32 v0, exec_hi, v0
	v_xor_b32_e32 v153, vcc_hi, v15
	v_readlane_b32 s77, v169, 13
	v_and_b32_e32 v0, v0, v153
	v_cndmask_b32_e64 v153, 0, 1, s[76:77]
	v_and_b32_e32 v1, exec_lo, v1
	v_xor_b32_e32 v154, vcc_lo, v14
	v_cmp_ne_u32_e32 vcc, 0, v153
	v_readlane_b32 s76, v169, 14
	v_and_b32_e32 v1, v1, v154
	v_xor_b32_e32 v153, vcc_hi, v17
	v_xor_b32_e32 v154, vcc_lo, v16
	v_readlane_b32 s77, v169, 15
	v_and_b32_e32 v0, v0, v153
	v_and_b32_e32 v153, v1, v154
	v_cndmask_b32_e64 v1, 0, 1, s[76:77]
	v_cmp_ne_u32_e32 vcc, 0, v1
	v_xor_b32_e32 v1, vcc_hi, v19
	v_xor_b32_e32 v154, vcc_lo, v18
	v_and_b32_e32 v1, v0, v1
	v_and_b32_e32 v0, v153, v154
	v_mbcnt_lo_u32_b32 v153, v0, 0
	v_mbcnt_hi_u32_b32 v153, v1, v153
	v_cmp_ne_u64_e64 s[76:77], 0, v[0:1]
	v_cmp_eq_u32_e32 vcc, 0, v153
	s_and_b64 vcc, s[76:77], vcc
	ds_write_b32 v2, v3 offset:8
	s_waitcnt lgkmcnt(0)
	s_barrier
	; wave barrier
	s_and_saveexec_b64 s[76:77], vcc
; %bb.3:                                ;   in Loop: Header=BB53_2 Depth=1
	v_bcnt_u32_b32 v0, v0, 0
	v_bcnt_u32_b32 v0, v1, v0
	ds_write_b32 v144, v0 offset:8
; %bb.4:                                ;   in Loop: Header=BB53_2 Depth=1
	s_or_b64 exec, exec, s[76:77]
	v_readlane_b32 s76, v169, 16
	v_readlane_b32 s77, v169, 17
	v_cndmask_b32_e64 v0, 0, 1, s[76:77]
	v_readlane_b32 s76, v169, 18
	v_readlane_b32 s77, v169, 19
	v_cmp_ne_u32_e32 vcc, 0, v0
	v_cndmask_b32_e64 v154, 0, 1, s[76:77]
	v_xor_b32_e32 v0, vcc_hi, v21
	v_xor_b32_e32 v1, vcc_lo, v20
	v_cmp_ne_u32_e32 vcc, 0, v154
	v_readlane_b32 s76, v169, 20
	v_and_b32_e32 v0, exec_hi, v0
	v_xor_b32_e32 v154, vcc_hi, v23
	v_readlane_b32 s77, v169, 21
	v_and_b32_e32 v0, v0, v154
	v_cndmask_b32_e64 v154, 0, 1, s[76:77]
	v_and_b32_e32 v1, exec_lo, v1
	v_xor_b32_e32 v155, vcc_lo, v22
	v_cmp_ne_u32_e32 vcc, 0, v154
	v_readlane_b32 s76, v169, 22
	v_and_b32_e32 v1, v1, v155
	v_xor_b32_e32 v154, vcc_hi, v25
	v_xor_b32_e32 v155, vcc_lo, v24
	v_readlane_b32 s77, v169, 23
	v_and_b32_e32 v0, v0, v154
	v_and_b32_e32 v154, v1, v155
	v_cndmask_b32_e64 v1, 0, 1, s[76:77]
	v_cmp_ne_u32_e32 vcc, 0, v1
	v_xor_b32_e32 v1, vcc_hi, v27
	v_xor_b32_e32 v155, vcc_lo, v26
	; wave barrier
	ds_read_b32 v153, v145 offset:8
	v_and_b32_e32 v1, v0, v1
	v_and_b32_e32 v0, v154, v155
	v_mbcnt_lo_u32_b32 v154, v0, 0
	v_mbcnt_hi_u32_b32 v154, v1, v154
	v_cmp_ne_u64_e32 vcc, 0, v[0:1]
	v_cmp_eq_u32_e64 s[76:77], 0, v154
	s_and_b64 vcc, vcc, s[76:77]
	; wave barrier
	s_and_saveexec_b64 s[76:77], vcc
	s_cbranch_execz .LBB53_6
; %bb.5:                                ;   in Loop: Header=BB53_2 Depth=1
	v_bcnt_u32_b32 v0, v0, 0
	v_bcnt_u32_b32 v0, v1, v0
	s_waitcnt lgkmcnt(0)
	v_add_u32_e32 v0, v153, v0
	ds_write_b32 v145, v0 offset:8
.LBB53_6:                               ;   in Loop: Header=BB53_2 Depth=1
	s_or_b64 exec, exec, s[76:77]
	v_readlane_b32 s76, v169, 24
	v_readlane_b32 s77, v169, 25
	v_cndmask_b32_e64 v0, 0, 1, s[76:77]
	v_readlane_b32 s76, v169, 26
	v_readlane_b32 s77, v169, 27
	v_cmp_ne_u32_e32 vcc, 0, v0
	v_cndmask_b32_e64 v154, 0, 1, s[76:77]
	v_xor_b32_e32 v0, vcc_hi, v29
	v_xor_b32_e32 v1, vcc_lo, v28
	v_cmp_ne_u32_e32 vcc, 0, v154
	v_readlane_b32 s76, v169, 28
	v_and_b32_e32 v0, exec_hi, v0
	v_xor_b32_e32 v154, vcc_hi, v31
	v_readlane_b32 s77, v169, 29
	v_and_b32_e32 v0, v0, v154
	v_cndmask_b32_e64 v154, 0, 1, s[76:77]
	v_and_b32_e32 v1, exec_lo, v1
	v_xor_b32_e32 v155, vcc_lo, v30
	v_cmp_ne_u32_e32 vcc, 0, v154
	v_readlane_b32 s76, v169, 30
	v_and_b32_e32 v1, v1, v155
	v_xor_b32_e32 v154, vcc_hi, v33
	v_xor_b32_e32 v155, vcc_lo, v32
	v_readlane_b32 s77, v169, 31
	v_and_b32_e32 v0, v0, v154
	v_and_b32_e32 v154, v1, v155
	v_cndmask_b32_e64 v1, 0, 1, s[76:77]
	v_cmp_ne_u32_e32 vcc, 0, v1
	v_xor_b32_e32 v1, vcc_hi, v35
	v_xor_b32_e32 v155, vcc_lo, v34
	; wave barrier
	s_waitcnt lgkmcnt(0)
	ds_read_b32 v153, v146 offset:8
	v_and_b32_e32 v1, v0, v1
	v_and_b32_e32 v0, v154, v155
	v_mbcnt_lo_u32_b32 v154, v0, 0
	v_mbcnt_hi_u32_b32 v154, v1, v154
	v_cmp_ne_u64_e32 vcc, 0, v[0:1]
	v_cmp_eq_u32_e64 s[76:77], 0, v154
	s_and_b64 vcc, vcc, s[76:77]
	; wave barrier
	s_and_saveexec_b64 s[76:77], vcc
	s_cbranch_execz .LBB53_8
; %bb.7:                                ;   in Loop: Header=BB53_2 Depth=1
	v_bcnt_u32_b32 v0, v0, 0
	v_bcnt_u32_b32 v0, v1, v0
	s_waitcnt lgkmcnt(0)
	v_add_u32_e32 v0, v153, v0
	ds_write_b32 v146, v0 offset:8
.LBB53_8:                               ;   in Loop: Header=BB53_2 Depth=1
	s_or_b64 exec, exec, s[76:77]
	v_readlane_b32 s76, v169, 32
	v_readlane_b32 s77, v169, 33
	v_cndmask_b32_e64 v0, 0, 1, s[76:77]
	v_readlane_b32 s76, v169, 34
	v_readlane_b32 s77, v169, 35
	v_cmp_ne_u32_e32 vcc, 0, v0
	v_cndmask_b32_e64 v154, 0, 1, s[76:77]
	v_xor_b32_e32 v0, vcc_hi, v37
	v_xor_b32_e32 v1, vcc_lo, v36
	v_cmp_ne_u32_e32 vcc, 0, v154
	v_readlane_b32 s76, v169, 36
	v_and_b32_e32 v0, exec_hi, v0
	v_xor_b32_e32 v154, vcc_hi, v39
	v_readlane_b32 s77, v169, 37
	v_and_b32_e32 v0, v0, v154
	v_cndmask_b32_e64 v154, 0, 1, s[76:77]
	v_and_b32_e32 v1, exec_lo, v1
	v_xor_b32_e32 v155, vcc_lo, v38
	v_cmp_ne_u32_e32 vcc, 0, v154
	v_readlane_b32 s76, v169, 38
	v_and_b32_e32 v1, v1, v155
	v_xor_b32_e32 v154, vcc_hi, v41
	v_xor_b32_e32 v155, vcc_lo, v40
	v_readlane_b32 s77, v169, 39
	v_and_b32_e32 v0, v0, v154
	v_and_b32_e32 v154, v1, v155
	v_cndmask_b32_e64 v1, 0, 1, s[76:77]
	v_cmp_ne_u32_e32 vcc, 0, v1
	v_xor_b32_e32 v1, vcc_hi, v43
	v_xor_b32_e32 v155, vcc_lo, v42
	; wave barrier
	s_waitcnt lgkmcnt(0)
	ds_read_b32 v153, v147 offset:8
	v_and_b32_e32 v1, v0, v1
	v_and_b32_e32 v0, v154, v155
	v_mbcnt_lo_u32_b32 v154, v0, 0
	v_mbcnt_hi_u32_b32 v154, v1, v154
	v_cmp_ne_u64_e32 vcc, 0, v[0:1]
	v_cmp_eq_u32_e64 s[76:77], 0, v154
	s_and_b64 vcc, vcc, s[76:77]
	; wave barrier
	s_and_saveexec_b64 s[76:77], vcc
	s_cbranch_execz .LBB53_10
; %bb.9:                                ;   in Loop: Header=BB53_2 Depth=1
	v_bcnt_u32_b32 v0, v0, 0
	v_bcnt_u32_b32 v0, v1, v0
	s_waitcnt lgkmcnt(0)
	v_add_u32_e32 v0, v153, v0
	ds_write_b32 v147, v0 offset:8
.LBB53_10:                              ;   in Loop: Header=BB53_2 Depth=1
	s_or_b64 exec, exec, s[76:77]
	v_readlane_b32 s76, v169, 40
	v_readlane_b32 s77, v169, 41
	v_cndmask_b32_e64 v0, 0, 1, s[76:77]
	v_readlane_b32 s76, v169, 42
	v_readlane_b32 s77, v169, 43
	v_cmp_ne_u32_e32 vcc, 0, v0
	v_cndmask_b32_e64 v154, 0, 1, s[76:77]
	v_xor_b32_e32 v0, vcc_hi, v45
	v_xor_b32_e32 v1, vcc_lo, v44
	v_cmp_ne_u32_e32 vcc, 0, v154
	v_readlane_b32 s76, v169, 44
	v_and_b32_e32 v0, exec_hi, v0
	v_xor_b32_e32 v154, vcc_hi, v47
	v_readlane_b32 s77, v169, 45
	v_and_b32_e32 v0, v0, v154
	v_cndmask_b32_e64 v154, 0, 1, s[76:77]
	v_and_b32_e32 v1, exec_lo, v1
	v_xor_b32_e32 v155, vcc_lo, v46
	v_cmp_ne_u32_e32 vcc, 0, v154
	v_readlane_b32 s76, v169, 46
	v_and_b32_e32 v1, v1, v155
	v_xor_b32_e32 v154, vcc_hi, v49
	v_xor_b32_e32 v155, vcc_lo, v48
	v_readlane_b32 s77, v169, 47
	v_and_b32_e32 v0, v0, v154
	v_and_b32_e32 v154, v1, v155
	v_cndmask_b32_e64 v1, 0, 1, s[76:77]
	v_cmp_ne_u32_e32 vcc, 0, v1
	v_xor_b32_e32 v1, vcc_hi, v51
	v_xor_b32_e32 v155, vcc_lo, v50
	; wave barrier
	s_waitcnt lgkmcnt(0)
	ds_read_b32 v153, v148 offset:8
	v_and_b32_e32 v1, v0, v1
	v_and_b32_e32 v0, v154, v155
	v_mbcnt_lo_u32_b32 v154, v0, 0
	v_mbcnt_hi_u32_b32 v154, v1, v154
	v_cmp_ne_u64_e32 vcc, 0, v[0:1]
	v_cmp_eq_u32_e64 s[76:77], 0, v154
	s_and_b64 vcc, vcc, s[76:77]
	; wave barrier
	s_and_saveexec_b64 s[76:77], vcc
	s_cbranch_execz .LBB53_12
; %bb.11:                               ;   in Loop: Header=BB53_2 Depth=1
	v_bcnt_u32_b32 v0, v0, 0
	v_bcnt_u32_b32 v0, v1, v0
	s_waitcnt lgkmcnt(0)
	v_add_u32_e32 v0, v153, v0
	ds_write_b32 v148, v0 offset:8
.LBB53_12:                              ;   in Loop: Header=BB53_2 Depth=1
	s_or_b64 exec, exec, s[76:77]
	v_readlane_b32 s76, v169, 48
	v_readlane_b32 s77, v169, 49
	v_cndmask_b32_e64 v0, 0, 1, s[76:77]
	v_readlane_b32 s76, v169, 50
	v_readlane_b32 s77, v169, 51
	v_cmp_ne_u32_e32 vcc, 0, v0
	v_cndmask_b32_e64 v154, 0, 1, s[76:77]
	v_xor_b32_e32 v0, vcc_hi, v53
	v_xor_b32_e32 v1, vcc_lo, v52
	v_cmp_ne_u32_e32 vcc, 0, v154
	v_readlane_b32 s76, v169, 52
	v_and_b32_e32 v0, exec_hi, v0
	v_xor_b32_e32 v154, vcc_hi, v55
	v_readlane_b32 s77, v169, 53
	v_and_b32_e32 v0, v0, v154
	v_cndmask_b32_e64 v154, 0, 1, s[76:77]
	v_and_b32_e32 v1, exec_lo, v1
	v_xor_b32_e32 v155, vcc_lo, v54
	v_cmp_ne_u32_e32 vcc, 0, v154
	v_readlane_b32 s76, v169, 54
	v_and_b32_e32 v1, v1, v155
	v_xor_b32_e32 v154, vcc_hi, v57
	v_xor_b32_e32 v155, vcc_lo, v56
	v_readlane_b32 s77, v169, 55
	v_and_b32_e32 v0, v0, v154
	v_and_b32_e32 v154, v1, v155
	v_cndmask_b32_e64 v1, 0, 1, s[76:77]
	v_cmp_ne_u32_e32 vcc, 0, v1
	v_xor_b32_e32 v1, vcc_hi, v59
	v_xor_b32_e32 v155, vcc_lo, v58
	; wave barrier
	s_waitcnt lgkmcnt(0)
	ds_read_b32 v153, v150 offset:8
	v_and_b32_e32 v1, v0, v1
	v_and_b32_e32 v0, v154, v155
	v_mbcnt_lo_u32_b32 v154, v0, 0
	v_mbcnt_hi_u32_b32 v154, v1, v154
	v_cmp_ne_u64_e32 vcc, 0, v[0:1]
	v_cmp_eq_u32_e64 s[76:77], 0, v154
	s_and_b64 vcc, vcc, s[76:77]
	; wave barrier
	s_and_saveexec_b64 s[76:77], vcc
	s_cbranch_execz .LBB53_14
; %bb.13:                               ;   in Loop: Header=BB53_2 Depth=1
	v_bcnt_u32_b32 v0, v0, 0
	v_bcnt_u32_b32 v0, v1, v0
	s_waitcnt lgkmcnt(0)
	v_add_u32_e32 v0, v153, v0
	ds_write_b32 v150, v0 offset:8
.LBB53_14:                              ;   in Loop: Header=BB53_2 Depth=1
	;; [unrolled: 51-line block ×3, first 2 shown]
	s_or_b64 exec, exec, s[76:77]
	v_cndmask_b32_e64 v0, 0, 1, s[78:79]
	v_cmp_ne_u32_e32 vcc, 0, v0
	v_cndmask_b32_e64 v154, 0, 1, s[80:81]
	v_xor_b32_e32 v0, vcc_hi, v69
	v_xor_b32_e32 v1, vcc_lo, v68
	v_cmp_ne_u32_e32 vcc, 0, v154
	v_and_b32_e32 v0, exec_hi, v0
	v_xor_b32_e32 v154, vcc_hi, v71
	v_and_b32_e32 v0, v0, v154
	v_cndmask_b32_e64 v154, 0, 1, s[82:83]
	v_and_b32_e32 v1, exec_lo, v1
	v_xor_b32_e32 v155, vcc_lo, v70
	v_cmp_ne_u32_e32 vcc, 0, v154
	v_and_b32_e32 v1, v1, v155
	v_xor_b32_e32 v154, vcc_hi, v73
	v_xor_b32_e32 v155, vcc_lo, v72
	v_and_b32_e32 v0, v0, v154
	v_and_b32_e32 v154, v1, v155
	v_cndmask_b32_e64 v1, 0, 1, s[84:85]
	v_cmp_ne_u32_e32 vcc, 0, v1
	v_xor_b32_e32 v1, vcc_hi, v75
	v_xor_b32_e32 v155, vcc_lo, v74
	; wave barrier
	s_waitcnt lgkmcnt(0)
	ds_read_b32 v153, v152 offset:8
	v_and_b32_e32 v1, v0, v1
	v_and_b32_e32 v0, v154, v155
	v_mbcnt_lo_u32_b32 v154, v0, 0
	v_mbcnt_hi_u32_b32 v154, v1, v154
	v_cmp_ne_u64_e32 vcc, 0, v[0:1]
	v_cmp_eq_u32_e64 s[76:77], 0, v154
	s_and_b64 vcc, vcc, s[76:77]
	; wave barrier
	s_and_saveexec_b64 s[76:77], vcc
	s_cbranch_execz .LBB53_18
; %bb.17:                               ;   in Loop: Header=BB53_2 Depth=1
	v_bcnt_u32_b32 v0, v0, 0
	v_bcnt_u32_b32 v0, v1, v0
	s_waitcnt lgkmcnt(0)
	v_add_u32_e32 v0, v153, v0
	ds_write_b32 v152, v0 offset:8
.LBB53_18:                              ;   in Loop: Header=BB53_2 Depth=1
	s_or_b64 exec, exec, s[76:77]
	; wave barrier
	s_waitcnt lgkmcnt(0)
	s_barrier
	ds_read_b32 v0, v2 offset:8
	s_waitcnt lgkmcnt(0)
	s_nop 0
	v_mov_b32_dpp v1, v0 row_shr:1 row_mask:0xf bank_mask:0xf
	v_cndmask_b32_e64 v1, v1, 0, s[68:69]
	v_add_u32_e32 v0, v1, v0
	s_nop 1
	v_mov_b32_dpp v1, v0 row_shr:2 row_mask:0xf bank_mask:0xf
	v_cndmask_b32_e64 v1, 0, v1, s[0:1]
	v_add_u32_e32 v0, v0, v1
	;; [unrolled: 4-line block ×4, first 2 shown]
	s_nop 1
	v_mov_b32_dpp v1, v0 row_bcast:15 row_mask:0xf bank_mask:0xf
	v_cndmask_b32_e64 v1, v1, 0, s[6:7]
	v_add_u32_e32 v0, v0, v1
	s_nop 1
	v_mov_b32_dpp v1, v0 row_bcast:31 row_mask:0xf bank_mask:0xf
	v_cndmask_b32_e64 v1, 0, v1, s[8:9]
	v_add_u32_e32 v0, v0, v1
	s_and_saveexec_b64 s[76:77], s[10:11]
; %bb.19:                               ;   in Loop: Header=BB53_2 Depth=1
	ds_write_b32 v10, v0
; %bb.20:                               ;   in Loop: Header=BB53_2 Depth=1
	s_or_b64 exec, exec, s[76:77]
	s_waitcnt lgkmcnt(0)
	s_barrier
	s_and_saveexec_b64 s[76:77], s[12:13]
	s_cbranch_execz .LBB53_22
; %bb.21:                               ;   in Loop: Header=BB53_2 Depth=1
	ds_read_b32 v1, v2
	v_readlane_b32 vcc_lo, v169, 6
	v_readlane_b32 vcc_hi, v169, 7
	s_waitcnt lgkmcnt(0)
	v_mov_b32_dpp v153, v1 row_shr:1 row_mask:0xf bank_mask:0xf
	v_cndmask_b32_e64 v153, v153, 0, vcc
	v_add_u32_e32 v1, v153, v1
	ds_write_b32 v2, v1
.LBB53_22:                              ;   in Loop: Header=BB53_2 Depth=1
	s_or_b64 exec, exec, s[76:77]
	v_mov_b32_e32 v1, 0
	s_waitcnt lgkmcnt(0)
	s_barrier
	s_and_saveexec_b64 s[76:77], s[14:15]
; %bb.23:                               ;   in Loop: Header=BB53_2 Depth=1
	ds_read_b32 v1, v11
; %bb.24:                               ;   in Loop: Header=BB53_2 Depth=1
	s_or_b64 exec, exec, s[76:77]
	s_waitcnt lgkmcnt(0)
	v_add_u32_e32 v0, v1, v0
	ds_bpermute_b32 v0, v8, v0
	v_cndmask_b32_e64 v153, 0, 1, s[88:89]
	s_waitcnt lgkmcnt(0)
	v_cndmask_b32_e64 v0, v0, v1, s[16:17]
	ds_write_b32 v2, v0 offset:8
	v_cndmask_b32_e64 v0, 0, 1, s[86:87]
	v_cmp_ne_u32_e32 vcc, 0, v0
	v_xor_b32_e32 v0, vcc_hi, v78
	v_xor_b32_e32 v1, vcc_lo, v77
	v_cmp_ne_u32_e32 vcc, 0, v153
	v_and_b32_e32 v0, exec_hi, v0
	v_xor_b32_e32 v153, vcc_hi, v80
	v_and_b32_e32 v0, v0, v153
	v_cndmask_b32_e64 v153, 0, 1, s[90:91]
	v_and_b32_e32 v1, exec_lo, v1
	v_xor_b32_e32 v154, vcc_lo, v79
	v_cmp_ne_u32_e32 vcc, 0, v153
	v_and_b32_e32 v1, v1, v154
	v_xor_b32_e32 v153, vcc_hi, v82
	v_xor_b32_e32 v154, vcc_lo, v81
	v_and_b32_e32 v0, v0, v153
	v_and_b32_e32 v153, v1, v154
	v_cndmask_b32_e64 v1, 0, 1, s[92:93]
	v_cmp_ne_u32_e32 vcc, 0, v1
	v_xor_b32_e32 v1, vcc_hi, v84
	v_xor_b32_e32 v154, vcc_lo, v83
	v_and_b32_e32 v1, v0, v1
	v_and_b32_e32 v0, v153, v154
	v_mbcnt_lo_u32_b32 v153, v0, 0
	v_mbcnt_hi_u32_b32 v153, v1, v153
	v_cmp_ne_u64_e32 vcc, 0, v[0:1]
	v_cmp_eq_u32_e64 s[76:77], 0, v153
	s_and_b64 vcc, vcc, s[76:77]
	s_waitcnt lgkmcnt(0)
	s_barrier
	ds_write_b32 v2, v3 offset:8
	s_waitcnt lgkmcnt(0)
	s_barrier
	; wave barrier
	s_and_saveexec_b64 s[76:77], vcc
; %bb.25:                               ;   in Loop: Header=BB53_2 Depth=1
	v_bcnt_u32_b32 v0, v0, 0
	v_bcnt_u32_b32 v0, v1, v0
	v_add_u32_e32 v1, v9, v76
	ds_write_b32 v1, v0 offset:8
; %bb.26:                               ;   in Loop: Header=BB53_2 Depth=1
	s_or_b64 exec, exec, s[76:77]
	v_cndmask_b32_e64 v0, 0, 1, s[94:95]
	v_cmp_ne_u32_e32 vcc, 0, v0
	v_cndmask_b32_e64 v155, 0, 1, s[18:19]
	v_xor_b32_e32 v0, vcc_hi, v86
	v_xor_b32_e32 v1, vcc_lo, v85
	v_cmp_ne_u32_e32 vcc, 0, v155
	v_and_b32_e32 v0, exec_hi, v0
	v_xor_b32_e32 v155, vcc_hi, v88
	v_and_b32_e32 v0, v0, v155
	v_cndmask_b32_e64 v155, 0, 1, s[20:21]
	v_and_b32_e32 v1, exec_lo, v1
	v_xor_b32_e32 v156, vcc_lo, v87
	v_cmp_ne_u32_e32 vcc, 0, v155
	v_and_b32_e32 v1, v1, v156
	v_xor_b32_e32 v155, vcc_hi, v90
	v_xor_b32_e32 v156, vcc_lo, v89
	v_and_b32_e32 v0, v0, v155
	v_and_b32_e32 v155, v1, v156
	v_cndmask_b32_e64 v1, 0, 1, s[22:23]
	v_cmp_ne_u32_e32 vcc, 0, v1
	v_xor_b32_e32 v1, vcc_hi, v92
	v_xor_b32_e32 v156, vcc_lo, v91
	; wave barrier
	ds_read_b32 v154, v4 offset:8
	v_and_b32_e32 v1, v0, v1
	v_and_b32_e32 v0, v155, v156
	v_mbcnt_lo_u32_b32 v155, v0, 0
	v_mbcnt_hi_u32_b32 v155, v1, v155
	v_cmp_ne_u64_e32 vcc, 0, v[0:1]
	v_cmp_eq_u32_e64 s[76:77], 0, v155
	s_and_b64 vcc, vcc, s[76:77]
	; wave barrier
	s_and_saveexec_b64 s[76:77], vcc
	s_cbranch_execz .LBB53_28
; %bb.27:                               ;   in Loop: Header=BB53_2 Depth=1
	v_bcnt_u32_b32 v0, v0, 0
	v_bcnt_u32_b32 v0, v1, v0
	s_waitcnt lgkmcnt(0)
	v_add_u32_e32 v0, v154, v0
	ds_write_b32 v4, v0 offset:8
.LBB53_28:                              ;   in Loop: Header=BB53_2 Depth=1
	s_or_b64 exec, exec, s[76:77]
	v_cndmask_b32_e64 v0, 0, 1, s[24:25]
	v_cmp_ne_u32_e32 vcc, 0, v0
	v_cndmask_b32_e64 v157, 0, 1, s[26:27]
	v_xor_b32_e32 v0, vcc_hi, v94
	v_xor_b32_e32 v1, vcc_lo, v93
	v_cmp_ne_u32_e32 vcc, 0, v157
	v_and_b32_e32 v0, exec_hi, v0
	v_xor_b32_e32 v157, vcc_hi, v96
	v_and_b32_e32 v0, v0, v157
	v_cndmask_b32_e64 v157, 0, 1, s[28:29]
	v_and_b32_e32 v1, exec_lo, v1
	v_xor_b32_e32 v158, vcc_lo, v95
	v_cmp_ne_u32_e32 vcc, 0, v157
	v_and_b32_e32 v1, v1, v158
	v_xor_b32_e32 v157, vcc_hi, v98
	v_xor_b32_e32 v158, vcc_lo, v97
	v_and_b32_e32 v0, v0, v157
	v_and_b32_e32 v157, v1, v158
	v_cndmask_b32_e64 v1, 0, 1, s[30:31]
	v_cmp_ne_u32_e32 vcc, 0, v1
	v_xor_b32_e32 v1, vcc_hi, v100
	v_xor_b32_e32 v158, vcc_lo, v99
	; wave barrier
	ds_read_b32 v156, v141 offset:8
	v_and_b32_e32 v1, v0, v1
	v_and_b32_e32 v0, v157, v158
	v_mbcnt_lo_u32_b32 v157, v0, 0
	v_mbcnt_hi_u32_b32 v157, v1, v157
	v_cmp_ne_u64_e32 vcc, 0, v[0:1]
	v_cmp_eq_u32_e64 s[76:77], 0, v157
	s_and_b64 vcc, vcc, s[76:77]
	; wave barrier
	s_and_saveexec_b64 s[76:77], vcc
	s_cbranch_execz .LBB53_30
; %bb.29:                               ;   in Loop: Header=BB53_2 Depth=1
	v_bcnt_u32_b32 v0, v0, 0
	v_bcnt_u32_b32 v0, v1, v0
	s_waitcnt lgkmcnt(0)
	v_add_u32_e32 v0, v156, v0
	ds_write_b32 v141, v0 offset:8
.LBB53_30:                              ;   in Loop: Header=BB53_2 Depth=1
	;; [unrolled: 42-line block ×7, first 2 shown]
	s_or_b64 exec, exec, s[76:77]
	; wave barrier
	s_waitcnt lgkmcnt(0)
	s_barrier
	ds_read_b32 v0, v2 offset:8
	s_waitcnt lgkmcnt(0)
	s_nop 0
	v_mov_b32_dpp v1, v0 row_shr:1 row_mask:0xf bank_mask:0xf
	v_cndmask_b32_e64 v1, v1, 0, s[68:69]
	v_add_u32_e32 v0, v1, v0
	s_nop 1
	v_mov_b32_dpp v1, v0 row_shr:2 row_mask:0xf bank_mask:0xf
	v_cndmask_b32_e64 v1, 0, v1, s[0:1]
	v_add_u32_e32 v0, v0, v1
	;; [unrolled: 4-line block ×4, first 2 shown]
	s_nop 1
	v_mov_b32_dpp v1, v0 row_bcast:15 row_mask:0xf bank_mask:0xf
	v_cndmask_b32_e64 v1, v1, 0, s[6:7]
	v_add_u32_e32 v0, v0, v1
	s_nop 1
	v_mov_b32_dpp v1, v0 row_bcast:31 row_mask:0xf bank_mask:0xf
	v_cndmask_b32_e64 v1, 0, v1, s[8:9]
	v_add_u32_e32 v0, v0, v1
	s_and_saveexec_b64 s[76:77], s[10:11]
; %bb.41:                               ;   in Loop: Header=BB53_2 Depth=1
	ds_write_b32 v10, v0
; %bb.42:                               ;   in Loop: Header=BB53_2 Depth=1
	s_or_b64 exec, exec, s[76:77]
	s_waitcnt lgkmcnt(0)
	s_barrier
	s_and_saveexec_b64 s[76:77], s[12:13]
	s_cbranch_execz .LBB53_44
; %bb.43:                               ;   in Loop: Header=BB53_2 Depth=1
	ds_read_b32 v1, v2
	v_readlane_b32 vcc_lo, v169, 6
	v_readlane_b32 vcc_hi, v169, 7
	s_waitcnt lgkmcnt(0)
	v_mov_b32_dpp v168, v1 row_shr:1 row_mask:0xf bank_mask:0xf
	v_cndmask_b32_e64 v168, v168, 0, vcc
	v_add_u32_e32 v1, v168, v1
	ds_write_b32 v2, v1
.LBB53_44:                              ;   in Loop: Header=BB53_2 Depth=1
	s_or_b64 exec, exec, s[76:77]
	v_mov_b32_e32 v1, 0
	s_waitcnt lgkmcnt(0)
	s_barrier
	s_and_saveexec_b64 s[76:77], s[14:15]
	s_cbranch_execz .LBB53_1
; %bb.45:                               ;   in Loop: Header=BB53_2 Depth=1
	ds_read_b32 v1, v11
	s_branch .LBB53_1
.LBB53_46:
	v_add_u32_e32 v0, v9, v76
	ds_read_b32 v5, v149 offset:8
	ds_read_b32 v3, v143 offset:8
	;; [unrolled: 1-line block ×8, first 2 shown]
	v_readlane_b32 s0, v169, 0
	v_readlane_b32 s4, v169, 2
	v_readlane_b32 s1, v169, 1
	v_readlane_b32 s6, v169, 4
	v_readlane_b32 s7, v169, 5
	s_lshl_b64 s[0:1], s[0:1], 2
	s_mov_b64 s[2:3], s[6:7]
	s_add_u32 s0, s2, s0
	s_waitcnt lgkmcnt(4)
	v_add_u32_e32 v0, v0, v153
	s_waitcnt lgkmcnt(3)
	v_add3_u32 v1, v155, v154, v1
	v_add3_u32 v2, v157, v156, v2
	;; [unrolled: 1-line block ×3, first 2 shown]
	s_waitcnt lgkmcnt(2)
	v_add3_u32 v10, v165, v164, v4
	s_addc_u32 s1, s3, s1
	v_lshlrev_b32_e32 v4, 2, v7
	s_waitcnt lgkmcnt(0)
	v_add3_u32 v8, v161, v160, v8
	v_add3_u32 v9, v163, v162, v6
	;; [unrolled: 1-line block ×3, first 2 shown]
	v_readlane_b32 s5, v169, 3
	global_store_dwordx4 v4, v[0:3], s[0:1]
	global_store_dwordx4 v4, v[8:11], s[0:1] offset:16
	s_endpgm
	.section	.rodata,"a",@progbits
	.p2align	6, 0x0
	.amdhsa_kernel _Z11rank_kernelIhLj4ELb0EL18RadixRankAlgorithm2ELj128ELj8ELj10EEvPKT_Pi
		.amdhsa_group_segment_fixed_size 520
		.amdhsa_private_segment_fixed_size 0
		.amdhsa_kernarg_size 272
		.amdhsa_user_sgpr_count 6
		.amdhsa_user_sgpr_private_segment_buffer 1
		.amdhsa_user_sgpr_dispatch_ptr 0
		.amdhsa_user_sgpr_queue_ptr 0
		.amdhsa_user_sgpr_kernarg_segment_ptr 1
		.amdhsa_user_sgpr_dispatch_id 0
		.amdhsa_user_sgpr_flat_scratch_init 0
		.amdhsa_user_sgpr_private_segment_size 0
		.amdhsa_uses_dynamic_stack 0
		.amdhsa_system_sgpr_private_segment_wavefront_offset 0
		.amdhsa_system_sgpr_workgroup_id_x 1
		.amdhsa_system_sgpr_workgroup_id_y 0
		.amdhsa_system_sgpr_workgroup_id_z 0
		.amdhsa_system_sgpr_workgroup_info 0
		.amdhsa_system_vgpr_workitem_id 2
		.amdhsa_next_free_vgpr 170
		.amdhsa_next_free_sgpr 96
		.amdhsa_reserve_vcc 1
		.amdhsa_reserve_flat_scratch 0
		.amdhsa_float_round_mode_32 0
		.amdhsa_float_round_mode_16_64 0
		.amdhsa_float_denorm_mode_32 3
		.amdhsa_float_denorm_mode_16_64 3
		.amdhsa_dx10_clamp 1
		.amdhsa_ieee_mode 1
		.amdhsa_fp16_overflow 0
		.amdhsa_exception_fp_ieee_invalid_op 0
		.amdhsa_exception_fp_denorm_src 0
		.amdhsa_exception_fp_ieee_div_zero 0
		.amdhsa_exception_fp_ieee_overflow 0
		.amdhsa_exception_fp_ieee_underflow 0
		.amdhsa_exception_fp_ieee_inexact 0
		.amdhsa_exception_int_div_zero 0
	.end_amdhsa_kernel
	.section	.text._Z11rank_kernelIhLj4ELb0EL18RadixRankAlgorithm2ELj128ELj8ELj10EEvPKT_Pi,"axG",@progbits,_Z11rank_kernelIhLj4ELb0EL18RadixRankAlgorithm2ELj128ELj8ELj10EEvPKT_Pi,comdat
.Lfunc_end53:
	.size	_Z11rank_kernelIhLj4ELb0EL18RadixRankAlgorithm2ELj128ELj8ELj10EEvPKT_Pi, .Lfunc_end53-_Z11rank_kernelIhLj4ELb0EL18RadixRankAlgorithm2ELj128ELj8ELj10EEvPKT_Pi
                                        ; -- End function
	.set _Z11rank_kernelIhLj4ELb0EL18RadixRankAlgorithm2ELj128ELj8ELj10EEvPKT_Pi.num_vgpr, 170
	.set _Z11rank_kernelIhLj4ELb0EL18RadixRankAlgorithm2ELj128ELj8ELj10EEvPKT_Pi.num_agpr, 0
	.set _Z11rank_kernelIhLj4ELb0EL18RadixRankAlgorithm2ELj128ELj8ELj10EEvPKT_Pi.numbered_sgpr, 96
	.set _Z11rank_kernelIhLj4ELb0EL18RadixRankAlgorithm2ELj128ELj8ELj10EEvPKT_Pi.num_named_barrier, 0
	.set _Z11rank_kernelIhLj4ELb0EL18RadixRankAlgorithm2ELj128ELj8ELj10EEvPKT_Pi.private_seg_size, 0
	.set _Z11rank_kernelIhLj4ELb0EL18RadixRankAlgorithm2ELj128ELj8ELj10EEvPKT_Pi.uses_vcc, 1
	.set _Z11rank_kernelIhLj4ELb0EL18RadixRankAlgorithm2ELj128ELj8ELj10EEvPKT_Pi.uses_flat_scratch, 0
	.set _Z11rank_kernelIhLj4ELb0EL18RadixRankAlgorithm2ELj128ELj8ELj10EEvPKT_Pi.has_dyn_sized_stack, 0
	.set _Z11rank_kernelIhLj4ELb0EL18RadixRankAlgorithm2ELj128ELj8ELj10EEvPKT_Pi.has_recursion, 0
	.set _Z11rank_kernelIhLj4ELb0EL18RadixRankAlgorithm2ELj128ELj8ELj10EEvPKT_Pi.has_indirect_call, 0
	.section	.AMDGPU.csdata,"",@progbits
; Kernel info:
; codeLenInByte = 7244
; TotalNumSgprs: 100
; NumVgprs: 170
; ScratchSize: 0
; MemoryBound: 0
; FloatMode: 240
; IeeeMode: 1
; LDSByteSize: 520 bytes/workgroup (compile time only)
; SGPRBlocks: 12
; VGPRBlocks: 42
; NumSGPRsForWavesPerEU: 100
; NumVGPRsForWavesPerEU: 170
; Occupancy: 1
; WaveLimiterHint : 0
; COMPUTE_PGM_RSRC2:SCRATCH_EN: 0
; COMPUTE_PGM_RSRC2:USER_SGPR: 6
; COMPUTE_PGM_RSRC2:TRAP_HANDLER: 0
; COMPUTE_PGM_RSRC2:TGID_X_EN: 1
; COMPUTE_PGM_RSRC2:TGID_Y_EN: 0
; COMPUTE_PGM_RSRC2:TGID_Z_EN: 0
; COMPUTE_PGM_RSRC2:TIDIG_COMP_CNT: 2
	.section	.text._Z11rank_kernelIhLj4ELb0EL18RadixRankAlgorithm0ELj128ELj16ELj10EEvPKT_Pi,"axG",@progbits,_Z11rank_kernelIhLj4ELb0EL18RadixRankAlgorithm0ELj128ELj16ELj10EEvPKT_Pi,comdat
	.protected	_Z11rank_kernelIhLj4ELb0EL18RadixRankAlgorithm0ELj128ELj16ELj10EEvPKT_Pi ; -- Begin function _Z11rank_kernelIhLj4ELb0EL18RadixRankAlgorithm0ELj128ELj16ELj10EEvPKT_Pi
	.globl	_Z11rank_kernelIhLj4ELb0EL18RadixRankAlgorithm0ELj128ELj16ELj10EEvPKT_Pi
	.p2align	8
	.type	_Z11rank_kernelIhLj4ELb0EL18RadixRankAlgorithm0ELj128ELj16ELj10EEvPKT_Pi,@function
_Z11rank_kernelIhLj4ELb0EL18RadixRankAlgorithm0ELj128ELj16ELj10EEvPKT_Pi: ; @_Z11rank_kernelIhLj4ELb0EL18RadixRankAlgorithm0ELj128ELj16ELj10EEvPKT_Pi
; %bb.0:
	s_load_dwordx4 s[20:23], s[4:5], 0x0
	s_lshl_b32 s24, s6, 11
	v_lshlrev_b32_e32 v1, 4, v0
	v_mbcnt_lo_u32_b32 v4, -1, 0
	v_mbcnt_hi_u32_b32 v5, -1, v4
	s_waitcnt lgkmcnt(0)
	s_add_u32 s0, s20, s24
	s_addc_u32 s1, s21, 0
	global_load_dwordx4 v[34:37], v1, s[0:1]
	v_subrev_co_u32_e64 v9, s[6:7], 1, v5
	v_and_b32_e32 v10, 64, v5
	v_or_b32_e32 v4, 63, v0
	v_lshrrev_b32_e32 v6, 4, v0
	v_and_b32_e32 v7, 15, v5
	v_cmp_lt_i32_e64 s[18:19], v9, v10
	s_movk_i32 s20, 0x380
	v_and_b32_e32 v8, 16, v5
	v_cmp_lt_u32_e64 s[2:3], 31, v5
	v_cmp_eq_u32_e64 s[4:5], v0, v4
	v_and_b32_e32 v4, 4, v6
	v_and_b32_e32 v6, 1, v5
	v_cmp_eq_u32_e64 s[8:9], 0, v7
	v_cmp_lt_u32_e64 s[10:11], 1, v7
	v_cmp_lt_u32_e64 s[12:13], 3, v7
	;; [unrolled: 1-line block ×3, first 2 shown]
	v_cndmask_b32_e64 v5, v9, v5, s[18:19]
	v_cmp_eq_u32_e64 s[16:17], 0, v8
	v_cmp_eq_u32_e64 s[18:19], 0, v6
	s_mov_b32 s25, 0
	v_lshlrev_b32_e32 v3, 5, v0
	v_mul_i32_i24_e32 v39, 0xffffffe4, v0
	v_mov_b32_e32 v2, 0
	v_cmp_gt_u32_e32 vcc, 2, v0
	v_cmp_lt_u32_e64 s[0:1], 63, v0
	v_lshlrev_b32_e32 v5, 2, v5
	s_movk_i32 s28, 0x37f
	v_add_u32_e32 v39, v3, v39
	s_mov_b32 s29, s25
	s_waitcnt vmcnt(0)
	v_lshlrev_b32_e32 v7, 7, v34
	v_lshrrev_b32_e32 v9, 1, v34
	v_lshrrev_b32_e32 v13, 17, v34
	;; [unrolled: 1-line block ×3, first 2 shown]
	v_lshlrev_b32_e32 v6, 28, v34
	v_lshlrev_b32_e32 v8, 20, v34
	v_lshrrev_b32_e32 v11, 9, v34
	v_lshlrev_b32_e32 v12, 4, v34
	v_lshrrev_b32_e32 v17, 1, v35
	v_lshlrev_b32_e32 v18, 12, v35
	v_and_or_b32 v7, v7, s20, v0
	v_and_or_b32 v9, v9, s20, v0
	;; [unrolled: 1-line block ×4, first 2 shown]
	v_lshlrev_b32_e32 v10, 12, v34
	v_lshlrev_b32_e32 v16, 20, v35
	v_lshrrev_b32_e32 v21, 17, v35
	v_and_or_b32 v11, v11, s20, v0
	v_and_or_b32 v17, v17, s20, v0
	v_alignbit_b32 v6, v7, v6, 31
	v_alignbit_b32 v7, v9, v8, 31
	;; [unrolled: 1-line block ×4, first 2 shown]
	v_lshrrev_b32_e32 v18, 17, v36
	v_lshlrev_b32_e32 v20, 4, v35
	v_and_or_b32 v21, v21, s20, v0
	v_alignbit_b32 v8, v11, v10, 31
	v_alignbit_b32 v11, v17, v16, 31
	v_lshlrev_b32_e32 v17, 4, v36
	v_and_or_b32 v18, v18, s20, v0
	v_lshlrev_b32_e32 v19, 7, v37
	v_alignbit_b32 v13, v21, v20, 31
	v_alignbit_b32 v17, v18, v17, 31
	v_lshlrev_b32_e32 v18, 28, v37
	v_and_or_b32 v19, v19, s20, v0
	v_lshrrev_b32_e32 v20, 1, v37
	v_alignbit_b32 v18, v19, v18, 31
	v_lshlrev_b32_e32 v19, 20, v37
	v_and_or_b32 v20, v20, s20, v0
	v_alignbit_b32 v19, v20, v19, 31
	v_lshrrev_b32_e32 v21, 9, v37
	v_lshlrev_b32_e32 v15, 7, v35
	v_lshlrev_b32_e32 v23, 7, v36
	v_lshrrev_b32_e32 v27, 9, v36
	v_lshlrev_b32_e32 v20, 1, v19
	v_lshlrev_b32_e32 v19, 12, v37
	v_and_or_b32 v21, v21, s20, v0
	v_lshlrev_b32_e32 v14, 28, v35
	v_lshlrev_b32_e32 v22, 28, v36
	;; [unrolled: 1-line block ×3, first 2 shown]
	v_and_or_b32 v15, v15, s20, v0
	v_and_or_b32 v23, v23, s20, v0
	;; [unrolled: 1-line block ×3, first 2 shown]
	v_alignbit_b32 v19, v21, v19, 31
	v_lshrrev_b32_e32 v21, 17, v37
	v_lshrrev_b32_e32 v25, 1, v36
	v_alignbit_b32 v10, v15, v14, 31
	v_alignbit_b32 v14, v23, v22, 31
	;; [unrolled: 1-line block ×3, first 2 shown]
	v_lshlrev_b32_e32 v22, 1, v19
	v_lshlrev_b32_e32 v19, 4, v37
	v_and_or_b32 v21, v21, s20, v0
	v_lshlrev_b32_e32 v27, 3, v35
	v_lshlrev_b32_e32 v24, 20, v36
	v_and_or_b32 v25, v25, s20, v0
	v_alignbit_b32 v19, v21, v19, 31
	v_lshlrev_b32_e32 v21, 3, v34
	v_lshlrev_b32_e32 v26, 24, v35
	v_and_or_b32 v27, v27, s20, v0
	v_lshrrev_b32_e32 v28, 5, v35
	v_lshlrev_b32_e32 v31, 3, v36
	v_alignbit_b32 v15, v25, v24, 31
	v_lshlrev_b32_e32 v23, 1, v19
	v_lshlrev_b32_e32 v19, 24, v34
	v_and_or_b32 v21, v21, s20, v0
	v_lshrrev_b32_e32 v24, 5, v34
	v_alignbit_b32 v26, v27, v26, 31
	v_lshlrev_b32_e32 v27, 16, v35
	v_and_or_b32 v28, v28, s20, v0
	v_lshrrev_b32_e32 v29, 13, v35
	v_lshlrev_b32_e32 v30, 24, v36
	v_and_or_b32 v31, v31, s20, v0
	v_lshrrev_b32_e32 v32, 5, v36
	v_alignbit_b32 v19, v21, v19, 31
	v_lshlrev_b32_e32 v21, 16, v34
	v_and_or_b32 v24, v24, s20, v0
	v_lshrrev_b32_e32 v25, 13, v34
	v_alignbit_b32 v27, v28, v27, 31
	v_lshlrev_b32_e32 v28, 8, v35
	v_and_or_b32 v29, v29, s20, v0
	v_alignbit_b32 v30, v31, v30, 31
	v_lshlrev_b32_e32 v31, 16, v36
	v_and_or_b32 v32, v32, s20, v0
	v_lshrrev_b32_e32 v33, 13, v36
	v_alignbit_b32 v21, v24, v21, 31
	v_lshlrev_b32_e32 v24, 8, v34
	v_and_or_b32 v25, v25, s20, v0
	v_alignbit_b32 v28, v29, v28, 31
	v_lshrrev_b32_e32 v29, 21, v35
	v_alignbit_b32 v31, v32, v31, 31
	v_lshlrev_b32_e32 v32, 8, v36
	v_and_or_b32 v33, v33, s20, v0
	v_alignbit_b32 v24, v25, v24, 31
	v_lshrrev_b32_e32 v25, 21, v34
	v_and_or_b32 v29, v29, s20, v0
	v_alignbit_b32 v32, v33, v32, 31
	v_lshrrev_b32_e32 v33, 21, v36
	v_and_or_b32 v25, v25, s20, v0
	v_alignbit_b32 v29, v29, v35, 31
	v_and_or_b32 v33, v33, s20, v0
	v_lshlrev_b32_e32 v35, 3, v37
	v_alignbit_b32 v25, v25, v34, 31
	v_alignbit_b32 v33, v33, v36, 31
	v_lshlrev_b32_e32 v34, 24, v37
	v_and_or_b32 v35, v35, s20, v0
	v_lshrrev_b32_e32 v36, 5, v37
	v_alignbit_b32 v34, v35, v34, 31
	v_lshlrev_b32_e32 v35, 16, v37
	v_and_or_b32 v36, v36, s20, v0
	v_lshrrev_b32_e32 v38, 13, v37
	v_alignbit_b32 v35, v36, v35, 31
	v_lshlrev_b32_e32 v36, 8, v37
	v_and_or_b32 v38, v38, s20, v0
	v_alignbit_b32 v36, v38, v36, 31
	v_lshrrev_b32_e32 v38, 21, v37
	v_and_or_b32 v38, v38, s20, v0
	v_alignbit_b32 v37, v38, v37, 31
	v_lshlrev_b32_e32 v6, 1, v6
	v_lshlrev_b32_e32 v7, 1, v7
	;; [unrolled: 1-line block ×30, first 2 shown]
	v_or_b32_e32 v0, 0xffffff80, v0
	s_branch .LBB54_2
.LBB54_1:                               ;   in Loop: Header=BB54_2 Depth=1
	s_or_b64 exec, exec, s[20:21]
	s_waitcnt lgkmcnt(0)
	v_add_u32_e32 v56, v57, v56
	ds_bpermute_b32 v56, v5, v56
	s_add_i32 s29, s29, 1
	s_cmp_eq_u32 s29, 10
	s_waitcnt lgkmcnt(0)
	v_cndmask_b32_e64 v56, v56, v57, s[6:7]
	ds_read_b32 v57, v2 offset:4100
	s_waitcnt lgkmcnt(0)
	v_lshl_add_u32 v60, v57, 16, v56
	ds_read2_b64 v[56:59], v3 offset1:1
	s_waitcnt lgkmcnt(0)
	v_add_u32_e32 v61, v60, v56
	v_add_u32_e32 v56, v57, v61
	;; [unrolled: 1-line block ×3, first 2 shown]
	ds_write2_b64 v3, v[60:61], v[56:57] offset1:1
	v_add_u32_e32 v56, v59, v57
	ds_read_b64 v[57:58], v3 offset:16
	ds_read_b32 v59, v3 offset:24
	s_waitcnt lgkmcnt(1)
	v_add_u32_e32 v57, v57, v56
	v_add_u32_e32 v58, v58, v57
	s_waitcnt lgkmcnt(0)
	v_add_u32_e32 v59, v59, v58
	ds_write2_b64 v3, v[56:57], v[58:59] offset0:2 offset1:3
	s_waitcnt lgkmcnt(0)
	s_barrier
	s_cbranch_scc1 .LBB54_18
.LBB54_2:                               ; =>This Loop Header: Depth=1
                                        ;     Child Loop BB54_3 Depth 2
                                        ;     Child Loop BB54_11 Depth 2
	s_mov_b64 s[26:27], 0
	v_mov_b32_e32 v40, v0
	v_mov_b32_e32 v41, v38
.LBB54_3:                               ;   Parent Loop BB54_2 Depth=1
                                        ; =>  This Inner Loop Header: Depth=2
	v_add_u32_e32 v40, 0x80, v40
	v_cmp_lt_u32_e64 s[20:21], s28, v40
	ds_write_b32 v41, v2
	s_or_b64 s[26:27], s[20:21], s[26:27]
	v_add_u32_e32 v41, 0x200, v41
	s_andn2_b64 exec, exec, s[26:27]
	s_cbranch_execnz .LBB54_3
; %bb.4:                                ;   in Loop: Header=BB54_2 Depth=1
	s_or_b64 exec, exec, s[26:27]
	ds_read_u16 v40, v6
	s_waitcnt lgkmcnt(0)
	v_add_u16_e32 v40, 1, v40
	ds_write_b16 v6, v40
	ds_read_u16 v40, v7
	s_waitcnt lgkmcnt(0)
	v_add_u16_e32 v40, 1, v40
	ds_write_b16 v7, v40
	;; [unrolled: 4-line block ×16, first 2 shown]
	s_waitcnt lgkmcnt(0)
	s_barrier
	ds_read2_b64 v[40:43], v3 offset1:1
	s_waitcnt lgkmcnt(0)
	v_add_u32_e32 v40, v41, v40
	v_add3_u32 v44, v40, v42, v43
	ds_read2_b64 v[40:43], v3 offset0:2 offset1:3
	s_waitcnt lgkmcnt(0)
	v_add3_u32 v40, v44, v40, v41
	v_add3_u32 v40, v40, v42, v43
	s_nop 1
	v_mov_b32_dpp v41, v40 row_shr:1 row_mask:0xf bank_mask:0xf
	v_cndmask_b32_e64 v41, v41, 0, s[8:9]
	v_add_u32_e32 v40, v41, v40
	s_nop 1
	v_mov_b32_dpp v41, v40 row_shr:2 row_mask:0xf bank_mask:0xf
	v_cndmask_b32_e64 v41, 0, v41, s[10:11]
	v_add_u32_e32 v40, v40, v41
	s_nop 1
	v_mov_b32_dpp v41, v40 row_shr:4 row_mask:0xf bank_mask:0xf
	v_cndmask_b32_e64 v41, 0, v41, s[12:13]
	v_add_u32_e32 v40, v40, v41
	s_nop 1
	v_mov_b32_dpp v41, v40 row_shr:8 row_mask:0xf bank_mask:0xf
	v_cndmask_b32_e64 v41, 0, v41, s[14:15]
	v_add_u32_e32 v40, v40, v41
	s_nop 1
	v_mov_b32_dpp v41, v40 row_bcast:15 row_mask:0xf bank_mask:0xf
	v_cndmask_b32_e64 v41, v41, 0, s[16:17]
	v_add_u32_e32 v40, v40, v41
	s_nop 1
	v_mov_b32_dpp v41, v40 row_bcast:31 row_mask:0xf bank_mask:0xf
	v_cndmask_b32_e64 v41, 0, v41, s[2:3]
	v_add_u32_e32 v40, v40, v41
	s_and_saveexec_b64 s[20:21], s[4:5]
; %bb.5:                                ;   in Loop: Header=BB54_2 Depth=1
	ds_write_b32 v4, v40 offset:4096
; %bb.6:                                ;   in Loop: Header=BB54_2 Depth=1
	s_or_b64 exec, exec, s[20:21]
	s_waitcnt lgkmcnt(0)
	s_barrier
	s_and_saveexec_b64 s[20:21], vcc
	s_cbranch_execz .LBB54_8
; %bb.7:                                ;   in Loop: Header=BB54_2 Depth=1
	ds_read_b32 v41, v39 offset:4096
	s_waitcnt lgkmcnt(0)
	s_nop 0
	v_mov_b32_dpp v42, v41 row_shr:1 row_mask:0xf bank_mask:0xf
	v_cndmask_b32_e64 v42, v42, 0, s[18:19]
	v_add_u32_e32 v41, v42, v41
	ds_write_b32 v39, v41 offset:4096
.LBB54_8:                               ;   in Loop: Header=BB54_2 Depth=1
	s_or_b64 exec, exec, s[20:21]
	v_mov_b32_e32 v41, 0
	s_waitcnt lgkmcnt(0)
	s_barrier
	s_and_saveexec_b64 s[20:21], s[0:1]
; %bb.9:                                ;   in Loop: Header=BB54_2 Depth=1
	ds_read_b32 v41, v4 offset:4092
; %bb.10:                               ;   in Loop: Header=BB54_2 Depth=1
	s_or_b64 exec, exec, s[20:21]
	s_waitcnt lgkmcnt(0)
	v_add_u32_e32 v40, v41, v40
	ds_bpermute_b32 v40, v5, v40
	s_mov_b64 s[26:27], 0
	s_waitcnt lgkmcnt(0)
	v_cndmask_b32_e64 v40, v40, v41, s[6:7]
	ds_read_b32 v41, v2 offset:4100
	s_waitcnt lgkmcnt(0)
	v_lshl_add_u32 v44, v41, 16, v40
	ds_read2_b64 v[40:43], v3 offset1:1
	s_waitcnt lgkmcnt(0)
	v_add_u32_e32 v45, v44, v40
	v_add_u32_e32 v40, v41, v45
	;; [unrolled: 1-line block ×3, first 2 shown]
	ds_write2_b64 v3, v[44:45], v[40:41] offset1:1
	v_add_u32_e32 v40, v43, v41
	ds_read_b64 v[41:42], v3 offset:16
	ds_read_b32 v43, v3 offset:24
	s_waitcnt lgkmcnt(1)
	v_add_u32_e32 v41, v41, v40
	v_add_u32_e32 v42, v42, v41
	s_waitcnt lgkmcnt(0)
	v_add_u32_e32 v43, v43, v42
	ds_write2_b64 v3, v[40:41], v[42:43] offset0:2 offset1:3
	v_mov_b32_e32 v40, v38
	v_mov_b32_e32 v41, v0
	s_waitcnt lgkmcnt(0)
	s_barrier
.LBB54_11:                              ;   Parent Loop BB54_2 Depth=1
                                        ; =>  This Inner Loop Header: Depth=2
	v_add_u32_e32 v41, 0x80, v41
	v_cmp_lt_u32_e64 s[20:21], s28, v41
	ds_write_b32 v40, v2
	s_or_b64 s[26:27], s[20:21], s[26:27]
	v_add_u32_e32 v40, 0x200, v40
	s_andn2_b64 exec, exec, s[26:27]
	s_cbranch_execnz .LBB54_11
; %bb.12:                               ;   in Loop: Header=BB54_2 Depth=1
	s_or_b64 exec, exec, s[26:27]
	ds_read_u16 v40, v19
	s_waitcnt lgkmcnt(0)
	v_add_u16_e32 v41, 1, v40
	ds_write_b16 v19, v41
	ds_read_u16 v41, v21
	s_waitcnt lgkmcnt(0)
	v_add_u16_e32 v42, 1, v41
	ds_write_b16 v21, v42
	ds_read_u16 v42, v24
	s_waitcnt lgkmcnt(0)
	v_add_u16_e32 v43, 1, v42
	ds_write_b16 v24, v43
	ds_read_u16 v43, v25
	s_waitcnt lgkmcnt(0)
	v_add_u16_e32 v44, 1, v43
	ds_write_b16 v25, v44
	ds_read_u16 v44, v26
	s_waitcnt lgkmcnt(0)
	v_add_u16_e32 v45, 1, v44
	ds_write_b16 v26, v45
	ds_read_u16 v45, v27
	s_waitcnt lgkmcnt(0)
	v_add_u16_e32 v46, 1, v45
	ds_write_b16 v27, v46
	ds_read_u16 v46, v28
	s_waitcnt lgkmcnt(0)
	v_add_u16_e32 v47, 1, v46
	ds_write_b16 v28, v47
	ds_read_u16 v47, v29
	s_waitcnt lgkmcnt(0)
	v_add_u16_e32 v48, 1, v47
	ds_write_b16 v29, v48
	ds_read_u16 v48, v30
	s_waitcnt lgkmcnt(0)
	v_add_u16_e32 v49, 1, v48
	ds_write_b16 v30, v49
	ds_read_u16 v49, v31
	s_waitcnt lgkmcnt(0)
	v_add_u16_e32 v50, 1, v49
	ds_write_b16 v31, v50
	ds_read_u16 v50, v32
	s_waitcnt lgkmcnt(0)
	v_add_u16_e32 v51, 1, v50
	ds_write_b16 v32, v51
	ds_read_u16 v51, v33
	s_waitcnt lgkmcnt(0)
	v_add_u16_e32 v52, 1, v51
	ds_write_b16 v33, v52
	ds_read_u16 v52, v34
	s_waitcnt lgkmcnt(0)
	v_add_u16_e32 v53, 1, v52
	ds_write_b16 v34, v53
	ds_read_u16 v53, v35
	s_waitcnt lgkmcnt(0)
	v_add_u16_e32 v54, 1, v53
	ds_write_b16 v35, v54
	ds_read_u16 v54, v36
	s_waitcnt lgkmcnt(0)
	v_add_u16_e32 v55, 1, v54
	ds_write_b16 v36, v55
	ds_read_u16 v55, v37
	s_waitcnt lgkmcnt(0)
	v_add_u16_e32 v56, 1, v55
	ds_write_b16 v37, v56
	s_waitcnt lgkmcnt(0)
	s_barrier
	ds_read2_b64 v[56:59], v3 offset1:1
	s_waitcnt lgkmcnt(0)
	v_add_u32_e32 v56, v57, v56
	v_add3_u32 v60, v56, v58, v59
	ds_read2_b64 v[56:59], v3 offset0:2 offset1:3
	s_waitcnt lgkmcnt(0)
	v_add3_u32 v56, v60, v56, v57
	v_add3_u32 v56, v56, v58, v59
	s_nop 1
	v_mov_b32_dpp v57, v56 row_shr:1 row_mask:0xf bank_mask:0xf
	v_cndmask_b32_e64 v57, v57, 0, s[8:9]
	v_add_u32_e32 v56, v57, v56
	s_nop 1
	v_mov_b32_dpp v57, v56 row_shr:2 row_mask:0xf bank_mask:0xf
	v_cndmask_b32_e64 v57, 0, v57, s[10:11]
	v_add_u32_e32 v56, v56, v57
	s_nop 1
	v_mov_b32_dpp v57, v56 row_shr:4 row_mask:0xf bank_mask:0xf
	v_cndmask_b32_e64 v57, 0, v57, s[12:13]
	v_add_u32_e32 v56, v56, v57
	s_nop 1
	v_mov_b32_dpp v57, v56 row_shr:8 row_mask:0xf bank_mask:0xf
	v_cndmask_b32_e64 v57, 0, v57, s[14:15]
	v_add_u32_e32 v56, v56, v57
	s_nop 1
	v_mov_b32_dpp v57, v56 row_bcast:15 row_mask:0xf bank_mask:0xf
	v_cndmask_b32_e64 v57, v57, 0, s[16:17]
	v_add_u32_e32 v56, v56, v57
	s_nop 1
	v_mov_b32_dpp v57, v56 row_bcast:31 row_mask:0xf bank_mask:0xf
	v_cndmask_b32_e64 v57, 0, v57, s[2:3]
	v_add_u32_e32 v56, v56, v57
	s_and_saveexec_b64 s[20:21], s[4:5]
; %bb.13:                               ;   in Loop: Header=BB54_2 Depth=1
	ds_write_b32 v4, v56 offset:4096
; %bb.14:                               ;   in Loop: Header=BB54_2 Depth=1
	s_or_b64 exec, exec, s[20:21]
	s_waitcnt lgkmcnt(0)
	s_barrier
	s_and_saveexec_b64 s[20:21], vcc
	s_cbranch_execz .LBB54_16
; %bb.15:                               ;   in Loop: Header=BB54_2 Depth=1
	ds_read_b32 v57, v39 offset:4096
	s_waitcnt lgkmcnt(0)
	s_nop 0
	v_mov_b32_dpp v58, v57 row_shr:1 row_mask:0xf bank_mask:0xf
	v_cndmask_b32_e64 v58, v58, 0, s[18:19]
	v_add_u32_e32 v57, v58, v57
	ds_write_b32 v39, v57 offset:4096
.LBB54_16:                              ;   in Loop: Header=BB54_2 Depth=1
	s_or_b64 exec, exec, s[20:21]
	v_mov_b32_e32 v57, 0
	s_waitcnt lgkmcnt(0)
	s_barrier
	s_and_saveexec_b64 s[20:21], s[0:1]
	s_cbranch_execz .LBB54_1
; %bb.17:                               ;   in Loop: Header=BB54_2 Depth=1
	ds_read_b32 v57, v4 offset:4092
	s_branch .LBB54_1
.LBB54_18:
	ds_read_u16 v0, v37
	ds_read_u16 v2, v36
	;; [unrolled: 1-line block ×16, first 2 shown]
	s_lshl_b64 s[0:1], s[24:25], 2
	s_add_u32 s0, s22, s0
	s_waitcnt lgkmcnt(14)
	v_add_u32_sdwa v5, v0, v55 dst_sel:DWORD dst_unused:UNUSED_PAD src0_sel:DWORD src1_sel:WORD_0
	v_add_u32_sdwa v4, v2, v54 dst_sel:DWORD dst_unused:UNUSED_PAD src0_sel:DWORD src1_sel:WORD_0
	s_waitcnt lgkmcnt(12)
	v_add_u32_sdwa v2, v6, v52 dst_sel:DWORD dst_unused:UNUSED_PAD src0_sel:DWORD src1_sel:WORD_0
	s_waitcnt lgkmcnt(11)
	;; [unrolled: 2-line block ×12, first 2 shown]
	v_add_u32_sdwa v14, v19, v40 dst_sel:DWORD dst_unused:UNUSED_PAD src0_sel:DWORD src1_sel:WORD_0
	s_addc_u32 s1, s23, s1
	v_lshlrev_b32_e32 v0, 2, v1
	v_add_u32_sdwa v3, v3, v53 dst_sel:DWORD dst_unused:UNUSED_PAD src0_sel:DWORD src1_sel:WORD_0
	v_add_u32_sdwa v8, v8, v50 dst_sel:DWORD dst_unused:UNUSED_PAD src0_sel:DWORD src1_sel:WORD_0
	global_store_dwordx4 v0, v[14:17], s[0:1]
	global_store_dwordx4 v0, v[10:13], s[0:1] offset:16
	global_store_dwordx4 v0, v[6:9], s[0:1] offset:32
	;; [unrolled: 1-line block ×3, first 2 shown]
	s_endpgm
	.section	.rodata,"a",@progbits
	.p2align	6, 0x0
	.amdhsa_kernel _Z11rank_kernelIhLj4ELb0EL18RadixRankAlgorithm0ELj128ELj16ELj10EEvPKT_Pi
		.amdhsa_group_segment_fixed_size 4104
		.amdhsa_private_segment_fixed_size 0
		.amdhsa_kernarg_size 16
		.amdhsa_user_sgpr_count 6
		.amdhsa_user_sgpr_private_segment_buffer 1
		.amdhsa_user_sgpr_dispatch_ptr 0
		.amdhsa_user_sgpr_queue_ptr 0
		.amdhsa_user_sgpr_kernarg_segment_ptr 1
		.amdhsa_user_sgpr_dispatch_id 0
		.amdhsa_user_sgpr_flat_scratch_init 0
		.amdhsa_user_sgpr_private_segment_size 0
		.amdhsa_uses_dynamic_stack 0
		.amdhsa_system_sgpr_private_segment_wavefront_offset 0
		.amdhsa_system_sgpr_workgroup_id_x 1
		.amdhsa_system_sgpr_workgroup_id_y 0
		.amdhsa_system_sgpr_workgroup_id_z 0
		.amdhsa_system_sgpr_workgroup_info 0
		.amdhsa_system_vgpr_workitem_id 0
		.amdhsa_next_free_vgpr 62
		.amdhsa_next_free_sgpr 61
		.amdhsa_reserve_vcc 1
		.amdhsa_reserve_flat_scratch 0
		.amdhsa_float_round_mode_32 0
		.amdhsa_float_round_mode_16_64 0
		.amdhsa_float_denorm_mode_32 3
		.amdhsa_float_denorm_mode_16_64 3
		.amdhsa_dx10_clamp 1
		.amdhsa_ieee_mode 1
		.amdhsa_fp16_overflow 0
		.amdhsa_exception_fp_ieee_invalid_op 0
		.amdhsa_exception_fp_denorm_src 0
		.amdhsa_exception_fp_ieee_div_zero 0
		.amdhsa_exception_fp_ieee_overflow 0
		.amdhsa_exception_fp_ieee_underflow 0
		.amdhsa_exception_fp_ieee_inexact 0
		.amdhsa_exception_int_div_zero 0
	.end_amdhsa_kernel
	.section	.text._Z11rank_kernelIhLj4ELb0EL18RadixRankAlgorithm0ELj128ELj16ELj10EEvPKT_Pi,"axG",@progbits,_Z11rank_kernelIhLj4ELb0EL18RadixRankAlgorithm0ELj128ELj16ELj10EEvPKT_Pi,comdat
.Lfunc_end54:
	.size	_Z11rank_kernelIhLj4ELb0EL18RadixRankAlgorithm0ELj128ELj16ELj10EEvPKT_Pi, .Lfunc_end54-_Z11rank_kernelIhLj4ELb0EL18RadixRankAlgorithm0ELj128ELj16ELj10EEvPKT_Pi
                                        ; -- End function
	.set _Z11rank_kernelIhLj4ELb0EL18RadixRankAlgorithm0ELj128ELj16ELj10EEvPKT_Pi.num_vgpr, 62
	.set _Z11rank_kernelIhLj4ELb0EL18RadixRankAlgorithm0ELj128ELj16ELj10EEvPKT_Pi.num_agpr, 0
	.set _Z11rank_kernelIhLj4ELb0EL18RadixRankAlgorithm0ELj128ELj16ELj10EEvPKT_Pi.numbered_sgpr, 30
	.set _Z11rank_kernelIhLj4ELb0EL18RadixRankAlgorithm0ELj128ELj16ELj10EEvPKT_Pi.num_named_barrier, 0
	.set _Z11rank_kernelIhLj4ELb0EL18RadixRankAlgorithm0ELj128ELj16ELj10EEvPKT_Pi.private_seg_size, 0
	.set _Z11rank_kernelIhLj4ELb0EL18RadixRankAlgorithm0ELj128ELj16ELj10EEvPKT_Pi.uses_vcc, 1
	.set _Z11rank_kernelIhLj4ELb0EL18RadixRankAlgorithm0ELj128ELj16ELj10EEvPKT_Pi.uses_flat_scratch, 0
	.set _Z11rank_kernelIhLj4ELb0EL18RadixRankAlgorithm0ELj128ELj16ELj10EEvPKT_Pi.has_dyn_sized_stack, 0
	.set _Z11rank_kernelIhLj4ELb0EL18RadixRankAlgorithm0ELj128ELj16ELj10EEvPKT_Pi.has_recursion, 0
	.set _Z11rank_kernelIhLj4ELb0EL18RadixRankAlgorithm0ELj128ELj16ELj10EEvPKT_Pi.has_indirect_call, 0
	.section	.AMDGPU.csdata,"",@progbits
; Kernel info:
; codeLenInByte = 3284
; TotalNumSgprs: 34
; NumVgprs: 62
; ScratchSize: 0
; MemoryBound: 0
; FloatMode: 240
; IeeeMode: 1
; LDSByteSize: 4104 bytes/workgroup (compile time only)
; SGPRBlocks: 8
; VGPRBlocks: 15
; NumSGPRsForWavesPerEU: 65
; NumVGPRsForWavesPerEU: 62
; Occupancy: 4
; WaveLimiterHint : 0
; COMPUTE_PGM_RSRC2:SCRATCH_EN: 0
; COMPUTE_PGM_RSRC2:USER_SGPR: 6
; COMPUTE_PGM_RSRC2:TRAP_HANDLER: 0
; COMPUTE_PGM_RSRC2:TGID_X_EN: 1
; COMPUTE_PGM_RSRC2:TGID_Y_EN: 0
; COMPUTE_PGM_RSRC2:TGID_Z_EN: 0
; COMPUTE_PGM_RSRC2:TIDIG_COMP_CNT: 0
	.section	.text._Z11rank_kernelIhLj4ELb0EL18RadixRankAlgorithm1ELj128ELj16ELj10EEvPKT_Pi,"axG",@progbits,_Z11rank_kernelIhLj4ELb0EL18RadixRankAlgorithm1ELj128ELj16ELj10EEvPKT_Pi,comdat
	.protected	_Z11rank_kernelIhLj4ELb0EL18RadixRankAlgorithm1ELj128ELj16ELj10EEvPKT_Pi ; -- Begin function _Z11rank_kernelIhLj4ELb0EL18RadixRankAlgorithm1ELj128ELj16ELj10EEvPKT_Pi
	.globl	_Z11rank_kernelIhLj4ELb0EL18RadixRankAlgorithm1ELj128ELj16ELj10EEvPKT_Pi
	.p2align	8
	.type	_Z11rank_kernelIhLj4ELb0EL18RadixRankAlgorithm1ELj128ELj16ELj10EEvPKT_Pi,@function
_Z11rank_kernelIhLj4ELb0EL18RadixRankAlgorithm1ELj128ELj16ELj10EEvPKT_Pi: ; @_Z11rank_kernelIhLj4ELb0EL18RadixRankAlgorithm1ELj128ELj16ELj10EEvPKT_Pi
; %bb.0:
	s_load_dwordx4 s[20:23], s[4:5], 0x0
	s_lshl_b32 s24, s6, 11
	v_lshlrev_b32_e32 v8, 4, v0
	v_mbcnt_lo_u32_b32 v5, -1, 0
	v_mbcnt_hi_u32_b32 v5, -1, v5
	s_waitcnt lgkmcnt(0)
	s_add_u32 s0, s20, s24
	s_addc_u32 s1, s21, 0
	global_load_dwordx4 v[1:4], v8, s[0:1]
	v_or_b32_e32 v6, 63, v0
	v_cmp_eq_u32_e64 s[4:5], v0, v6
	v_subrev_co_u32_e64 v6, s[6:7], 1, v5
	v_and_b32_e32 v14, 64, v5
	v_lshrrev_b32_e32 v7, 4, v0
	v_and_b32_e32 v13, 16, v5
	v_cmp_lt_i32_e64 s[18:19], v6, v14
	s_movk_i32 s20, 0x380
	v_and_b32_e32 v12, 15, v5
	v_cmp_lt_u32_e64 s[2:3], 31, v5
	v_and_b32_e32 v11, 4, v7
	v_and_b32_e32 v7, 1, v5
	v_cmp_eq_u32_e64 s[16:17], 0, v13
	v_cndmask_b32_e64 v5, v6, v5, s[18:19]
	v_cmp_eq_u32_e64 s[8:9], 0, v12
	v_cmp_lt_u32_e64 s[10:11], 1, v12
	v_cmp_lt_u32_e64 s[12:13], 3, v12
	;; [unrolled: 1-line block ×3, first 2 shown]
	v_cmp_eq_u32_e64 s[18:19], 0, v7
	v_lshlrev_b32_e32 v12, 2, v5
	s_mov_b32 s25, 0
	v_lshlrev_b32_e32 v10, 5, v0
	v_mul_i32_i24_e32 v47, 0xffffffe4, v0
	v_mov_b32_e32 v9, 0
	v_cmp_gt_u32_e32 vcc, 2, v0
	v_cmp_lt_u32_e64 s[0:1], 63, v0
	v_lshlrev_b32_e32 v45, 2, v0
	v_or_b32_e32 v46, 0xffffff80, v0
	s_movk_i32 s28, 0x37f
	v_add_u32_e32 v47, v10, v47
	s_mov_b32 s29, s25
	s_waitcnt vmcnt(0)
	v_lshlrev_b32_e32 v6, 7, v1
	v_lshrrev_b32_e32 v13, 1, v1
	v_lshlrev_b32_e32 v5, 28, v1
	v_lshlrev_b32_e32 v7, 20, v1
	v_lshrrev_b32_e32 v15, 9, v1
	v_and_or_b32 v6, v6, s20, v0
	v_and_or_b32 v13, v13, s20, v0
	v_lshlrev_b32_e32 v14, 12, v1
	v_and_or_b32 v15, v15, s20, v0
	v_alignbit_b32 v5, v6, v5, 31
	v_alignbit_b32 v6, v13, v7, 31
	;; [unrolled: 1-line block ×3, first 2 shown]
	v_lshlrev_b32_e32 v14, 1, v6
	v_lshrrev_b32_e32 v6, 17, v3
	v_lshrrev_b32_e32 v17, 17, v1
	v_lshlrev_b32_e32 v19, 7, v2
	v_lshrrev_b32_e32 v21, 1, v2
	v_lshrrev_b32_e32 v25, 17, v2
	v_lshlrev_b32_e32 v13, 1, v5
	v_lshlrev_b32_e32 v5, 4, v3
	v_and_or_b32 v6, v6, s20, v0
	v_lshlrev_b32_e32 v16, 4, v1
	v_lshlrev_b32_e32 v18, 28, v2
	;; [unrolled: 1-line block ×4, first 2 shown]
	v_and_or_b32 v17, v17, s20, v0
	v_and_or_b32 v19, v19, s20, v0
	;; [unrolled: 1-line block ×4, first 2 shown]
	v_alignbit_b32 v5, v6, v5, 31
	v_lshlrev_b32_e32 v6, 7, v4
	v_alignbit_b32 v16, v17, v16, 31
	v_alignbit_b32 v17, v19, v18, 31
	;; [unrolled: 1-line block ×4, first 2 shown]
	v_lshlrev_b32_e32 v24, 1, v5
	v_lshlrev_b32_e32 v5, 28, v4
	v_and_or_b32 v6, v6, s20, v0
	v_alignbit_b32 v5, v6, v5, 31
	v_lshrrev_b32_e32 v6, 1, v4
	v_lshlrev_b32_e32 v27, 7, v3
	v_lshlrev_b32_e32 v25, 1, v5
	;; [unrolled: 1-line block ×3, first 2 shown]
	v_and_or_b32 v6, v6, s20, v0
	v_lshlrev_b32_e32 v26, 28, v3
	v_and_or_b32 v27, v27, s20, v0
	v_alignbit_b32 v5, v6, v5, 31
	v_lshrrev_b32_e32 v6, 9, v4
	v_lshrrev_b32_e32 v23, 9, v2
	;; [unrolled: 1-line block ×3, first 2 shown]
	v_alignbit_b32 v21, v27, v26, 31
	v_lshlrev_b32_e32 v27, 1, v5
	v_lshlrev_b32_e32 v5, 12, v4
	v_and_or_b32 v6, v6, s20, v0
	v_lshlrev_b32_e32 v22, 12, v2
	v_lshlrev_b32_e32 v28, 20, v3
	v_and_or_b32 v23, v23, s20, v0
	v_and_or_b32 v29, v29, s20, v0
	v_alignbit_b32 v5, v6, v5, 31
	v_lshrrev_b32_e32 v6, 17, v4
	v_lshrrev_b32_e32 v31, 9, v3
	v_alignbit_b32 v19, v23, v22, 31
	v_alignbit_b32 v22, v29, v28, 31
	v_lshlrev_b32_e32 v29, 1, v5
	v_lshlrev_b32_e32 v5, 4, v4
	v_and_or_b32 v6, v6, s20, v0
	v_lshlrev_b32_e32 v30, 12, v3
	v_and_or_b32 v31, v31, s20, v0
	v_alignbit_b32 v5, v6, v5, 31
	v_lshlrev_b32_e32 v6, 3, v1
	v_alignbit_b32 v23, v31, v30, 31
	v_lshlrev_b32_e32 v30, 1, v5
	v_lshlrev_b32_e32 v5, 24, v1
	v_and_or_b32 v6, v6, s20, v0
	v_alignbit_b32 v5, v6, v5, 31
	v_lshrrev_b32_e32 v6, 5, v1
	v_lshlrev_b32_e32 v26, 1, v5
	v_lshlrev_b32_e32 v5, 16, v1
	v_and_or_b32 v6, v6, s20, v0
	v_alignbit_b32 v5, v6, v5, 31
	v_lshrrev_b32_e32 v6, 13, v1
	v_lshlrev_b32_e32 v28, 1, v5
	v_lshlrev_b32_e32 v5, 8, v1
	v_and_or_b32 v6, v6, s20, v0
	v_alignbit_b32 v5, v6, v5, 31
	v_lshlrev_b32_e32 v31, 1, v5
	v_lshrrev_b32_e32 v5, 21, v1
	v_and_or_b32 v5, v5, s20, v0
	v_alignbit_b32 v1, v5, v1, 31
	v_lshlrev_b32_e32 v5, 3, v2
	v_lshlrev_b32_e32 v32, 1, v1
	v_lshlrev_b32_e32 v1, 24, v2
	v_and_or_b32 v5, v5, s20, v0
	v_alignbit_b32 v1, v5, v1, 31
	v_lshrrev_b32_e32 v5, 5, v2
	v_lshlrev_b32_e32 v33, 1, v1
	v_lshlrev_b32_e32 v1, 16, v2
	v_and_or_b32 v5, v5, s20, v0
	v_alignbit_b32 v1, v5, v1, 31
	v_lshrrev_b32_e32 v5, 13, v2
	v_lshlrev_b32_e32 v34, 1, v1
	v_lshlrev_b32_e32 v1, 8, v2
	v_and_or_b32 v5, v5, s20, v0
	v_alignbit_b32 v1, v5, v1, 31
	v_lshlrev_b32_e32 v35, 1, v1
	v_lshrrev_b32_e32 v1, 21, v2
	v_and_or_b32 v1, v1, s20, v0
	v_alignbit_b32 v1, v1, v2, 31
	v_lshlrev_b32_e32 v2, 3, v3
	;; [unrolled: 19-line block ×4, first 2 shown]
	v_lshlrev_b32_e32 v16, 1, v16
	v_lshlrev_b32_e32 v17, 1, v17
	;; [unrolled: 1-line block ×9, first 2 shown]
	s_branch .LBB55_2
.LBB55_1:                               ;   in Loop: Header=BB55_2 Depth=1
	s_or_b64 exec, exec, s[20:21]
	s_waitcnt lgkmcnt(0)
	v_add_u32_e32 v3, v64, v3
	ds_bpermute_b32 v3, v12, v3
	ds_read_b32 v65, v9 offset:4100
	s_add_i32 s29, s29, 1
	s_cmp_eq_u32 s29, 10
	s_waitcnt lgkmcnt(1)
	v_cndmask_b32_e64 v3, v3, v64, s[6:7]
	s_waitcnt lgkmcnt(0)
	v_lshl_add_u32 v3, v65, 16, v3
	v_add_u32_e32 v4, v3, v4
	v_add_u32_e32 v5, v4, v5
	;; [unrolled: 1-line block ×7, first 2 shown]
	ds_write2_b64 v10, v[3:4], v[5:6] offset1:1
	ds_write2_b64 v10, v[64:65], v[0:1] offset0:2 offset1:3
	s_waitcnt lgkmcnt(0)
	s_barrier
	s_cbranch_scc1 .LBB55_18
.LBB55_2:                               ; =>This Loop Header: Depth=1
                                        ;     Child Loop BB55_3 Depth 2
                                        ;     Child Loop BB55_11 Depth 2
	s_mov_b64 s[26:27], 0
	v_mov_b32_e32 v0, v46
	v_mov_b32_e32 v1, v45
.LBB55_3:                               ;   Parent Loop BB55_2 Depth=1
                                        ; =>  This Inner Loop Header: Depth=2
	v_add_u32_e32 v0, 0x80, v0
	v_cmp_lt_u32_e64 s[20:21], s28, v0
	ds_write_b32 v1, v9
	s_or_b64 s[26:27], s[20:21], s[26:27]
	v_add_u32_e32 v1, 0x200, v1
	s_andn2_b64 exec, exec, s[26:27]
	s_cbranch_execnz .LBB55_3
; %bb.4:                                ;   in Loop: Header=BB55_2 Depth=1
	s_or_b64 exec, exec, s[26:27]
	ds_read_u16 v0, v13
	s_waitcnt lgkmcnt(0)
	v_add_u16_e32 v0, 1, v0
	ds_write_b16 v13, v0
	ds_read_u16 v0, v14
	s_waitcnt lgkmcnt(0)
	v_add_u16_e32 v0, 1, v0
	ds_write_b16 v14, v0
	;; [unrolled: 4-line block ×16, first 2 shown]
	s_waitcnt lgkmcnt(0)
	s_barrier
	ds_read2_b64 v[4:7], v10 offset1:1
	ds_read2_b64 v[0:3], v10 offset0:2 offset1:3
	s_waitcnt lgkmcnt(1)
	v_add_u32_e32 v48, v5, v4
	v_add3_u32 v48, v48, v6, v7
	s_waitcnt lgkmcnt(0)
	v_add3_u32 v48, v48, v0, v1
	v_add3_u32 v3, v48, v2, v3
	s_nop 1
	v_mov_b32_dpp v48, v3 row_shr:1 row_mask:0xf bank_mask:0xf
	v_cndmask_b32_e64 v48, v48, 0, s[8:9]
	v_add_u32_e32 v3, v48, v3
	s_nop 1
	v_mov_b32_dpp v48, v3 row_shr:2 row_mask:0xf bank_mask:0xf
	v_cndmask_b32_e64 v48, 0, v48, s[10:11]
	v_add_u32_e32 v3, v3, v48
	;; [unrolled: 4-line block ×4, first 2 shown]
	s_nop 1
	v_mov_b32_dpp v48, v3 row_bcast:15 row_mask:0xf bank_mask:0xf
	v_cndmask_b32_e64 v48, v48, 0, s[16:17]
	v_add_u32_e32 v3, v3, v48
	s_nop 1
	v_mov_b32_dpp v48, v3 row_bcast:31 row_mask:0xf bank_mask:0xf
	v_cndmask_b32_e64 v48, 0, v48, s[2:3]
	v_add_u32_e32 v3, v3, v48
	s_and_saveexec_b64 s[20:21], s[4:5]
; %bb.5:                                ;   in Loop: Header=BB55_2 Depth=1
	ds_write_b32 v11, v3 offset:4096
; %bb.6:                                ;   in Loop: Header=BB55_2 Depth=1
	s_or_b64 exec, exec, s[20:21]
	s_waitcnt lgkmcnt(0)
	s_barrier
	s_and_saveexec_b64 s[20:21], vcc
	s_cbranch_execz .LBB55_8
; %bb.7:                                ;   in Loop: Header=BB55_2 Depth=1
	ds_read_b32 v48, v47 offset:4096
	s_waitcnt lgkmcnt(0)
	s_nop 0
	v_mov_b32_dpp v49, v48 row_shr:1 row_mask:0xf bank_mask:0xf
	v_cndmask_b32_e64 v49, v49, 0, s[18:19]
	v_add_u32_e32 v48, v49, v48
	ds_write_b32 v47, v48 offset:4096
.LBB55_8:                               ;   in Loop: Header=BB55_2 Depth=1
	s_or_b64 exec, exec, s[20:21]
	v_mov_b32_e32 v48, 0
	s_waitcnt lgkmcnt(0)
	s_barrier
	s_and_saveexec_b64 s[20:21], s[0:1]
; %bb.9:                                ;   in Loop: Header=BB55_2 Depth=1
	ds_read_b32 v48, v11 offset:4092
; %bb.10:                               ;   in Loop: Header=BB55_2 Depth=1
	s_or_b64 exec, exec, s[20:21]
	s_waitcnt lgkmcnt(0)
	v_add_u32_e32 v3, v48, v3
	ds_bpermute_b32 v3, v12, v3
	ds_read_b32 v49, v9 offset:4100
	s_mov_b64 s[26:27], 0
	s_waitcnt lgkmcnt(1)
	v_cndmask_b32_e64 v3, v3, v48, s[6:7]
	s_waitcnt lgkmcnt(0)
	v_lshl_add_u32 v3, v49, 16, v3
	v_add_u32_e32 v4, v3, v4
	v_add_u32_e32 v5, v4, v5
	;; [unrolled: 1-line block ×7, first 2 shown]
	ds_write2_b64 v10, v[48:49], v[0:1] offset0:2 offset1:3
	v_mov_b32_e32 v0, v45
	v_mov_b32_e32 v1, v46
	ds_write2_b64 v10, v[3:4], v[5:6] offset1:1
	s_waitcnt lgkmcnt(0)
	s_barrier
.LBB55_11:                              ;   Parent Loop BB55_2 Depth=1
                                        ; =>  This Inner Loop Header: Depth=2
	v_add_u32_e32 v1, 0x80, v1
	v_cmp_lt_u32_e64 s[20:21], s28, v1
	ds_write_b32 v0, v9
	s_or_b64 s[26:27], s[20:21], s[26:27]
	v_add_u32_e32 v0, 0x200, v0
	s_andn2_b64 exec, exec, s[26:27]
	s_cbranch_execnz .LBB55_11
; %bb.12:                               ;   in Loop: Header=BB55_2 Depth=1
	s_or_b64 exec, exec, s[26:27]
	ds_read_u16 v48, v26
	s_waitcnt lgkmcnt(0)
	v_add_u16_e32 v0, 1, v48
	ds_write_b16 v26, v0
	ds_read_u16 v49, v28
	s_waitcnt lgkmcnt(0)
	v_add_u16_e32 v0, 1, v49
	ds_write_b16 v28, v0
	ds_read_u16 v50, v31
	s_waitcnt lgkmcnt(0)
	v_add_u16_e32 v0, 1, v50
	ds_write_b16 v31, v0
	ds_read_u16 v51, v32
	s_waitcnt lgkmcnt(0)
	v_add_u16_e32 v0, 1, v51
	ds_write_b16 v32, v0
	ds_read_u16 v52, v33
	s_waitcnt lgkmcnt(0)
	v_add_u16_e32 v0, 1, v52
	ds_write_b16 v33, v0
	ds_read_u16 v53, v34
	s_waitcnt lgkmcnt(0)
	v_add_u16_e32 v0, 1, v53
	ds_write_b16 v34, v0
	ds_read_u16 v54, v35
	s_waitcnt lgkmcnt(0)
	v_add_u16_e32 v0, 1, v54
	ds_write_b16 v35, v0
	ds_read_u16 v55, v36
	s_waitcnt lgkmcnt(0)
	v_add_u16_e32 v0, 1, v55
	ds_write_b16 v36, v0
	ds_read_u16 v56, v37
	s_waitcnt lgkmcnt(0)
	v_add_u16_e32 v0, 1, v56
	ds_write_b16 v37, v0
	ds_read_u16 v57, v38
	s_waitcnt lgkmcnt(0)
	v_add_u16_e32 v0, 1, v57
	ds_write_b16 v38, v0
	ds_read_u16 v58, v39
	s_waitcnt lgkmcnt(0)
	v_add_u16_e32 v0, 1, v58
	ds_write_b16 v39, v0
	ds_read_u16 v59, v40
	s_waitcnt lgkmcnt(0)
	v_add_u16_e32 v0, 1, v59
	ds_write_b16 v40, v0
	ds_read_u16 v60, v41
	s_waitcnt lgkmcnt(0)
	v_add_u16_e32 v0, 1, v60
	ds_write_b16 v41, v0
	ds_read_u16 v61, v42
	s_waitcnt lgkmcnt(0)
	v_add_u16_e32 v0, 1, v61
	ds_write_b16 v42, v0
	ds_read_u16 v62, v43
	s_waitcnt lgkmcnt(0)
	v_add_u16_e32 v0, 1, v62
	ds_write_b16 v43, v0
	ds_read_u16 v63, v44
	s_waitcnt lgkmcnt(0)
	v_add_u16_e32 v0, 1, v63
	ds_write_b16 v44, v0
	s_waitcnt lgkmcnt(0)
	s_barrier
	ds_read2_b64 v[4:7], v10 offset1:1
	ds_read2_b64 v[0:3], v10 offset0:2 offset1:3
	s_waitcnt lgkmcnt(1)
	v_add_u32_e32 v64, v5, v4
	v_add3_u32 v64, v64, v6, v7
	s_waitcnt lgkmcnt(0)
	v_add3_u32 v64, v64, v0, v1
	v_add3_u32 v3, v64, v2, v3
	s_nop 1
	v_mov_b32_dpp v64, v3 row_shr:1 row_mask:0xf bank_mask:0xf
	v_cndmask_b32_e64 v64, v64, 0, s[8:9]
	v_add_u32_e32 v3, v64, v3
	s_nop 1
	v_mov_b32_dpp v64, v3 row_shr:2 row_mask:0xf bank_mask:0xf
	v_cndmask_b32_e64 v64, 0, v64, s[10:11]
	v_add_u32_e32 v3, v3, v64
	;; [unrolled: 4-line block ×4, first 2 shown]
	s_nop 1
	v_mov_b32_dpp v64, v3 row_bcast:15 row_mask:0xf bank_mask:0xf
	v_cndmask_b32_e64 v64, v64, 0, s[16:17]
	v_add_u32_e32 v3, v3, v64
	s_nop 1
	v_mov_b32_dpp v64, v3 row_bcast:31 row_mask:0xf bank_mask:0xf
	v_cndmask_b32_e64 v64, 0, v64, s[2:3]
	v_add_u32_e32 v3, v3, v64
	s_and_saveexec_b64 s[20:21], s[4:5]
; %bb.13:                               ;   in Loop: Header=BB55_2 Depth=1
	ds_write_b32 v11, v3 offset:4096
; %bb.14:                               ;   in Loop: Header=BB55_2 Depth=1
	s_or_b64 exec, exec, s[20:21]
	s_waitcnt lgkmcnt(0)
	s_barrier
	s_and_saveexec_b64 s[20:21], vcc
	s_cbranch_execz .LBB55_16
; %bb.15:                               ;   in Loop: Header=BB55_2 Depth=1
	ds_read_b32 v64, v47 offset:4096
	s_waitcnt lgkmcnt(0)
	s_nop 0
	v_mov_b32_dpp v65, v64 row_shr:1 row_mask:0xf bank_mask:0xf
	v_cndmask_b32_e64 v65, v65, 0, s[18:19]
	v_add_u32_e32 v64, v65, v64
	ds_write_b32 v47, v64 offset:4096
.LBB55_16:                              ;   in Loop: Header=BB55_2 Depth=1
	s_or_b64 exec, exec, s[20:21]
	v_mov_b32_e32 v64, 0
	s_waitcnt lgkmcnt(0)
	s_barrier
	s_and_saveexec_b64 s[20:21], s[0:1]
	s_cbranch_execz .LBB55_1
; %bb.17:                               ;   in Loop: Header=BB55_2 Depth=1
	ds_read_b32 v64, v11 offset:4092
	s_branch .LBB55_1
.LBB55_18:
	ds_read_u16 v0, v44
	ds_read_u16 v1, v43
	;; [unrolled: 1-line block ×16, first 2 shown]
	s_lshl_b64 s[0:1], s[24:25], 2
	s_add_u32 s0, s22, s0
	s_waitcnt lgkmcnt(14)
	v_add_u32_sdwa v3, v0, v63 dst_sel:DWORD dst_unused:UNUSED_PAD src0_sel:DWORD src1_sel:WORD_0
	v_add_u32_sdwa v2, v1, v62 dst_sel:DWORD dst_unused:UNUSED_PAD src0_sel:DWORD src1_sel:WORD_0
	s_waitcnt lgkmcnt(13)
	v_add_u32_sdwa v1, v4, v61 dst_sel:DWORD dst_unused:UNUSED_PAD src0_sel:DWORD src1_sel:WORD_0
	s_waitcnt lgkmcnt(12)
	;; [unrolled: 2-line block ×13, first 2 shown]
	v_add_u32_sdwa v13, v19, v48 dst_sel:DWORD dst_unused:UNUSED_PAD src0_sel:DWORD src1_sel:WORD_0
	s_addc_u32 s1, s23, s1
	v_lshlrev_b32_e32 v8, 2, v8
	v_add_u32_sdwa v12, v12, v55 dst_sel:DWORD dst_unused:UNUSED_PAD src0_sel:DWORD src1_sel:WORD_0
	global_store_dwordx4 v8, v[13:16], s[0:1]
	global_store_dwordx4 v8, v[9:12], s[0:1] offset:16
	global_store_dwordx4 v8, v[4:7], s[0:1] offset:32
	;; [unrolled: 1-line block ×3, first 2 shown]
	s_endpgm
	.section	.rodata,"a",@progbits
	.p2align	6, 0x0
	.amdhsa_kernel _Z11rank_kernelIhLj4ELb0EL18RadixRankAlgorithm1ELj128ELj16ELj10EEvPKT_Pi
		.amdhsa_group_segment_fixed_size 4104
		.amdhsa_private_segment_fixed_size 0
		.amdhsa_kernarg_size 16
		.amdhsa_user_sgpr_count 6
		.amdhsa_user_sgpr_private_segment_buffer 1
		.amdhsa_user_sgpr_dispatch_ptr 0
		.amdhsa_user_sgpr_queue_ptr 0
		.amdhsa_user_sgpr_kernarg_segment_ptr 1
		.amdhsa_user_sgpr_dispatch_id 0
		.amdhsa_user_sgpr_flat_scratch_init 0
		.amdhsa_user_sgpr_private_segment_size 0
		.amdhsa_uses_dynamic_stack 0
		.amdhsa_system_sgpr_private_segment_wavefront_offset 0
		.amdhsa_system_sgpr_workgroup_id_x 1
		.amdhsa_system_sgpr_workgroup_id_y 0
		.amdhsa_system_sgpr_workgroup_id_z 0
		.amdhsa_system_sgpr_workgroup_info 0
		.amdhsa_system_vgpr_workitem_id 0
		.amdhsa_next_free_vgpr 66
		.amdhsa_next_free_sgpr 61
		.amdhsa_reserve_vcc 1
		.amdhsa_reserve_flat_scratch 0
		.amdhsa_float_round_mode_32 0
		.amdhsa_float_round_mode_16_64 0
		.amdhsa_float_denorm_mode_32 3
		.amdhsa_float_denorm_mode_16_64 3
		.amdhsa_dx10_clamp 1
		.amdhsa_ieee_mode 1
		.amdhsa_fp16_overflow 0
		.amdhsa_exception_fp_ieee_invalid_op 0
		.amdhsa_exception_fp_denorm_src 0
		.amdhsa_exception_fp_ieee_div_zero 0
		.amdhsa_exception_fp_ieee_overflow 0
		.amdhsa_exception_fp_ieee_underflow 0
		.amdhsa_exception_fp_ieee_inexact 0
		.amdhsa_exception_int_div_zero 0
	.end_amdhsa_kernel
	.section	.text._Z11rank_kernelIhLj4ELb0EL18RadixRankAlgorithm1ELj128ELj16ELj10EEvPKT_Pi,"axG",@progbits,_Z11rank_kernelIhLj4ELb0EL18RadixRankAlgorithm1ELj128ELj16ELj10EEvPKT_Pi,comdat
.Lfunc_end55:
	.size	_Z11rank_kernelIhLj4ELb0EL18RadixRankAlgorithm1ELj128ELj16ELj10EEvPKT_Pi, .Lfunc_end55-_Z11rank_kernelIhLj4ELb0EL18RadixRankAlgorithm1ELj128ELj16ELj10EEvPKT_Pi
                                        ; -- End function
	.set _Z11rank_kernelIhLj4ELb0EL18RadixRankAlgorithm1ELj128ELj16ELj10EEvPKT_Pi.num_vgpr, 66
	.set _Z11rank_kernelIhLj4ELb0EL18RadixRankAlgorithm1ELj128ELj16ELj10EEvPKT_Pi.num_agpr, 0
	.set _Z11rank_kernelIhLj4ELb0EL18RadixRankAlgorithm1ELj128ELj16ELj10EEvPKT_Pi.numbered_sgpr, 30
	.set _Z11rank_kernelIhLj4ELb0EL18RadixRankAlgorithm1ELj128ELj16ELj10EEvPKT_Pi.num_named_barrier, 0
	.set _Z11rank_kernelIhLj4ELb0EL18RadixRankAlgorithm1ELj128ELj16ELj10EEvPKT_Pi.private_seg_size, 0
	.set _Z11rank_kernelIhLj4ELb0EL18RadixRankAlgorithm1ELj128ELj16ELj10EEvPKT_Pi.uses_vcc, 1
	.set _Z11rank_kernelIhLj4ELb0EL18RadixRankAlgorithm1ELj128ELj16ELj10EEvPKT_Pi.uses_flat_scratch, 0
	.set _Z11rank_kernelIhLj4ELb0EL18RadixRankAlgorithm1ELj128ELj16ELj10EEvPKT_Pi.has_dyn_sized_stack, 0
	.set _Z11rank_kernelIhLj4ELb0EL18RadixRankAlgorithm1ELj128ELj16ELj10EEvPKT_Pi.has_recursion, 0
	.set _Z11rank_kernelIhLj4ELb0EL18RadixRankAlgorithm1ELj128ELj16ELj10EEvPKT_Pi.has_indirect_call, 0
	.section	.AMDGPU.csdata,"",@progbits
; Kernel info:
; codeLenInByte = 3216
; TotalNumSgprs: 34
; NumVgprs: 66
; ScratchSize: 0
; MemoryBound: 0
; FloatMode: 240
; IeeeMode: 1
; LDSByteSize: 4104 bytes/workgroup (compile time only)
; SGPRBlocks: 8
; VGPRBlocks: 16
; NumSGPRsForWavesPerEU: 65
; NumVGPRsForWavesPerEU: 66
; Occupancy: 3
; WaveLimiterHint : 0
; COMPUTE_PGM_RSRC2:SCRATCH_EN: 0
; COMPUTE_PGM_RSRC2:USER_SGPR: 6
; COMPUTE_PGM_RSRC2:TRAP_HANDLER: 0
; COMPUTE_PGM_RSRC2:TGID_X_EN: 1
; COMPUTE_PGM_RSRC2:TGID_Y_EN: 0
; COMPUTE_PGM_RSRC2:TGID_Z_EN: 0
; COMPUTE_PGM_RSRC2:TIDIG_COMP_CNT: 0
	.section	.text._Z11rank_kernelIhLj4ELb0EL18RadixRankAlgorithm2ELj128ELj16ELj10EEvPKT_Pi,"axG",@progbits,_Z11rank_kernelIhLj4ELb0EL18RadixRankAlgorithm2ELj128ELj16ELj10EEvPKT_Pi,comdat
	.protected	_Z11rank_kernelIhLj4ELb0EL18RadixRankAlgorithm2ELj128ELj16ELj10EEvPKT_Pi ; -- Begin function _Z11rank_kernelIhLj4ELb0EL18RadixRankAlgorithm2ELj128ELj16ELj10EEvPKT_Pi
	.globl	_Z11rank_kernelIhLj4ELb0EL18RadixRankAlgorithm2ELj128ELj16ELj10EEvPKT_Pi
	.p2align	8
	.type	_Z11rank_kernelIhLj4ELb0EL18RadixRankAlgorithm2ELj128ELj16ELj10EEvPKT_Pi,@function
_Z11rank_kernelIhLj4ELb0EL18RadixRankAlgorithm2ELj128ELj16ELj10EEvPKT_Pi: ; @_Z11rank_kernelIhLj4ELb0EL18RadixRankAlgorithm2ELj128ELj16ELj10EEvPKT_Pi
; %bb.0:
	s_load_dwordx4 s[8:11], s[4:5], 0x0
	s_mov_b64 s[98:99], s[2:3]
	s_mov_b64 s[96:97], s[0:1]
	s_add_u32 s96, s96, s7
	s_addc_u32 s97, s97, 0
	s_lshl_b32 s6, s6, 11
	s_load_dword s2, s[4:5], 0x1c
	s_waitcnt lgkmcnt(0)
	s_add_u32 s0, s8, s6
                                        ; implicit-def: $vgpr253 : SGPR spill to VGPR lane
	v_lshlrev_b32_e32 v3, 4, v0
	v_writelane_b32 v253, s8, 0
	s_addc_u32 s1, s9, 0
	buffer_store_dword v3, off, s[96:99], 0 offset:296 ; 4-byte Folded Spill
	global_load_dwordx4 v[3:6], v3, s[0:1]
	v_mbcnt_lo_u32_b32 v8, -1, 0
	v_mbcnt_hi_u32_b32 v173, -1, v8
	v_subrev_co_u32_e64 v8, s[92:93], 1, v173
	v_and_b32_e32 v9, 64, v173
	v_cmp_lt_i32_e32 vcc, v8, v9
	s_lshr_b32 s0, s2, 16
	v_writelane_b32 v253, s9, 1
	v_mov_b32_e32 v7, 0
	v_cndmask_b32_e32 v9, v8, v173, vcc
	s_and_b32 s1, s2, 0xffff
	v_mad_u32_u24 v1, v2, s0, v1
	v_writelane_b32 v253, s10, 2
	v_mad_u32_u24 v1, v1, s1, v0
	v_writelane_b32 v253, s11, 3
	v_mov_b32_e32 v75, 30
	v_mov_b32_e32 v74, 29
	;; [unrolled: 1-line block ×3, first 2 shown]
                                        ; implicit-def: $vgpr254 : SGPR spill to VGPR lane
	v_mov_b32_e32 v49, 1
                                        ; implicit-def: $vgpr255 : SGPR spill to VGPR lane
	v_mov_b32_e32 v77, 15
	s_mov_b32 s7, 0
	v_and_b32_e32 v174, 1, v173
	v_or_b32_e32 v172, 63, v0
	v_lshrrev_b32_e32 v1, 4, v1
	v_cmp_eq_u32_e64 s[10:11], 0, v174
	v_and_b32_e32 v170, 15, v173
	v_and_b32_e32 v171, 16, v173
	v_lshlrev_b32_e32 v102, 2, v9
	v_and_b32_e32 v93, 0xffffffc, v1
	v_cmp_eq_u32_e64 s[8:9], v0, v172
	v_cmp_gt_u32_e64 s[14:15], 2, v0
	v_cmp_lt_u32_e64 s[90:91], 63, v0
	v_cmp_eq_u32_e64 s[94:95], 0, v170
	v_cmp_lt_u32_e64 s[2:3], 3, v170
	v_cmp_lt_u32_e64 s[4:5], 7, v170
	;; [unrolled: 1-line block ×3, first 2 shown]
	s_mov_b32 s33, 10
	s_waitcnt vmcnt(0)
	v_lshlrev_b32_e32 v8, 30, v3
	v_cmp_gt_i64_e64 s[0:1], 0, v[7:8]
	v_not_b32_e32 v2, v8
	v_writelane_b32 v253, s0, 4
	v_lshlrev_b32_e32 v8, 29, v3
	v_writelane_b32 v253, s1, 5
	v_cmp_gt_i64_e64 s[0:1], 0, v[7:8]
	v_not_b32_e32 v10, v8
	v_writelane_b32 v253, s0, 6
	v_lshlrev_b32_e32 v8, 28, v3
	v_writelane_b32 v253, s1, 7
	v_cmp_gt_i64_e64 s[0:1], 0, v[7:8]
	v_lshrrev_b32_e32 v14, 8, v3
	v_writelane_b32 v253, s0, 8
	v_not_b32_e32 v12, v8
	v_lshlrev_b32_e32 v8, 30, v14
	v_writelane_b32 v253, s1, 9
	v_cmp_gt_i64_e64 s[0:1], 0, v[7:8]
	v_not_b32_e32 v11, v8
	v_writelane_b32 v253, s0, 10
	v_lshlrev_b32_e32 v8, 29, v14
	v_writelane_b32 v253, s1, 11
	v_cmp_gt_i64_e64 s[0:1], 0, v[7:8]
	v_not_b32_e32 v13, v8
	v_writelane_b32 v253, s0, 12
	v_lshlrev_b32_e32 v8, 28, v14
	v_writelane_b32 v253, s1, 13
	v_cmp_gt_i64_e64 s[0:1], 0, v[7:8]
	v_not_b32_e32 v14, v8
	v_writelane_b32 v253, s0, 14
	v_lshlrev_b32_sdwa v8, v75, v3 dst_sel:DWORD dst_unused:UNUSED_PAD src0_sel:DWORD src1_sel:WORD_1
	v_writelane_b32 v253, s1, 15
	v_cmp_gt_i64_e64 s[0:1], 0, v[7:8]
	v_not_b32_e32 v15, v8
	v_writelane_b32 v253, s0, 16
	v_lshlrev_b32_sdwa v8, v74, v3 dst_sel:DWORD dst_unused:UNUSED_PAD src0_sel:DWORD src1_sel:WORD_1
	v_writelane_b32 v253, s1, 17
	v_cmp_gt_i64_e64 s[0:1], 0, v[7:8]
	v_not_b32_e32 v16, v8
	v_writelane_b32 v253, s0, 18
	v_lshlrev_b32_sdwa v8, v73, v3 dst_sel:DWORD dst_unused:UNUSED_PAD src0_sel:DWORD src1_sel:WORD_1
	v_writelane_b32 v253, s1, 19
	v_cmp_gt_i64_e64 s[0:1], 0, v[7:8]
	v_not_b32_e32 v17, v8
	v_writelane_b32 v253, s0, 20
	v_lshlrev_b32_sdwa v8, v75, v3 dst_sel:DWORD dst_unused:UNUSED_PAD src0_sel:DWORD src1_sel:BYTE_3
	v_writelane_b32 v253, s1, 21
	v_cmp_gt_i64_e64 s[0:1], 0, v[7:8]
	v_not_b32_e32 v19, v8
	v_writelane_b32 v253, s0, 22
	v_lshlrev_b32_sdwa v8, v74, v3 dst_sel:DWORD dst_unused:UNUSED_PAD src0_sel:DWORD src1_sel:BYTE_3
	v_writelane_b32 v253, s1, 23
	v_cmp_gt_i64_e64 s[0:1], 0, v[7:8]
	v_not_b32_e32 v23, v8
	v_writelane_b32 v253, s0, 24
	v_lshlrev_b32_sdwa v8, v73, v3 dst_sel:DWORD dst_unused:UNUSED_PAD src0_sel:DWORD src1_sel:BYTE_3
	v_writelane_b32 v253, s1, 25
	v_cmp_gt_i64_e64 s[0:1], 0, v[7:8]
	v_not_b32_e32 v20, v8
	v_writelane_b32 v253, s0, 26
	v_lshlrev_b32_e32 v8, 30, v4
	v_writelane_b32 v253, s1, 27
	v_cmp_gt_i64_e64 s[0:1], 0, v[7:8]
	v_not_b32_e32 v22, v8
	v_writelane_b32 v253, s0, 28
	v_lshlrev_b32_e32 v8, 29, v4
	v_writelane_b32 v253, s1, 29
	v_cmp_gt_i64_e64 s[0:1], 0, v[7:8]
	v_not_b32_e32 v25, v8
	v_writelane_b32 v253, s0, 30
	v_lshlrev_b32_e32 v8, 28, v4
	v_writelane_b32 v253, s1, 31
	v_cmp_gt_i64_e64 s[0:1], 0, v[7:8]
	v_lshrrev_b32_e32 v24, 8, v4
	v_writelane_b32 v253, s0, 32
	v_not_b32_e32 v27, v8
	v_lshlrev_b32_e32 v8, 30, v24
	v_writelane_b32 v253, s1, 33
	v_cmp_gt_i64_e64 s[0:1], 0, v[7:8]
	v_not_b32_e32 v18, v8
	v_writelane_b32 v253, s0, 34
	v_lshlrev_b32_e32 v8, 29, v24
	v_writelane_b32 v253, s1, 35
	v_cmp_gt_i64_e64 s[0:1], 0, v[7:8]
	v_not_b32_e32 v21, v8
	v_writelane_b32 v253, s0, 36
	v_lshlrev_b32_e32 v8, 28, v24
	v_writelane_b32 v253, s1, 37
	v_cmp_gt_i64_e64 s[0:1], 0, v[7:8]
	v_not_b32_e32 v24, v8
	v_writelane_b32 v253, s0, 38
	v_lshlrev_b32_sdwa v8, v75, v4 dst_sel:DWORD dst_unused:UNUSED_PAD src0_sel:DWORD src1_sel:WORD_1
	v_writelane_b32 v253, s1, 39
	v_cmp_gt_i64_e64 s[0:1], 0, v[7:8]
	v_not_b32_e32 v26, v8
	v_writelane_b32 v253, s0, 40
	v_lshlrev_b32_sdwa v8, v74, v4 dst_sel:DWORD dst_unused:UNUSED_PAD src0_sel:DWORD src1_sel:WORD_1
	v_writelane_b32 v253, s1, 41
	v_cmp_gt_i64_e64 s[0:1], 0, v[7:8]
	v_not_b32_e32 v28, v8
	v_writelane_b32 v253, s0, 42
	v_lshlrev_b32_sdwa v8, v73, v4 dst_sel:DWORD dst_unused:UNUSED_PAD src0_sel:DWORD src1_sel:WORD_1
	v_writelane_b32 v253, s1, 43
	v_cmp_gt_i64_e64 s[0:1], 0, v[7:8]
	v_not_b32_e32 v29, v8
	v_writelane_b32 v253, s0, 44
	v_lshlrev_b32_sdwa v8, v75, v4 dst_sel:DWORD dst_unused:UNUSED_PAD src0_sel:DWORD src1_sel:BYTE_3
	v_writelane_b32 v253, s1, 45
	v_cmp_gt_i64_e64 s[0:1], 0, v[7:8]
	v_not_b32_e32 v30, v8
	v_writelane_b32 v253, s0, 46
	v_lshlrev_b32_sdwa v8, v74, v4 dst_sel:DWORD dst_unused:UNUSED_PAD src0_sel:DWORD src1_sel:BYTE_3
	v_writelane_b32 v253, s1, 47
	v_cmp_gt_i64_e64 s[0:1], 0, v[7:8]
	v_not_b32_e32 v31, v8
	v_writelane_b32 v253, s0, 48
	v_lshlrev_b32_sdwa v8, v73, v4 dst_sel:DWORD dst_unused:UNUSED_PAD src0_sel:DWORD src1_sel:BYTE_3
	v_writelane_b32 v253, s1, 49
	v_cmp_gt_i64_e64 s[0:1], 0, v[7:8]
	v_not_b32_e32 v32, v8
	v_writelane_b32 v253, s0, 50
	v_lshlrev_b32_e32 v8, 30, v5
	v_writelane_b32 v253, s1, 51
	v_cmp_gt_i64_e64 s[0:1], 0, v[7:8]
	v_not_b32_e32 v33, v8
	v_writelane_b32 v253, s0, 52
	v_lshlrev_b32_e32 v8, 29, v5
	v_writelane_b32 v253, s1, 53
	v_cmp_gt_i64_e64 s[0:1], 0, v[7:8]
	v_not_b32_e32 v34, v8
	v_writelane_b32 v253, s0, 54
	v_lshlrev_b32_e32 v8, 28, v5
	v_writelane_b32 v253, s1, 55
	v_cmp_gt_i64_e64 s[0:1], 0, v[7:8]
	v_lshrrev_b32_e32 v37, 8, v5
	v_writelane_b32 v253, s0, 56
	v_not_b32_e32 v35, v8
	v_lshlrev_b32_e32 v8, 30, v37
	v_writelane_b32 v253, s1, 57
	v_cmp_gt_i64_e64 s[0:1], 0, v[7:8]
	v_not_b32_e32 v36, v8
	v_writelane_b32 v253, s0, 58
	v_lshlrev_b32_e32 v8, 29, v37
	v_writelane_b32 v253, s1, 59
	v_cmp_gt_i64_e64 s[0:1], 0, v[7:8]
	v_not_b32_e32 v38, v8
	v_writelane_b32 v253, s0, 60
	v_lshlrev_b32_e32 v8, 28, v37
	v_writelane_b32 v253, s1, 61
	v_cmp_gt_i64_e64 s[0:1], 0, v[7:8]
	v_not_b32_e32 v39, v8
	v_writelane_b32 v253, s0, 62
	v_lshlrev_b32_sdwa v8, v75, v5 dst_sel:DWORD dst_unused:UNUSED_PAD src0_sel:DWORD src1_sel:WORD_1
	v_writelane_b32 v253, s1, 63
	v_cmp_gt_i64_e64 s[0:1], 0, v[7:8]
	v_not_b32_e32 v41, v8
	v_writelane_b32 v254, s0, 0
	v_lshlrev_b32_sdwa v8, v74, v5 dst_sel:DWORD dst_unused:UNUSED_PAD src0_sel:DWORD src1_sel:WORD_1
	v_writelane_b32 v254, s1, 1
	v_cmp_gt_i64_e64 s[0:1], 0, v[7:8]
	v_not_b32_e32 v42, v8
	v_writelane_b32 v254, s0, 2
	v_lshlrev_b32_sdwa v8, v73, v5 dst_sel:DWORD dst_unused:UNUSED_PAD src0_sel:DWORD src1_sel:WORD_1
	v_writelane_b32 v254, s1, 3
	v_cmp_gt_i64_e64 s[0:1], 0, v[7:8]
	v_not_b32_e32 v43, v8
	v_writelane_b32 v254, s0, 4
	v_lshlrev_b32_sdwa v8, v75, v5 dst_sel:DWORD dst_unused:UNUSED_PAD src0_sel:DWORD src1_sel:BYTE_3
	v_writelane_b32 v254, s1, 5
	v_cmp_gt_i64_e64 s[0:1], 0, v[7:8]
	v_not_b32_e32 v121, v8
	v_writelane_b32 v254, s0, 6
	v_lshlrev_b32_sdwa v8, v74, v5 dst_sel:DWORD dst_unused:UNUSED_PAD src0_sel:DWORD src1_sel:BYTE_3
	v_writelane_b32 v254, s1, 7
	v_cmp_gt_i64_e64 s[0:1], 0, v[7:8]
	v_not_b32_e32 v122, v8
	v_writelane_b32 v254, s0, 8
	v_lshlrev_b32_sdwa v8, v73, v5 dst_sel:DWORD dst_unused:UNUSED_PAD src0_sel:DWORD src1_sel:BYTE_3
	v_writelane_b32 v254, s1, 9
	v_cmp_gt_i64_e64 s[0:1], 0, v[7:8]
	v_not_b32_e32 v123, v8
	v_writelane_b32 v254, s0, 10
	v_lshlrev_b32_e32 v8, 30, v6
	v_writelane_b32 v254, s1, 11
	v_cmp_gt_i64_e64 s[0:1], 0, v[7:8]
	v_and_b32_e32 v44, 1, v3
	v_writelane_b32 v254, s0, 12
	v_add_co_u32_e32 v45, vcc, -1, v44
	v_writelane_b32 v254, s1, 13
	buffer_store_dword v45, off, s[96:99], 0 ; 4-byte Folded Spill
	v_addc_co_u32_e64 v45, s[0:1], 0, -1, vcc
	buffer_store_dword v45, off, s[96:99], 0 offset:4 ; 4-byte Folded Spill
	v_bfe_u32 v45, v3, 8, 1
	v_add_co_u32_e32 v45, vcc, -1, v45
	buffer_store_dword v45, off, s[96:99], 0 offset:8 ; 4-byte Folded Spill
	v_addc_co_u32_e64 v45, s[0:1], 0, -1, vcc
	buffer_store_dword v45, off, s[96:99], 0 offset:12 ; 4-byte Folded Spill
	v_bfe_u32 v45, v3, 16, 1
	v_add_co_u32_e32 v45, vcc, -1, v45
	buffer_store_dword v45, off, s[96:99], 0 offset:16 ; 4-byte Folded Spill
	v_addc_co_u32_e64 v45, s[0:1], 0, -1, vcc
	buffer_store_dword v45, off, s[96:99], 0 offset:20 ; 4-byte Folded Spill
	v_and_b32_sdwa v45, v3, v49 dst_sel:DWORD dst_unused:UNUSED_PAD src0_sel:BYTE_3 src1_sel:DWORD
	v_add_co_u32_e32 v46, vcc, -1, v45
	buffer_store_dword v46, off, s[96:99], 0 offset:24 ; 4-byte Folded Spill
	v_addc_co_u32_e64 v46, s[0:1], 0, -1, vcc
	buffer_store_dword v46, off, s[96:99], 0 offset:28 ; 4-byte Folded Spill
	v_and_b32_e32 v46, 1, v4
	v_add_co_u32_e32 v47, vcc, -1, v46
	buffer_store_dword v47, off, s[96:99], 0 offset:32 ; 4-byte Folded Spill
	v_addc_co_u32_e64 v47, s[0:1], 0, -1, vcc
	buffer_store_dword v47, off, s[96:99], 0 offset:36 ; 4-byte Folded Spill
	v_bfe_u32 v47, v4, 8, 1
	v_add_co_u32_e32 v47, vcc, -1, v47
	buffer_store_dword v47, off, s[96:99], 0 offset:40 ; 4-byte Folded Spill
	v_addc_co_u32_e64 v47, s[0:1], 0, -1, vcc
	buffer_store_dword v47, off, s[96:99], 0 offset:44 ; 4-byte Folded Spill
	v_bfe_u32 v47, v4, 16, 1
	v_add_co_u32_e32 v47, vcc, -1, v47
	buffer_store_dword v47, off, s[96:99], 0 offset:48 ; 4-byte Folded Spill
	v_addc_co_u32_e64 v47, s[0:1], 0, -1, vcc
	buffer_store_dword v47, off, s[96:99], 0 offset:52 ; 4-byte Folded Spill
	v_and_b32_sdwa v47, v4, v49 dst_sel:DWORD dst_unused:UNUSED_PAD src0_sel:BYTE_3 src1_sel:DWORD
	v_add_co_u32_e32 v48, vcc, -1, v47
	buffer_store_dword v48, off, s[96:99], 0 offset:56 ; 4-byte Folded Spill
	v_addc_co_u32_e64 v48, s[0:1], 0, -1, vcc
	buffer_store_dword v48, off, s[96:99], 0 offset:60 ; 4-byte Folded Spill
	v_and_b32_e32 v48, 1, v5
	v_add_co_u32_e32 v50, vcc, -1, v48
	buffer_store_dword v50, off, s[96:99], 0 offset:64 ; 4-byte Folded Spill
	v_addc_co_u32_e64 v50, s[0:1], 0, -1, vcc
	buffer_store_dword v50, off, s[96:99], 0 offset:68 ; 4-byte Folded Spill
	v_bfe_u32 v50, v5, 8, 1
	v_add_co_u32_e32 v50, vcc, -1, v50
	buffer_store_dword v50, off, s[96:99], 0 offset:72 ; 4-byte Folded Spill
	v_addc_co_u32_e64 v50, s[0:1], 0, -1, vcc
	buffer_store_dword v50, off, s[96:99], 0 offset:76 ; 4-byte Folded Spill
	v_bfe_u32 v50, v5, 16, 1
	v_add_co_u32_e32 v50, vcc, -1, v50
	buffer_store_dword v50, off, s[96:99], 0 offset:80 ; 4-byte Folded Spill
	v_addc_co_u32_e64 v50, s[0:1], 0, -1, vcc
	v_and_b32_sdwa v140, v5, v49 dst_sel:DWORD dst_unused:UNUSED_PAD src0_sel:BYTE_3 src1_sel:DWORD
	buffer_store_dword v50, off, s[96:99], 0 offset:84 ; 4-byte Folded Spill
	v_add_co_u32_e32 v50, vcc, -1, v140
	v_and_b32_e32 v143, 1, v6
	v_lshrrev_b32_e32 v37, 8, v6
	buffer_store_dword v50, off, s[96:99], 0 offset:88 ; 4-byte Folded Spill
	v_addc_co_u32_e64 v50, s[0:1], 0, -1, vcc
	v_add_co_u32_e32 v59, vcc, -1, v143
	buffer_store_dword v59, off, s[96:99], 0 offset:96 ; 4-byte Folded Spill
	v_addc_co_u32_e64 v59, s[0:1], 0, -1, vcc
	v_and_b32_e32 v144, 1, v37
	v_lshrrev_b32_e32 v40, 16, v6
	buffer_store_dword v59, off, s[96:99], 0 offset:100 ; 4-byte Folded Spill
	v_add_co_u32_e32 v59, vcc, -1, v144
	buffer_store_dword v59, off, s[96:99], 0 offset:104 ; 4-byte Folded Spill
	v_addc_co_u32_e64 v59, s[0:1], 0, -1, vcc
	v_and_b32_e32 v145, 1, v40
	buffer_store_dword v59, off, s[96:99], 0 offset:108 ; 4-byte Folded Spill
	v_add_co_u32_e32 v59, vcc, -1, v145
	v_and_b32_sdwa v142, v6, v49 dst_sel:DWORD dst_unused:UNUSED_PAD src0_sel:BYTE_3 src1_sel:DWORD
	buffer_store_dword v59, off, s[96:99], 0 offset:112 ; 4-byte Folded Spill
	v_addc_co_u32_e64 v59, s[0:1], 0, -1, vcc
	v_bfe_u32 v49, v3, 4, 1
	buffer_store_dword v59, off, s[96:99], 0 offset:116 ; 4-byte Folded Spill
	v_add_co_u32_e32 v59, vcc, -1, v142
	buffer_store_dword v59, off, s[96:99], 0 offset:120 ; 4-byte Folded Spill
	v_addc_co_u32_e64 v59, s[0:1], 0, -1, vcc
	v_add_co_u32_e32 v49, vcc, -1, v49
	buffer_store_dword v50, off, s[96:99], 0 offset:92 ; 4-byte Folded Spill
	v_bfe_u32 v50, v3, 12, 1
	buffer_store_dword v49, off, s[96:99], 0 offset:128 ; 4-byte Folded Spill
	v_addc_co_u32_e64 v49, s[0:1], 0, -1, vcc
	buffer_store_dword v49, off, s[96:99], 0 offset:132 ; 4-byte Folded Spill
	v_add_co_u32_e32 v49, vcc, -1, v50
	v_bfe_u32 v51, v3, 20, 1
	buffer_store_dword v49, off, s[96:99], 0 offset:136 ; 4-byte Folded Spill
	v_addc_co_u32_e64 v49, s[0:1], 0, -1, vcc
	buffer_store_dword v49, off, s[96:99], 0 offset:140 ; 4-byte Folded Spill
	v_add_co_u32_e32 v49, vcc, -1, v51
	v_bfe_u32 v52, v3, 28, 1
	buffer_store_dword v49, off, s[96:99], 0 offset:144 ; 4-byte Folded Spill
	v_addc_co_u32_e64 v49, s[0:1], 0, -1, vcc
	buffer_store_dword v49, off, s[96:99], 0 offset:148 ; 4-byte Folded Spill
	v_add_co_u32_e32 v49, vcc, -1, v52
	v_bfe_u32 v53, v4, 4, 1
	buffer_store_dword v49, off, s[96:99], 0 offset:152 ; 4-byte Folded Spill
	v_addc_co_u32_e64 v49, s[0:1], 0, -1, vcc
	buffer_store_dword v49, off, s[96:99], 0 offset:156 ; 4-byte Folded Spill
	v_add_co_u32_e32 v49, vcc, -1, v53
	v_bfe_u32 v54, v4, 12, 1
	buffer_store_dword v49, off, s[96:99], 0 offset:160 ; 4-byte Folded Spill
	v_addc_co_u32_e64 v49, s[0:1], 0, -1, vcc
	buffer_store_dword v49, off, s[96:99], 0 offset:164 ; 4-byte Folded Spill
	v_add_co_u32_e32 v49, vcc, -1, v54
	v_bfe_u32 v55, v4, 20, 1
	buffer_store_dword v49, off, s[96:99], 0 offset:168 ; 4-byte Folded Spill
	v_addc_co_u32_e64 v49, s[0:1], 0, -1, vcc
	buffer_store_dword v49, off, s[96:99], 0 offset:172 ; 4-byte Folded Spill
	v_add_co_u32_e32 v49, vcc, -1, v55
	v_bfe_u32 v56, v4, 28, 1
	buffer_store_dword v49, off, s[96:99], 0 offset:176 ; 4-byte Folded Spill
	v_addc_co_u32_e64 v49, s[0:1], 0, -1, vcc
	buffer_store_dword v49, off, s[96:99], 0 offset:180 ; 4-byte Folded Spill
	v_add_co_u32_e32 v49, vcc, -1, v56
	v_bfe_u32 v57, v5, 4, 1
	buffer_store_dword v49, off, s[96:99], 0 offset:184 ; 4-byte Folded Spill
	v_addc_co_u32_e64 v49, s[0:1], 0, -1, vcc
	buffer_store_dword v49, off, s[96:99], 0 offset:188 ; 4-byte Folded Spill
	v_add_co_u32_e32 v49, vcc, -1, v57
	v_bfe_u32 v58, v5, 12, 1
	buffer_store_dword v49, off, s[96:99], 0 offset:192 ; 4-byte Folded Spill
	v_addc_co_u32_e64 v49, s[0:1], 0, -1, vcc
	buffer_store_dword v49, off, s[96:99], 0 offset:196 ; 4-byte Folded Spill
	v_add_co_u32_e32 v49, vcc, -1, v58
	v_not_b32_e32 v124, v8
	v_lshlrev_b32_e32 v8, 29, v6
	buffer_store_dword v49, off, s[96:99], 0 offset:200 ; 4-byte Folded Spill
	v_addc_co_u32_e64 v49, s[0:1], 0, -1, vcc
	v_cmp_gt_i64_e64 s[0:1], 0, v[7:8]
	v_bfe_u32 v51, v5, 20, 1
	v_writelane_b32 v254, s0, 14
	v_add_co_u32_e32 v51, vcc, -1, v51
	v_writelane_b32 v254, s1, 15
	v_bfe_u32 v52, v5, 28, 1
	buffer_store_dword v51, off, s[96:99], 0 offset:208 ; 4-byte Folded Spill
	v_addc_co_u32_e64 v51, s[0:1], 0, -1, vcc
	buffer_store_dword v51, off, s[96:99], 0 offset:212 ; 4-byte Folded Spill
	v_add_co_u32_e32 v51, vcc, -1, v52
	buffer_store_dword v49, off, s[96:99], 0 offset:204 ; 4-byte Folded Spill
	v_not_b32_e32 v49, v8
	v_lshlrev_b32_e32 v8, 28, v6
	buffer_store_dword v51, off, s[96:99], 0 offset:216 ; 4-byte Folded Spill
	v_addc_co_u32_e64 v51, s[0:1], 0, -1, vcc
	v_cmp_gt_i64_e64 s[0:1], 0, v[7:8]
	v_not_b32_e32 v50, v8
	v_writelane_b32 v254, s0, 16
	v_lshlrev_b32_e32 v8, 30, v37
	v_writelane_b32 v254, s1, 17
	v_cmp_gt_i64_e64 s[0:1], 0, v[7:8]
	v_bfe_u32 v53, v6, 4, 1
	v_writelane_b32 v254, s0, 18
	v_add_co_u32_e32 v53, vcc, -1, v53
	v_writelane_b32 v254, s1, 19
	buffer_store_dword v53, off, s[96:99], 0 offset:224 ; 4-byte Folded Spill
	v_addc_co_u32_e64 v53, s[0:1], 0, -1, vcc
	buffer_store_dword v53, off, s[96:99], 0 offset:228 ; 4-byte Folded Spill
	v_bfe_u32 v53, v37, 4, 1
	v_add_co_u32_e32 v53, vcc, -1, v53
	buffer_store_dword v53, off, s[96:99], 0 offset:232 ; 4-byte Folded Spill
	v_addc_co_u32_e64 v53, s[0:1], 0, -1, vcc
	buffer_store_dword v53, off, s[96:99], 0 offset:236 ; 4-byte Folded Spill
	v_bfe_u32 v53, v40, 4, 1
	v_add_co_u32_e32 v53, vcc, -1, v53
	v_lshrrev_b32_e32 v54, 28, v6
	buffer_store_dword v53, off, s[96:99], 0 offset:240 ; 4-byte Folded Spill
	v_addc_co_u32_e64 v53, s[0:1], 0, -1, vcc
	buffer_store_dword v53, off, s[96:99], 0 offset:244 ; 4-byte Folded Spill
	v_and_b32_e32 v53, 1, v54
	v_add_co_u32_e32 v55, vcc, -1, v53
	buffer_store_dword v51, off, s[96:99], 0 offset:220 ; 4-byte Folded Spill
	v_not_b32_e32 v51, v8
	v_lshlrev_b32_e32 v8, 29, v37
	buffer_store_dword v55, off, s[96:99], 0 offset:248 ; 4-byte Folded Spill
	v_addc_co_u32_e64 v55, s[0:1], 0, -1, vcc
	v_cmp_gt_i64_e64 s[0:1], 0, v[7:8]
	v_not_b32_e32 v52, v8
	v_writelane_b32 v254, s0, 20
	v_lshlrev_b32_e32 v8, 28, v37
	v_writelane_b32 v254, s1, 21
	v_cmp_gt_i64_e64 s[0:1], 0, v[7:8]
	buffer_store_dword v55, off, s[96:99], 0 offset:252 ; 4-byte Folded Spill
	v_not_b32_e32 v55, v8
	v_writelane_b32 v254, s0, 22
	v_lshlrev_b32_e32 v8, 30, v40
	v_writelane_b32 v254, s1, 23
	v_cmp_gt_i64_e64 s[0:1], 0, v[7:8]
	v_not_b32_e32 v56, v8
	v_writelane_b32 v254, s0, 24
	v_lshlrev_b32_e32 v8, 29, v40
	v_writelane_b32 v254, s1, 25
	v_cmp_gt_i64_e64 s[0:1], 0, v[7:8]
	;; [unrolled: 5-line block ×3, first 2 shown]
	v_not_b32_e32 v58, v8
	v_writelane_b32 v254, s0, 28
	v_lshlrev_b32_sdwa v8, v75, v6 dst_sel:DWORD dst_unused:UNUSED_PAD src0_sel:DWORD src1_sel:BYTE_3
	v_writelane_b32 v254, s1, 29
	v_cmp_gt_i64_e64 s[0:1], 0, v[7:8]
	buffer_store_dword v59, off, s[96:99], 0 offset:124 ; 4-byte Folded Spill
	v_not_b32_e32 v59, v8
	v_writelane_b32 v254, s0, 30
	v_lshlrev_b32_sdwa v8, v74, v6 dst_sel:DWORD dst_unused:UNUSED_PAD src0_sel:DWORD src1_sel:BYTE_3
	v_writelane_b32 v254, s1, 31
	v_cmp_gt_i64_e64 s[0:1], 0, v[7:8]
	v_not_b32_e32 v60, v8
	v_writelane_b32 v254, s0, 32
	v_lshlrev_b32_sdwa v8, v73, v6 dst_sel:DWORD dst_unused:UNUSED_PAD src0_sel:DWORD src1_sel:BYTE_3
	v_writelane_b32 v254, s1, 33
	v_cmp_gt_i64_e64 s[0:1], 0, v[7:8]
	v_lshrrev_b32_e32 v62, 4, v3
	v_not_b32_e32 v61, v8
	v_writelane_b32 v254, s0, 34
	v_lshlrev_b32_e32 v8, 30, v62
	v_writelane_b32 v254, s1, 35
	v_cmp_gt_i64_e64 s[0:1], 0, v[7:8]
	v_not_b32_e32 v63, v8
	v_writelane_b32 v254, s0, 36
	v_lshlrev_b32_e32 v8, 29, v62
	v_writelane_b32 v254, s1, 37
	v_cmp_gt_i64_e64 s[0:1], 0, v[7:8]
	v_not_b32_e32 v64, v8
	v_writelane_b32 v254, s0, 38
	v_lshlrev_b32_e32 v8, 28, v62
	v_writelane_b32 v254, s1, 39
	v_cmp_gt_i64_e64 s[0:1], 0, v[7:8]
	v_lshrrev_b32_e32 v65, 12, v3
	v_not_b32_e32 v62, v8
	v_writelane_b32 v254, s0, 40
	v_lshlrev_b32_e32 v8, 30, v65
	v_writelane_b32 v254, s1, 41
	v_cmp_gt_i64_e64 s[0:1], 0, v[7:8]
	v_not_b32_e32 v66, v8
	v_writelane_b32 v254, s0, 42
	v_lshlrev_b32_e32 v8, 29, v65
	v_writelane_b32 v254, s1, 43
	v_cmp_gt_i64_e64 s[0:1], 0, v[7:8]
	v_not_b32_e32 v67, v8
	v_writelane_b32 v254, s0, 44
	v_lshlrev_b32_e32 v8, 28, v65
	v_writelane_b32 v254, s1, 45
	v_cmp_gt_i64_e64 s[0:1], 0, v[7:8]
	v_lshrrev_b32_e32 v68, 20, v3
	v_not_b32_e32 v65, v8
	v_writelane_b32 v254, s0, 46
	v_lshlrev_b32_e32 v8, 30, v68
	v_writelane_b32 v254, s1, 47
	v_cmp_gt_i64_e64 s[0:1], 0, v[7:8]
	v_not_b32_e32 v69, v8
	v_writelane_b32 v254, s0, 48
	v_lshlrev_b32_e32 v8, 29, v68
	v_writelane_b32 v254, s1, 49
	v_cmp_gt_i64_e64 s[0:1], 0, v[7:8]
	v_not_b32_e32 v70, v8
	v_writelane_b32 v254, s0, 50
	v_lshlrev_b32_e32 v8, 28, v68
	v_writelane_b32 v254, s1, 51
	v_cmp_gt_i64_e64 s[0:1], 0, v[7:8]
	v_lshrrev_b32_e32 v71, 28, v3
	v_not_b32_e32 v68, v8
	v_writelane_b32 v254, s0, 52
	v_lshlrev_b32_e32 v8, 30, v71
	v_writelane_b32 v254, s1, 53
	v_cmp_gt_i64_e64 s[0:1], 0, v[7:8]
	v_not_b32_e32 v72, v8
	v_writelane_b32 v254, s0, 54
	v_lshlrev_b32_e32 v8, 29, v71
	v_writelane_b32 v254, s1, 55
	v_cmp_gt_i64_e64 s[0:1], 0, v[7:8]
	v_not_b32_e32 v74, v8
	v_writelane_b32 v254, s0, 56
	v_and_b32_e32 v8, 0xf0000000, v3
	v_writelane_b32 v254, s1, 57
	v_cmp_gt_i64_e64 s[0:1], 0, v[7:8]
	v_lshrrev_b32_e32 v73, 4, v4
	v_not_b32_e32 v75, v8
	v_writelane_b32 v254, s0, 58
	v_lshlrev_b32_e32 v8, 30, v73
	v_writelane_b32 v254, s1, 59
	v_cmp_gt_i64_e64 s[0:1], 0, v[7:8]
	v_not_b32_e32 v76, v8
	v_writelane_b32 v254, s0, 60
	v_lshlrev_b32_e32 v8, 29, v73
	v_writelane_b32 v254, s1, 61
	v_cmp_gt_i64_e64 s[0:1], 0, v[7:8]
	v_not_b32_e32 v85, v8
	v_writelane_b32 v254, s0, 62
	v_lshlrev_b32_e32 v8, 28, v73
	v_writelane_b32 v254, s1, 63
	v_cmp_gt_i64_e64 s[0:1], 0, v[7:8]
	v_lshrrev_b32_e32 v73, 12, v4
	v_not_b32_e32 v86, v8
	v_writelane_b32 v255, s0, 0
	v_lshlrev_b32_e32 v8, 30, v73
	v_writelane_b32 v255, s1, 1
	v_cmp_gt_i64_e64 s[0:1], 0, v[7:8]
	v_not_b32_e32 v87, v8
	v_writelane_b32 v255, s0, 2
	v_lshlrev_b32_e32 v8, 29, v73
	v_writelane_b32 v255, s1, 3
	v_cmp_gt_i64_e64 s[0:1], 0, v[7:8]
	v_not_b32_e32 v88, v8
	v_writelane_b32 v255, s0, 4
	v_lshlrev_b32_e32 v8, 28, v73
	v_writelane_b32 v255, s1, 5
	v_cmp_gt_i64_e64 s[0:1], 0, v[7:8]
	v_lshrrev_b32_e32 v73, 20, v4
	v_not_b32_e32 v146, v8
	v_writelane_b32 v255, s0, 6
	v_lshlrev_b32_e32 v8, 30, v73
	v_writelane_b32 v255, s1, 7
	v_cmp_gt_i64_e64 s[0:1], 0, v[7:8]
	v_not_b32_e32 v147, v8
	v_writelane_b32 v255, s0, 8
	v_lshlrev_b32_e32 v8, 29, v73
	v_writelane_b32 v255, s1, 9
	v_cmp_gt_i64_e64 s[0:1], 0, v[7:8]
	v_not_b32_e32 v148, v8
	v_writelane_b32 v255, s0, 10
	v_lshlrev_b32_e32 v8, 28, v73
	v_writelane_b32 v255, s1, 11
	v_cmp_gt_i64_e64 s[0:1], 0, v[7:8]
	v_lshrrev_b32_e32 v150, 28, v4
	v_not_b32_e32 v149, v8
	v_writelane_b32 v255, s0, 12
	v_lshlrev_b32_e32 v8, 30, v150
	v_writelane_b32 v255, s1, 13
	v_cmp_gt_i64_e64 s[0:1], 0, v[7:8]
	v_not_b32_e32 v151, v8
	v_writelane_b32 v255, s0, 14
	v_lshlrev_b32_e32 v8, 29, v150
	v_writelane_b32 v255, s1, 15
	v_cmp_gt_i64_e64 s[0:1], 0, v[7:8]
	v_not_b32_e32 v152, v8
	v_writelane_b32 v255, s0, 16
	v_and_b32_e32 v8, 0xf0000000, v4
	;; [unrolled: 64-line block ×3, first 2 shown]
	v_writelane_b32 v255, s1, 41
	v_cmp_gt_i64_e64 s[0:1], 0, v[7:8]
	v_and_b32_sdwa v103, v3, v77 dst_sel:DWORD dst_unused:UNUSED_PAD src0_sel:BYTE_3 src1_sel:DWORD
	v_and_b32_e32 v104, 15, v3
	v_bfe_u32 v105, v3, 8, 4
	v_and_b32_e32 v177, 0x100, v3
	v_bfe_u32 v106, v3, 16, 4
	;; [unrolled: 2-line block ×5, first 2 shown]
	v_and_b32_e32 v194, 0x100000, v3
	v_and_b32_e32 v197, 0x10000000, v3
	v_lshrrev_b32_e32 v3, 4, v6
	v_not_b32_e32 v208, v8
	v_writelane_b32 v255, s0, 42
	v_lshlrev_b32_e32 v8, 30, v3
	v_writelane_b32 v255, s1, 43
	v_cmp_gt_i64_e64 s[0:1], 0, v[7:8]
	v_not_b32_e32 v209, v8
	v_writelane_b32 v255, s0, 44
	v_lshlrev_b32_e32 v8, 29, v3
	v_writelane_b32 v255, s1, 45
	v_cmp_gt_i64_e64 s[0:1], 0, v[7:8]
	;; [unrolled: 5-line block ×3, first 2 shown]
	v_lshrrev_b32_e32 v3, 4, v37
	v_not_b32_e32 v212, v8
	v_writelane_b32 v255, s0, 48
	v_lshlrev_b32_e32 v8, 30, v3
	v_writelane_b32 v255, s1, 49
	v_cmp_gt_i64_e64 s[0:1], 0, v[7:8]
	v_not_b32_e32 v213, v8
	v_writelane_b32 v255, s0, 50
	v_lshlrev_b32_e32 v8, 29, v3
	v_writelane_b32 v255, s1, 51
	v_cmp_gt_i64_e64 s[0:1], 0, v[7:8]
	;; [unrolled: 5-line block ×3, first 2 shown]
	v_and_b32_sdwa v109, v4, v77 dst_sel:DWORD dst_unused:UNUSED_PAD src0_sel:BYTE_3 src1_sel:DWORD
	v_and_b32_e32 v107, 15, v4
	v_bfe_u32 v108, v4, 8, 4
	v_and_b32_e32 v181, 0x100, v4
	v_bfe_u32 v110, v4, 16, 4
	;; [unrolled: 2-line block ×5, first 2 shown]
	v_and_b32_e32 v200, 0x100000, v4
	v_and_b32_e32 v201, 0x10000000, v4
	v_lshrrev_b32_e32 v4, 4, v40
	v_not_b32_e32 v215, v8
	v_writelane_b32 v255, s0, 54
	v_lshlrev_b32_e32 v8, 30, v4
	v_writelane_b32 v255, s1, 55
	v_cmp_gt_i64_e64 s[0:1], 0, v[7:8]
	v_not_b32_e32 v216, v8
	v_writelane_b32 v255, s0, 56
	v_lshlrev_b32_e32 v8, 29, v4
	v_writelane_b32 v255, s1, 57
	v_cmp_gt_i64_e64 s[0:1], 0, v[7:8]
	v_not_b32_e32 v217, v8
	v_lshlrev_b32_e32 v8, 28, v4
	v_writelane_b32 v255, s0, 58
	v_cmp_eq_u32_e64 s[22:23], 1, v45
	v_not_b32_e32 v45, v8
	v_cmp_gt_i64_e64 s[62:63], 0, v[7:8]
	v_lshlrev_b32_e32 v8, 30, v54
	v_writelane_b32 v255, s1, 59
	v_cmp_eq_u32_e64 s[24:25], 1, v46
	v_not_b32_e32 v46, v8
	v_cmp_gt_i64_e64 s[66:67], 0, v[7:8]
	v_lshlrev_b32_e32 v8, 29, v54
	v_bfe_u32 v118, v5, 16, 4
	v_writelane_b32 v255, s6, 60
	v_cmp_eq_u32_e64 s[30:31], 1, v47
	v_not_b32_e32 v47, v8
	v_cmp_gt_i64_e64 s[70:71], 0, v[7:8]
	v_lshlrev_b32_e32 v8, 28, v54
	v_and_b32_sdwa v125, v5, v77 dst_sel:DWORD dst_unused:UNUSED_PAD src0_sel:BYTE_3 src1_sel:DWORD
	v_and_b32_e32 v112, 15, v5
	v_bfe_u32 v115, v5, 8, 4
	v_and_b32_e32 v185, 0x100, v5
	v_and_b32_e32 v186, 0x10000, v5
	;; [unrolled: 1-line block ×3, first 2 shown]
	v_bfe_u32 v168, v5, 4, 4
	v_and_b32_e32 v202, 16, v5
	v_bfe_u32 v169, v5, 12, 4
	v_and_b32_e32 v203, 0x1000, v5
	;; [unrolled: 2-line block ×3, first 2 shown]
	v_and_b32_e32 v206, 0x10000000, v5
	v_bfe_u32 v207, v6, 4, 4
	v_and_b32_e32 v128, 15, v37
	v_and_b32_e32 v131, 15, v40
	v_and_b32_sdwa v134, v6, v77 dst_sel:DWORD dst_unused:UNUSED_PAD src0_sel:BYTE_3 src1_sel:DWORD
	v_ashrrev_i32_e32 v5, 31, v2
	v_ashrrev_i32_e32 v77, 31, v11
	v_writelane_b32 v255, s7, 61
	v_mul_u32_u24_e32 v233, 12, v118
	v_ashrrev_i32_e32 v118, 31, v41
	v_ashrrev_i32_e32 v120, 31, v43
	v_mul_u32_u24_e32 v2, 12, v137
	v_cmp_eq_u32_e64 s[34:35], 1, v48
	v_bfe_u32 v41, v37, 4, 4
	v_bfe_u32 v43, v40, 4, 4
	v_not_b32_e32 v48, v8
	v_and_b32_e32 v211, 16, v6
	v_lshrrev_b32_e32 v3, 4, v0
	v_ashrrev_i32_e32 v6, 31, v10
	v_ashrrev_i32_e32 v73, 31, v12
	buffer_store_dword v5, off, s[96:99], 0 offset:256 ; 4-byte Folded Spill
	buffer_store_dword v6, off, s[96:99], 0 offset:260 ; 4-byte Folded Spill
	;; [unrolled: 1-line block ×3, first 2 shown]
	v_ashrrev_i32_e32 v78, 31, v13
	v_ashrrev_i32_e32 v79, 31, v14
	;; [unrolled: 1-line block ×7, first 2 shown]
	buffer_store_dword v77, off, s[96:99], 0 offset:268 ; 4-byte Folded Spill
	buffer_store_dword v78, off, s[96:99], 0 offset:272 ; 4-byte Folded Spill
	;; [unrolled: 1-line block ×5, first 2 shown]
	v_ashrrev_i32_e32 v94, 31, v20
	v_ashrrev_i32_e32 v96, 31, v22
	;; [unrolled: 1-line block ×4, first 2 shown]
	v_mul_u32_u24_e32 v1, 12, v104
	v_mul_u32_u24_e32 v218, 12, v105
	;; [unrolled: 1-line block ×6, first 2 shown]
	v_ashrrev_i32_e32 v103, 31, v18
	v_ashrrev_i32_e32 v104, 31, v21
	v_ashrrev_i32_e32 v105, 31, v24
	v_mul_u32_u24_e32 v223, 12, v110
	v_ashrrev_i32_e32 v106, 31, v26
	v_ashrrev_i32_e32 v107, 31, v28
	v_ashrrev_i32_e32 v108, 31, v29
	v_mul_u32_u24_e32 v224, 12, v109
	;; [unrolled: 4-line block ×4, first 2 shown]
	v_ashrrev_i32_e32 v115, 31, v36
	v_ashrrev_i32_e32 v116, 31, v38
	;; [unrolled: 1-line block ×4, first 2 shown]
	v_mul_u32_u24_e32 v236, 12, v125
	v_ashrrev_i32_e32 v121, 31, v121
	v_ashrrev_i32_e32 v122, 31, v122
	v_ashrrev_i32_e32 v123, 31, v123
	v_mul_u32_u24_e32 v239, 12, v126
	v_ashrrev_i32_e32 v125, 31, v124
	v_ashrrev_i32_e32 v126, 31, v49
	v_ashrrev_i32_e32 v127, 31, v50
	;; [unrolled: 4-line block ×5, first 2 shown]
	buffer_store_dword v2, off, s[96:99], 0 offset:288 ; 4-byte Folded Spill
	v_ashrrev_i32_e32 v137, 31, v63
	v_ashrrev_i32_e32 v138, 31, v64
	v_ashrrev_i32_e32 v139, 31, v62
	v_mul_u32_u24_e32 v52, 12, v141
	v_ashrrev_i32_e32 v9, 31, v66
	v_ashrrev_i32_e32 v141, 31, v67
	v_ashrrev_i32_e32 v4, 31, v65
	v_mul_u32_u24_e32 v55, 12, v164
	;; [unrolled: 4-line block ×9, first 2 shown]
	v_lshlrev_b32_e32 v168, 2, v0
	v_writelane_b32 v255, s10, 62
	v_cmp_eq_u32_e64 s[16:17], 1, v44
	v_and_b32_e32 v0, 16, v37
	v_and_b32_e32 v63, 16, v40
	v_ashrrev_i32_e32 v28, 31, v157
	v_ashrrev_i32_e32 v29, 31, v158
	v_ashrrev_i32_e32 v30, 31, v159
	v_mul_u32_u24_e32 v64, 12, v204
	v_ashrrev_i32_e32 v31, 31, v160
	v_ashrrev_i32_e32 v32, 31, v161
	v_ashrrev_i32_e32 v33, 31, v162
	v_mul_u32_u24_e32 v65, 12, v163
	;; [unrolled: 4-line block ×4, first 2 shown]
	v_mul_u32_u24_e32 v54, 12, v54
	v_ashrrev_i32_e32 v40, 31, v213
	v_ashrrev_i32_e32 v41, 31, v214
	v_ashrrev_i32_e32 v42, 31, v215
	v_mul_u32_u24_e32 v68, 12, v43
	v_ashrrev_i32_e32 v43, 31, v216
	v_ashrrev_i32_e32 v44, 31, v217
	;; [unrolled: 1-line block ×6, first 2 shown]
	v_cmp_gt_i64_e64 s[88:89], 0, v[7:8]
	v_and_b32_e32 v3, 4, v3
	v_mov_b32_e32 v90, v82
	v_mov_b32_e32 v91, v83
	v_mov_b32_e32 v92, v84
	v_mov_b32_e32 v95, v94
	v_mov_b32_e32 v97, v96
	v_mov_b32_e32 v100, v98
	v_mov_b32_e32 v101, v99
	v_mov_b32_e32 v164, v103
	v_mov_b32_e32 v165, v104
	v_mov_b32_e32 v166, v105
	v_mov_b32_e32 v167, v106
	v_mov_b32_e32 v169, v107
	v_cmp_lt_u32_e64 s[0:1], 1, v170
	v_mov_b32_e32 v170, v108
	v_cmp_eq_u32_e64 s[6:7], 0, v171
	v_mov_b32_e32 v171, v109
	v_mov_b32_e32 v172, v110
	;; [unrolled: 1-line block ×3, first 2 shown]
	v_writelane_b32 v255, s11, 63
	v_mov_b32_e32 v174, v112
	v_mov_b32_e32 v175, v113
	v_mov_b32_e32 v176, v114
	v_cmp_ne_u32_e64 s[18:19], 0, v177
	v_mov_b32_e32 v177, v115
	v_cmp_ne_u32_e64 s[20:21], 0, v178
	v_mov_b32_e32 v178, v116
	v_mov_b32_e32 v179, v117
	v_mov_b32_e32 v180, v118
	v_cmp_ne_u32_e64 s[26:27], 0, v181
	v_mov_b32_e32 v181, v119
	v_cmp_ne_u32_e64 s[28:29], 0, v182
	;; [unrolled: 6-line block ×3, first 2 shown]
	v_mov_b32_e32 v186, v125
	v_cmp_eq_u32_e64 s[40:41], 1, v140
	v_mov_b32_e32 v187, v126
	v_cmp_eq_u32_e64 s[42:43], 1, v143
	;; [unrolled: 2-line block ×5, first 2 shown]
	v_mov_b32_e32 v191, v130
	v_cmp_ne_u32_e64 s[50:51], 0, v192
	v_mov_b32_e32 v192, v131
	v_cmp_ne_u32_e64 s[52:53], 0, v193
	;; [unrolled: 2-line block ×4, first 2 shown]
	v_cmp_ne_u32_e64 s[58:59], 0, v198
	v_cmp_ne_u32_e64 s[60:61], 0, v199
	;; [unrolled: 1-line block ×5, first 2 shown]
	v_add_u32_e32 v1, v93, v1
	v_add_u32_e32 v226, v93, v218
	;; [unrolled: 1-line block ×31, first 2 shown]
	v_cmp_ne_u32_e64 s[74:75], 0, v203
	v_mov_b32_e32 v247, v134
	v_cmp_ne_u32_e64 s[76:77], 0, v205
	v_mov_b32_e32 v248, v135
	;; [unrolled: 2-line block ×6, first 2 shown]
	v_cmp_eq_u32_e64 s[86:87], 1, v53
	v_mov_b32_e32 v140, v9
	v_mov_b32_e32 v8, v141
	;; [unrolled: 1-line block ×45, first 2 shown]
	buffer_store_dword v1, off, s[96:99], 0 offset:292 ; 4-byte Folded Spill
	s_branch .LBB56_2
.LBB56_1:                               ;   in Loop: Header=BB56_2 Depth=1
	s_or_b64 exec, exec, s[10:11]
	s_waitcnt lgkmcnt(0)
	v_add_u32_e32 v0, v1, v0
	ds_bpermute_b32 v0, v102, v0
	s_add_i32 s33, s33, -1
	s_cmp_eq_u32 s33, 0
	s_waitcnt lgkmcnt(0)
	v_cndmask_b32_e64 v0, v0, v1, s[92:93]
	ds_write_b32 v168, v0 offset:8
	s_waitcnt lgkmcnt(0)
	s_barrier
	s_cbranch_scc1 .LBB56_78
.LBB56_2:                               ; =>This Inner Loop Header: Depth=1
	v_cndmask_b32_e64 v0, 0, 1, s[16:17]
	ds_write_b32 v168, v7 offset:8
	s_waitcnt vmcnt(0) lgkmcnt(0)
	s_barrier
	v_cmp_ne_u32_e32 vcc, 0, v0
	buffer_load_dword v0, off, s[96:99], 0 offset:4 ; 4-byte Folded Reload
	buffer_load_dword v1, off, s[96:99], 0  ; 4-byte Folded Reload
	v_readlane_b32 s10, v253, 4
	v_readlane_b32 s11, v253, 5
	v_cndmask_b32_e64 v49, 0, 1, s[10:11]
	v_readlane_b32 s10, v253, 6
	v_readlane_b32 s11, v253, 7
	s_waitcnt vmcnt(1)
	v_xor_b32_e32 v0, vcc_hi, v0
	s_waitcnt vmcnt(0)
	v_xor_b32_e32 v1, vcc_lo, v1
	v_cmp_ne_u32_e32 vcc, 0, v49
	buffer_load_dword v49, off, s[96:99], 0 offset:256 ; 4-byte Folded Reload
	v_and_b32_e32 v0, exec_hi, v0
	v_xor_b32_e32 v50, vcc_lo, v5
	v_and_b32_e32 v1, exec_lo, v1
	v_and_b32_e32 v1, v1, v50
	s_waitcnt vmcnt(0)
	v_xor_b32_e32 v49, vcc_hi, v49
	v_and_b32_e32 v0, v0, v49
	v_cndmask_b32_e64 v49, 0, 1, s[10:11]
	v_cmp_ne_u32_e32 vcc, 0, v49
	buffer_load_dword v49, off, s[96:99], 0 offset:260 ; 4-byte Folded Reload
	v_readlane_b32 s10, v253, 8
	v_xor_b32_e32 v50, vcc_lo, v6
	v_readlane_b32 s11, v253, 9
	s_waitcnt vmcnt(0)
	v_xor_b32_e32 v49, vcc_hi, v49
	v_and_b32_e32 v0, v0, v49
	v_and_b32_e32 v49, v1, v50
	v_cndmask_b32_e64 v1, 0, 1, s[10:11]
	v_cmp_ne_u32_e32 vcc, 0, v1
	buffer_load_dword v1, off, s[96:99], 0 offset:264 ; 4-byte Folded Reload
	v_xor_b32_e32 v50, vcc_lo, v73
	; wave barrier
	s_waitcnt vmcnt(0)
	v_xor_b32_e32 v1, vcc_hi, v1
	v_and_b32_e32 v1, v0, v1
	v_and_b32_e32 v0, v49, v50
	v_mbcnt_lo_u32_b32 v49, v0, 0
	v_mbcnt_hi_u32_b32 v49, v1, v49
	v_cmp_ne_u64_e64 s[10:11], 0, v[0:1]
	v_cmp_eq_u32_e32 vcc, 0, v49
	s_and_b64 vcc, s[10:11], vcc
	s_and_saveexec_b64 s[10:11], vcc
	s_cbranch_execz .LBB56_4
; %bb.3:                                ;   in Loop: Header=BB56_2 Depth=1
	v_bcnt_u32_b32 v0, v0, 0
	v_bcnt_u32_b32 v0, v1, v0
	buffer_load_dword v1, off, s[96:99], 0 offset:292 ; 4-byte Folded Reload
	s_waitcnt vmcnt(0)
	ds_write_b32 v1, v0 offset:8
.LBB56_4:                               ;   in Loop: Header=BB56_2 Depth=1
	s_or_b64 exec, exec, s[10:11]
	v_cndmask_b32_e64 v0, 0, 1, s[18:19]
	; wave barrier
	v_cmp_ne_u32_e32 vcc, 0, v0
	buffer_load_dword v0, off, s[96:99], 0 offset:12 ; 4-byte Folded Reload
	buffer_load_dword v1, off, s[96:99], 0 offset:8 ; 4-byte Folded Reload
	v_readlane_b32 s10, v253, 10
	v_readlane_b32 s11, v253, 11
	v_cndmask_b32_e64 v50, 0, 1, s[10:11]
	v_readlane_b32 s10, v253, 12
	v_readlane_b32 s11, v253, 13
	ds_read_b32 v49, v226 offset:8
	s_waitcnt vmcnt(1)
	v_xor_b32_e32 v0, vcc_hi, v0
	s_waitcnt vmcnt(0)
	v_xor_b32_e32 v1, vcc_lo, v1
	v_cmp_ne_u32_e32 vcc, 0, v50
	buffer_load_dword v50, off, s[96:99], 0 offset:268 ; 4-byte Folded Reload
	v_and_b32_e32 v0, exec_hi, v0
	v_xor_b32_e32 v51, vcc_lo, v77
	v_and_b32_e32 v1, exec_lo, v1
	v_and_b32_e32 v1, v1, v51
	s_waitcnt vmcnt(0)
	v_xor_b32_e32 v50, vcc_hi, v50
	v_and_b32_e32 v0, v0, v50
	v_cndmask_b32_e64 v50, 0, 1, s[10:11]
	v_cmp_ne_u32_e32 vcc, 0, v50
	buffer_load_dword v50, off, s[96:99], 0 offset:272 ; 4-byte Folded Reload
	v_readlane_b32 s10, v253, 14
	v_xor_b32_e32 v51, vcc_lo, v78
	v_readlane_b32 s11, v253, 15
	s_waitcnt vmcnt(0)
	v_xor_b32_e32 v50, vcc_hi, v50
	v_and_b32_e32 v0, v0, v50
	v_and_b32_e32 v50, v1, v51
	v_cndmask_b32_e64 v1, 0, 1, s[10:11]
	v_cmp_ne_u32_e32 vcc, 0, v1
	buffer_load_dword v1, off, s[96:99], 0 offset:276 ; 4-byte Folded Reload
	v_xor_b32_e32 v51, vcc_lo, v79
	; wave barrier
	s_waitcnt vmcnt(0)
	v_xor_b32_e32 v1, vcc_hi, v1
	v_and_b32_e32 v1, v0, v1
	v_and_b32_e32 v0, v50, v51
	v_mbcnt_lo_u32_b32 v50, v0, 0
	v_mbcnt_hi_u32_b32 v50, v1, v50
	v_cmp_ne_u64_e32 vcc, 0, v[0:1]
	v_cmp_eq_u32_e64 s[10:11], 0, v50
	s_and_b64 vcc, vcc, s[10:11]
	s_and_saveexec_b64 s[10:11], vcc
	s_cbranch_execz .LBB56_6
; %bb.5:                                ;   in Loop: Header=BB56_2 Depth=1
	v_bcnt_u32_b32 v0, v0, 0
	v_bcnt_u32_b32 v0, v1, v0
	s_waitcnt lgkmcnt(0)
	v_add_u32_e32 v0, v49, v0
	ds_write_b32 v226, v0 offset:8
.LBB56_6:                               ;   in Loop: Header=BB56_2 Depth=1
	s_or_b64 exec, exec, s[10:11]
	v_cndmask_b32_e64 v0, 0, 1, s[20:21]
	; wave barrier
	v_cmp_ne_u32_e32 vcc, 0, v0
	buffer_load_dword v0, off, s[96:99], 0 offset:20 ; 4-byte Folded Reload
	buffer_load_dword v1, off, s[96:99], 0 offset:16 ; 4-byte Folded Reload
	v_readlane_b32 s10, v253, 16
	v_readlane_b32 s11, v253, 17
	v_cndmask_b32_e64 v50, 0, 1, s[10:11]
	v_readlane_b32 s10, v253, 18
	v_readlane_b32 s11, v253, 19
	s_waitcnt lgkmcnt(0)
	ds_read_b32 v49, v228 offset:8
	s_waitcnt vmcnt(1)
	v_xor_b32_e32 v0, vcc_hi, v0
	s_waitcnt vmcnt(0)
	v_xor_b32_e32 v1, vcc_lo, v1
	v_cmp_ne_u32_e32 vcc, 0, v50
	buffer_load_dword v50, off, s[96:99], 0 offset:280 ; 4-byte Folded Reload
	v_and_b32_e32 v0, exec_hi, v0
	v_xor_b32_e32 v51, vcc_lo, v80
	v_and_b32_e32 v1, exec_lo, v1
	v_and_b32_e32 v1, v1, v51
	s_waitcnt vmcnt(0)
	v_xor_b32_e32 v50, vcc_hi, v50
	v_and_b32_e32 v0, v0, v50
	v_cndmask_b32_e64 v50, 0, 1, s[10:11]
	v_cmp_ne_u32_e32 vcc, 0, v50
	buffer_load_dword v50, off, s[96:99], 0 offset:284 ; 4-byte Folded Reload
	v_readlane_b32 s10, v253, 20
	v_xor_b32_e32 v51, vcc_lo, v81
	v_readlane_b32 s11, v253, 21
	; wave barrier
	s_waitcnt vmcnt(0)
	v_xor_b32_e32 v50, vcc_hi, v50
	v_and_b32_e32 v0, v0, v50
	v_and_b32_e32 v50, v1, v51
	v_cndmask_b32_e64 v1, 0, 1, s[10:11]
	v_cmp_ne_u32_e32 vcc, 0, v1
	v_xor_b32_e32 v1, vcc_hi, v90
	v_xor_b32_e32 v51, vcc_lo, v82
	v_and_b32_e32 v1, v0, v1
	v_and_b32_e32 v0, v50, v51
	v_mbcnt_lo_u32_b32 v50, v0, 0
	v_mbcnt_hi_u32_b32 v50, v1, v50
	v_cmp_ne_u64_e32 vcc, 0, v[0:1]
	v_cmp_eq_u32_e64 s[10:11], 0, v50
	s_and_b64 vcc, vcc, s[10:11]
	s_and_saveexec_b64 s[10:11], vcc
	s_cbranch_execz .LBB56_8
; %bb.7:                                ;   in Loop: Header=BB56_2 Depth=1
	v_bcnt_u32_b32 v0, v0, 0
	v_bcnt_u32_b32 v0, v1, v0
	s_waitcnt lgkmcnt(0)
	v_add_u32_e32 v0, v49, v0
	ds_write_b32 v228, v0 offset:8
.LBB56_8:                               ;   in Loop: Header=BB56_2 Depth=1
	s_or_b64 exec, exec, s[10:11]
	v_cndmask_b32_e64 v0, 0, 1, s[22:23]
	; wave barrier
	v_cmp_ne_u32_e32 vcc, 0, v0
	buffer_load_dword v0, off, s[96:99], 0 offset:28 ; 4-byte Folded Reload
	buffer_load_dword v1, off, s[96:99], 0 offset:24 ; 4-byte Folded Reload
	v_readlane_b32 s10, v253, 22
	v_readlane_b32 s11, v253, 23
	v_cndmask_b32_e64 v50, 0, 1, s[10:11]
	v_readlane_b32 s10, v253, 24
	v_readlane_b32 s11, v253, 25
	s_waitcnt lgkmcnt(0)
	ds_read_b32 v49, v229 offset:8
	; wave barrier
	s_waitcnt vmcnt(1)
	v_xor_b32_e32 v0, vcc_hi, v0
	s_waitcnt vmcnt(0)
	v_xor_b32_e32 v1, vcc_lo, v1
	v_cmp_ne_u32_e32 vcc, 0, v50
	v_and_b32_e32 v0, exec_hi, v0
	v_xor_b32_e32 v50, vcc_hi, v91
	v_and_b32_e32 v0, v0, v50
	v_cndmask_b32_e64 v50, 0, 1, s[10:11]
	v_and_b32_e32 v1, exec_lo, v1
	v_xor_b32_e32 v51, vcc_lo, v83
	v_cmp_ne_u32_e32 vcc, 0, v50
	v_readlane_b32 s10, v253, 26
	v_and_b32_e32 v1, v1, v51
	v_xor_b32_e32 v50, vcc_hi, v92
	v_xor_b32_e32 v51, vcc_lo, v84
	v_readlane_b32 s11, v253, 27
	v_and_b32_e32 v0, v0, v50
	v_and_b32_e32 v50, v1, v51
	v_cndmask_b32_e64 v1, 0, 1, s[10:11]
	v_cmp_ne_u32_e32 vcc, 0, v1
	v_xor_b32_e32 v1, vcc_hi, v95
	v_xor_b32_e32 v51, vcc_lo, v94
	v_and_b32_e32 v1, v0, v1
	v_and_b32_e32 v0, v50, v51
	v_mbcnt_lo_u32_b32 v50, v0, 0
	v_mbcnt_hi_u32_b32 v50, v1, v50
	v_cmp_ne_u64_e32 vcc, 0, v[0:1]
	v_cmp_eq_u32_e64 s[10:11], 0, v50
	s_and_b64 vcc, vcc, s[10:11]
	s_and_saveexec_b64 s[10:11], vcc
	s_cbranch_execz .LBB56_10
; %bb.9:                                ;   in Loop: Header=BB56_2 Depth=1
	v_bcnt_u32_b32 v0, v0, 0
	v_bcnt_u32_b32 v0, v1, v0
	s_waitcnt lgkmcnt(0)
	v_add_u32_e32 v0, v49, v0
	ds_write_b32 v229, v0 offset:8
.LBB56_10:                              ;   in Loop: Header=BB56_2 Depth=1
	s_or_b64 exec, exec, s[10:11]
	v_cndmask_b32_e64 v0, 0, 1, s[24:25]
	; wave barrier
	v_cmp_ne_u32_e32 vcc, 0, v0
	buffer_load_dword v0, off, s[96:99], 0 offset:36 ; 4-byte Folded Reload
	buffer_load_dword v1, off, s[96:99], 0 offset:32 ; 4-byte Folded Reload
	v_readlane_b32 s10, v253, 28
	v_readlane_b32 s11, v253, 29
	v_cndmask_b32_e64 v50, 0, 1, s[10:11]
	v_readlane_b32 s10, v253, 30
	v_readlane_b32 s11, v253, 31
	s_waitcnt lgkmcnt(0)
	ds_read_b32 v49, v231 offset:8
	; wave barrier
	s_waitcnt vmcnt(1)
	v_xor_b32_e32 v0, vcc_hi, v0
	s_waitcnt vmcnt(0)
	v_xor_b32_e32 v1, vcc_lo, v1
	v_cmp_ne_u32_e32 vcc, 0, v50
	v_and_b32_e32 v0, exec_hi, v0
	v_xor_b32_e32 v50, vcc_hi, v97
	v_and_b32_e32 v0, v0, v50
	v_cndmask_b32_e64 v50, 0, 1, s[10:11]
	v_and_b32_e32 v1, exec_lo, v1
	v_xor_b32_e32 v51, vcc_lo, v96
	v_cmp_ne_u32_e32 vcc, 0, v50
	v_readlane_b32 s10, v253, 32
	v_and_b32_e32 v1, v1, v51
	v_xor_b32_e32 v50, vcc_hi, v100
	v_xor_b32_e32 v51, vcc_lo, v98
	v_readlane_b32 s11, v253, 33
	v_and_b32_e32 v0, v0, v50
	v_and_b32_e32 v50, v1, v51
	v_cndmask_b32_e64 v1, 0, 1, s[10:11]
	v_cmp_ne_u32_e32 vcc, 0, v1
	v_xor_b32_e32 v1, vcc_hi, v101
	v_xor_b32_e32 v51, vcc_lo, v99
	v_and_b32_e32 v1, v0, v1
	v_and_b32_e32 v0, v50, v51
	v_mbcnt_lo_u32_b32 v50, v0, 0
	v_mbcnt_hi_u32_b32 v50, v1, v50
	v_cmp_ne_u64_e32 vcc, 0, v[0:1]
	v_cmp_eq_u32_e64 s[10:11], 0, v50
	s_and_b64 vcc, vcc, s[10:11]
	s_and_saveexec_b64 s[10:11], vcc
	s_cbranch_execz .LBB56_12
; %bb.11:                               ;   in Loop: Header=BB56_2 Depth=1
	v_bcnt_u32_b32 v0, v0, 0
	v_bcnt_u32_b32 v0, v1, v0
	s_waitcnt lgkmcnt(0)
	v_add_u32_e32 v0, v49, v0
	ds_write_b32 v231, v0 offset:8
.LBB56_12:                              ;   in Loop: Header=BB56_2 Depth=1
	s_or_b64 exec, exec, s[10:11]
	v_cndmask_b32_e64 v0, 0, 1, s[26:27]
	; wave barrier
	v_cmp_ne_u32_e32 vcc, 0, v0
	buffer_load_dword v0, off, s[96:99], 0 offset:44 ; 4-byte Folded Reload
	buffer_load_dword v1, off, s[96:99], 0 offset:40 ; 4-byte Folded Reload
	v_readlane_b32 s10, v253, 34
	v_readlane_b32 s11, v253, 35
	v_cndmask_b32_e64 v50, 0, 1, s[10:11]
	v_readlane_b32 s10, v253, 36
	v_readlane_b32 s11, v253, 37
	s_waitcnt lgkmcnt(0)
	ds_read_b32 v49, v232 offset:8
	; wave barrier
	s_waitcnt vmcnt(1)
	v_xor_b32_e32 v0, vcc_hi, v0
	s_waitcnt vmcnt(0)
	v_xor_b32_e32 v1, vcc_lo, v1
	v_cmp_ne_u32_e32 vcc, 0, v50
	v_and_b32_e32 v0, exec_hi, v0
	v_xor_b32_e32 v50, vcc_hi, v164
	v_and_b32_e32 v0, v0, v50
	v_cndmask_b32_e64 v50, 0, 1, s[10:11]
	v_and_b32_e32 v1, exec_lo, v1
	v_xor_b32_e32 v51, vcc_lo, v103
	v_cmp_ne_u32_e32 vcc, 0, v50
	v_readlane_b32 s10, v253, 38
	v_and_b32_e32 v1, v1, v51
	v_xor_b32_e32 v50, vcc_hi, v165
	v_xor_b32_e32 v51, vcc_lo, v104
	v_readlane_b32 s11, v253, 39
	v_and_b32_e32 v0, v0, v50
	v_and_b32_e32 v50, v1, v51
	v_cndmask_b32_e64 v1, 0, 1, s[10:11]
	v_cmp_ne_u32_e32 vcc, 0, v1
	v_xor_b32_e32 v1, vcc_hi, v166
	v_xor_b32_e32 v51, vcc_lo, v105
	v_and_b32_e32 v1, v0, v1
	v_and_b32_e32 v0, v50, v51
	v_mbcnt_lo_u32_b32 v50, v0, 0
	v_mbcnt_hi_u32_b32 v50, v1, v50
	v_cmp_ne_u64_e32 vcc, 0, v[0:1]
	v_cmp_eq_u32_e64 s[10:11], 0, v50
	s_and_b64 vcc, vcc, s[10:11]
	s_and_saveexec_b64 s[10:11], vcc
	s_cbranch_execz .LBB56_14
; %bb.13:                               ;   in Loop: Header=BB56_2 Depth=1
	v_bcnt_u32_b32 v0, v0, 0
	v_bcnt_u32_b32 v0, v1, v0
	s_waitcnt lgkmcnt(0)
	v_add_u32_e32 v0, v49, v0
	ds_write_b32 v232, v0 offset:8
.LBB56_14:                              ;   in Loop: Header=BB56_2 Depth=1
	;; [unrolled: 53-line block ×12, first 2 shown]
	s_or_b64 exec, exec, s[10:11]
	; wave barrier
	s_waitcnt lgkmcnt(0)
	s_barrier
	ds_read_b32 v0, v168 offset:8
	s_waitcnt lgkmcnt(0)
	s_nop 0
	v_mov_b32_dpp v1, v0 row_shr:1 row_mask:0xf bank_mask:0xf
	v_cndmask_b32_e64 v1, v1, 0, s[94:95]
	v_add_u32_e32 v0, v1, v0
	s_nop 1
	v_mov_b32_dpp v1, v0 row_shr:2 row_mask:0xf bank_mask:0xf
	v_cndmask_b32_e64 v1, 0, v1, s[0:1]
	v_add_u32_e32 v0, v0, v1
	s_nop 1
	v_mov_b32_dpp v1, v0 row_shr:4 row_mask:0xf bank_mask:0xf
	v_cndmask_b32_e64 v1, 0, v1, s[2:3]
	v_add_u32_e32 v0, v0, v1
	s_nop 1
	v_mov_b32_dpp v1, v0 row_shr:8 row_mask:0xf bank_mask:0xf
	v_cndmask_b32_e64 v1, 0, v1, s[4:5]
	v_add_u32_e32 v0, v0, v1
	s_nop 1
	v_mov_b32_dpp v1, v0 row_bcast:15 row_mask:0xf bank_mask:0xf
	v_cndmask_b32_e64 v1, v1, 0, s[6:7]
	v_add_u32_e32 v0, v0, v1
	s_nop 1
	v_mov_b32_dpp v1, v0 row_bcast:31 row_mask:0xf bank_mask:0xf
	v_cndmask_b32_e64 v1, 0, v1, s[12:13]
	v_add_u32_e32 v0, v0, v1
	s_and_saveexec_b64 s[10:11], s[8:9]
; %bb.35:                               ;   in Loop: Header=BB56_2 Depth=1
	ds_write_b32 v3, v0
; %bb.36:                               ;   in Loop: Header=BB56_2 Depth=1
	s_or_b64 exec, exec, s[10:11]
	s_waitcnt lgkmcnt(0)
	s_barrier
	s_and_saveexec_b64 s[10:11], s[14:15]
	s_cbranch_execz .LBB56_38
; %bb.37:                               ;   in Loop: Header=BB56_2 Depth=1
	ds_read_b32 v1, v168
	v_readlane_b32 vcc_lo, v255, 62
	v_readlane_b32 vcc_hi, v255, 63
	s_waitcnt lgkmcnt(0)
	v_mov_b32_dpp v49, v1 row_shr:1 row_mask:0xf bank_mask:0xf
	v_cndmask_b32_e64 v49, v49, 0, vcc
	v_add_u32_e32 v1, v49, v1
	ds_write_b32 v168, v1
.LBB56_38:                              ;   in Loop: Header=BB56_2 Depth=1
	s_or_b64 exec, exec, s[10:11]
	v_mov_b32_e32 v1, 0
	s_waitcnt lgkmcnt(0)
	s_barrier
	s_and_saveexec_b64 s[10:11], s[90:91]
; %bb.39:                               ;   in Loop: Header=BB56_2 Depth=1
	v_add_u32_e32 v1, -4, v3
	ds_read_b32 v1, v1
; %bb.40:                               ;   in Loop: Header=BB56_2 Depth=1
	s_or_b64 exec, exec, s[10:11]
	s_waitcnt lgkmcnt(0)
	v_add_u32_e32 v0, v1, v0
	ds_bpermute_b32 v0, v102, v0
	v_readlane_b32 s10, v254, 36
	v_readlane_b32 s11, v254, 37
	v_cndmask_b32_e64 v49, 0, 1, s[10:11]
	v_readlane_b32 s10, v254, 38
	s_waitcnt lgkmcnt(0)
	v_cndmask_b32_e64 v0, v0, v1, s[92:93]
	ds_write_b32 v168, v0 offset:8
	v_cndmask_b32_e64 v0, 0, 1, s[50:51]
	s_waitcnt lgkmcnt(0)
	s_barrier
	ds_write_b32 v168, v7 offset:8
	s_waitcnt lgkmcnt(0)
	s_barrier
	v_cmp_ne_u32_e32 vcc, 0, v0
	buffer_load_dword v0, off, s[96:99], 0 offset:132 ; 4-byte Folded Reload
	buffer_load_dword v1, off, s[96:99], 0 offset:128 ; 4-byte Folded Reload
	v_readlane_b32 s11, v254, 39
	; wave barrier
	s_waitcnt vmcnt(1)
	v_xor_b32_e32 v0, vcc_hi, v0
	s_waitcnt vmcnt(0)
	v_xor_b32_e32 v1, vcc_lo, v1
	v_cmp_ne_u32_e32 vcc, 0, v49
	v_and_b32_e32 v0, exec_hi, v0
	v_xor_b32_e32 v49, vcc_hi, v250
	v_and_b32_e32 v0, v0, v49
	v_cndmask_b32_e64 v49, 0, 1, s[10:11]
	v_and_b32_e32 v1, exec_lo, v1
	v_xor_b32_e32 v50, vcc_lo, v137
	v_cmp_ne_u32_e32 vcc, 0, v49
	v_readlane_b32 s10, v254, 40
	v_and_b32_e32 v1, v1, v50
	v_xor_b32_e32 v49, vcc_hi, v251
	v_xor_b32_e32 v50, vcc_lo, v138
	v_readlane_b32 s11, v254, 41
	v_and_b32_e32 v0, v0, v49
	v_and_b32_e32 v49, v1, v50
	v_cndmask_b32_e64 v1, 0, 1, s[10:11]
	v_cmp_ne_u32_e32 vcc, 0, v1
	v_xor_b32_e32 v1, vcc_hi, v252
	v_xor_b32_e32 v50, vcc_lo, v139
	v_and_b32_e32 v1, v0, v1
	v_and_b32_e32 v0, v49, v50
	v_mbcnt_lo_u32_b32 v49, v0, 0
	v_mbcnt_hi_u32_b32 v49, v1, v49
	v_cmp_ne_u64_e32 vcc, 0, v[0:1]
	v_cmp_eq_u32_e64 s[10:11], 0, v49
	s_and_b64 vcc, vcc, s[10:11]
	s_and_saveexec_b64 s[10:11], vcc
	s_cbranch_execz .LBB56_42
; %bb.41:                               ;   in Loop: Header=BB56_2 Depth=1
	v_bcnt_u32_b32 v0, v0, 0
	v_bcnt_u32_b32 v0, v1, v0
	buffer_load_dword v1, off, s[96:99], 0 offset:288 ; 4-byte Folded Reload
	s_waitcnt vmcnt(0)
	v_add_u32_e32 v1, v93, v1
	ds_write_b32 v1, v0 offset:8
.LBB56_42:                              ;   in Loop: Header=BB56_2 Depth=1
	s_or_b64 exec, exec, s[10:11]
	v_cndmask_b32_e64 v0, 0, 1, s[52:53]
	; wave barrier
	v_cmp_ne_u32_e32 vcc, 0, v0
	buffer_load_dword v0, off, s[96:99], 0 offset:140 ; 4-byte Folded Reload
	buffer_load_dword v1, off, s[96:99], 0 offset:136 ; 4-byte Folded Reload
	v_readlane_b32 s10, v254, 42
	v_readlane_b32 s11, v254, 43
	v_cndmask_b32_e64 v51, 0, 1, s[10:11]
	v_readlane_b32 s10, v254, 44
	v_readlane_b32 s11, v254, 45
	ds_read_b32 v50, v207 offset:8
	; wave barrier
	s_waitcnt vmcnt(1)
	v_xor_b32_e32 v0, vcc_hi, v0
	s_waitcnt vmcnt(0)
	v_xor_b32_e32 v1, vcc_lo, v1
	v_cmp_ne_u32_e32 vcc, 0, v51
	v_and_b32_e32 v0, exec_hi, v0
	v_xor_b32_e32 v51, vcc_hi, v140
	v_and_b32_e32 v0, v0, v51
	v_cndmask_b32_e64 v51, 0, 1, s[10:11]
	v_and_b32_e32 v1, exec_lo, v1
	v_xor_b32_e32 v52, vcc_lo, v9
	v_cmp_ne_u32_e32 vcc, 0, v51
	v_readlane_b32 s10, v254, 46
	v_and_b32_e32 v1, v1, v52
	v_xor_b32_e32 v51, vcc_hi, v8
	v_xor_b32_e32 v52, vcc_lo, v141
	v_readlane_b32 s11, v254, 47
	v_and_b32_e32 v0, v0, v51
	v_and_b32_e32 v51, v1, v52
	v_cndmask_b32_e64 v1, 0, 1, s[10:11]
	v_cmp_ne_u32_e32 vcc, 0, v1
	v_xor_b32_e32 v1, vcc_hi, v142
	v_xor_b32_e32 v52, vcc_lo, v4
	v_and_b32_e32 v1, v0, v1
	v_and_b32_e32 v0, v51, v52
	v_mbcnt_lo_u32_b32 v51, v0, 0
	v_mbcnt_hi_u32_b32 v51, v1, v51
	v_cmp_ne_u64_e32 vcc, 0, v[0:1]
	v_cmp_eq_u32_e64 s[10:11], 0, v51
	s_and_b64 vcc, vcc, s[10:11]
	s_and_saveexec_b64 s[10:11], vcc
	s_cbranch_execz .LBB56_44
; %bb.43:                               ;   in Loop: Header=BB56_2 Depth=1
	v_bcnt_u32_b32 v0, v0, 0
	v_bcnt_u32_b32 v0, v1, v0
	s_waitcnt lgkmcnt(0)
	v_add_u32_e32 v0, v50, v0
	ds_write_b32 v207, v0 offset:8
.LBB56_44:                              ;   in Loop: Header=BB56_2 Depth=1
	s_or_b64 exec, exec, s[10:11]
	v_cndmask_b32_e64 v0, 0, 1, s[54:55]
	; wave barrier
	v_cmp_ne_u32_e32 vcc, 0, v0
	buffer_load_dword v0, off, s[96:99], 0 offset:148 ; 4-byte Folded Reload
	buffer_load_dword v1, off, s[96:99], 0 offset:144 ; 4-byte Folded Reload
	v_readlane_b32 s10, v254, 48
	v_readlane_b32 s11, v254, 49
	v_cndmask_b32_e64 v53, 0, 1, s[10:11]
	v_readlane_b32 s10, v254, 50
	v_readlane_b32 s11, v254, 51
	ds_read_b32 v52, v208 offset:8
	; wave barrier
	s_waitcnt vmcnt(1)
	v_xor_b32_e32 v0, vcc_hi, v0
	s_waitcnt vmcnt(0)
	v_xor_b32_e32 v1, vcc_lo, v1
	v_cmp_ne_u32_e32 vcc, 0, v53
	v_and_b32_e32 v0, exec_hi, v0
	v_xor_b32_e32 v53, vcc_hi, v143
	v_and_b32_e32 v0, v0, v53
	v_cndmask_b32_e64 v53, 0, 1, s[10:11]
	v_and_b32_e32 v1, exec_lo, v1
	v_xor_b32_e32 v54, vcc_lo, v124
	v_cmp_ne_u32_e32 vcc, 0, v53
	v_readlane_b32 s10, v254, 52
	v_and_b32_e32 v1, v1, v54
	v_xor_b32_e32 v53, vcc_hi, v144
	v_xor_b32_e32 v54, vcc_lo, v225
	v_readlane_b32 s11, v254, 53
	v_and_b32_e32 v0, v0, v53
	v_and_b32_e32 v53, v1, v54
	v_cndmask_b32_e64 v1, 0, 1, s[10:11]
	v_cmp_ne_u32_e32 vcc, 0, v1
	v_xor_b32_e32 v1, vcc_hi, v145
	v_xor_b32_e32 v54, vcc_lo, v2
	v_and_b32_e32 v1, v0, v1
	v_and_b32_e32 v0, v53, v54
	v_mbcnt_lo_u32_b32 v53, v0, 0
	v_mbcnt_hi_u32_b32 v53, v1, v53
	v_cmp_ne_u64_e32 vcc, 0, v[0:1]
	v_cmp_eq_u32_e64 s[10:11], 0, v53
	s_and_b64 vcc, vcc, s[10:11]
	s_and_saveexec_b64 s[10:11], vcc
	s_cbranch_execz .LBB56_46
; %bb.45:                               ;   in Loop: Header=BB56_2 Depth=1
	v_bcnt_u32_b32 v0, v0, 0
	v_bcnt_u32_b32 v0, v1, v0
	s_waitcnt lgkmcnt(0)
	v_add_u32_e32 v0, v52, v0
	ds_write_b32 v208, v0 offset:8
.LBB56_46:                              ;   in Loop: Header=BB56_2 Depth=1
	;; [unrolled: 52-line block ×13, first 2 shown]
	s_or_b64 exec, exec, s[10:11]
	v_cndmask_b32_e64 v0, 0, 1, s[84:85]
	; wave barrier
	v_cmp_ne_u32_e32 vcc, 0, v0
	buffer_load_dword v0, off, s[96:99], 0 offset:244 ; 4-byte Folded Reload
	buffer_load_dword v1, off, s[96:99], 0 offset:240 ; 4-byte Folded Reload
	v_readlane_b32 s10, v255, 56
	v_readlane_b32 s11, v255, 57
	v_cndmask_b32_e64 v86, 0, 1, s[10:11]
	v_readlane_b32 s10, v255, 58
	v_readlane_b32 s11, v255, 59
	ds_read_b32 v85, v239 offset:8
	; wave barrier
	s_waitcnt vmcnt(1)
	v_xor_b32_e32 v0, vcc_hi, v0
	s_waitcnt vmcnt(0)
	v_xor_b32_e32 v1, vcc_lo, v1
	v_cmp_ne_u32_e32 vcc, 0, v86
	v_and_b32_e32 v0, exec_hi, v0
	v_xor_b32_e32 v86, vcc_hi, v216
	v_and_b32_e32 v0, v0, v86
	v_cndmask_b32_e64 v86, 0, 1, s[10:11]
	v_and_b32_e32 v1, exec_lo, v1
	v_xor_b32_e32 v87, vcc_lo, v43
	v_cmp_ne_u32_e32 vcc, 0, v86
	v_and_b32_e32 v1, v1, v87
	v_xor_b32_e32 v86, vcc_hi, v217
	v_xor_b32_e32 v87, vcc_lo, v44
	v_and_b32_e32 v0, v0, v86
	v_and_b32_e32 v86, v1, v87
	v_cndmask_b32_e64 v1, 0, 1, s[62:63]
	v_cmp_ne_u32_e32 vcc, 0, v1
	v_xor_b32_e32 v1, vcc_hi, v219
	v_xor_b32_e32 v87, vcc_lo, v45
	v_and_b32_e32 v1, v0, v1
	v_and_b32_e32 v0, v86, v87
	v_mbcnt_lo_u32_b32 v86, v0, 0
	v_mbcnt_hi_u32_b32 v86, v1, v86
	v_cmp_ne_u64_e32 vcc, 0, v[0:1]
	v_cmp_eq_u32_e64 s[10:11], 0, v86
	s_and_b64 vcc, vcc, s[10:11]
	s_and_saveexec_b64 s[10:11], vcc
	s_cbranch_execz .LBB56_70
; %bb.69:                               ;   in Loop: Header=BB56_2 Depth=1
	v_bcnt_u32_b32 v0, v0, 0
	v_bcnt_u32_b32 v0, v1, v0
	s_waitcnt lgkmcnt(0)
	v_add_u32_e32 v0, v85, v0
	ds_write_b32 v239, v0 offset:8
.LBB56_70:                              ;   in Loop: Header=BB56_2 Depth=1
	s_or_b64 exec, exec, s[10:11]
	v_cndmask_b32_e64 v0, 0, 1, s[86:87]
	; wave barrier
	v_cmp_ne_u32_e32 vcc, 0, v0
	buffer_load_dword v0, off, s[96:99], 0 offset:252 ; 4-byte Folded Reload
	buffer_load_dword v1, off, s[96:99], 0 offset:248 ; 4-byte Folded Reload
	v_cndmask_b32_e64 v88, 0, 1, s[66:67]
	ds_read_b32 v87, v243 offset:8
	; wave barrier
	s_waitcnt vmcnt(1)
	v_xor_b32_e32 v0, vcc_hi, v0
	s_waitcnt vmcnt(0)
	v_xor_b32_e32 v1, vcc_lo, v1
	v_cmp_ne_u32_e32 vcc, 0, v88
	v_and_b32_e32 v0, exec_hi, v0
	v_xor_b32_e32 v88, vcc_hi, v220
	v_and_b32_e32 v0, v0, v88
	v_cndmask_b32_e64 v88, 0, 1, s[70:71]
	v_and_b32_e32 v1, exec_lo, v1
	v_xor_b32_e32 v89, vcc_lo, v46
	v_cmp_ne_u32_e32 vcc, 0, v88
	v_and_b32_e32 v1, v1, v89
	v_xor_b32_e32 v88, vcc_hi, v222
	v_xor_b32_e32 v89, vcc_lo, v47
	v_and_b32_e32 v0, v0, v88
	v_and_b32_e32 v88, v1, v89
	v_cndmask_b32_e64 v1, 0, 1, s[88:89]
	v_cmp_ne_u32_e32 vcc, 0, v1
	v_xor_b32_e32 v1, vcc_hi, v223
	v_xor_b32_e32 v89, vcc_lo, v48
	v_and_b32_e32 v1, v0, v1
	v_and_b32_e32 v0, v88, v89
	v_mbcnt_lo_u32_b32 v88, v0, 0
	v_mbcnt_hi_u32_b32 v88, v1, v88
	v_cmp_ne_u64_e32 vcc, 0, v[0:1]
	v_cmp_eq_u32_e64 s[10:11], 0, v88
	s_and_b64 vcc, vcc, s[10:11]
	s_and_saveexec_b64 s[10:11], vcc
	s_cbranch_execz .LBB56_72
; %bb.71:                               ;   in Loop: Header=BB56_2 Depth=1
	v_bcnt_u32_b32 v0, v0, 0
	v_bcnt_u32_b32 v0, v1, v0
	s_waitcnt lgkmcnt(0)
	v_add_u32_e32 v0, v87, v0
	ds_write_b32 v243, v0 offset:8
.LBB56_72:                              ;   in Loop: Header=BB56_2 Depth=1
	s_or_b64 exec, exec, s[10:11]
	; wave barrier
	s_waitcnt lgkmcnt(0)
	s_barrier
	ds_read_b32 v0, v168 offset:8
	s_waitcnt lgkmcnt(0)
	s_nop 0
	v_mov_b32_dpp v1, v0 row_shr:1 row_mask:0xf bank_mask:0xf
	v_cndmask_b32_e64 v1, v1, 0, s[94:95]
	v_add_u32_e32 v0, v1, v0
	s_nop 1
	v_mov_b32_dpp v1, v0 row_shr:2 row_mask:0xf bank_mask:0xf
	v_cndmask_b32_e64 v1, 0, v1, s[0:1]
	v_add_u32_e32 v0, v0, v1
	;; [unrolled: 4-line block ×4, first 2 shown]
	s_nop 1
	v_mov_b32_dpp v1, v0 row_bcast:15 row_mask:0xf bank_mask:0xf
	v_cndmask_b32_e64 v1, v1, 0, s[6:7]
	v_add_u32_e32 v0, v0, v1
	s_nop 1
	v_mov_b32_dpp v1, v0 row_bcast:31 row_mask:0xf bank_mask:0xf
	v_cndmask_b32_e64 v1, 0, v1, s[12:13]
	v_add_u32_e32 v0, v0, v1
	s_and_saveexec_b64 s[10:11], s[8:9]
; %bb.73:                               ;   in Loop: Header=BB56_2 Depth=1
	ds_write_b32 v3, v0
; %bb.74:                               ;   in Loop: Header=BB56_2 Depth=1
	s_or_b64 exec, exec, s[10:11]
	s_waitcnt lgkmcnt(0)
	s_barrier
	s_and_saveexec_b64 s[10:11], s[14:15]
	s_cbranch_execz .LBB56_76
; %bb.75:                               ;   in Loop: Header=BB56_2 Depth=1
	ds_read_b32 v1, v168
	v_readlane_b32 vcc_lo, v255, 62
	v_readlane_b32 vcc_hi, v255, 63
	s_waitcnt lgkmcnt(0)
	v_mov_b32_dpp v89, v1 row_shr:1 row_mask:0xf bank_mask:0xf
	v_cndmask_b32_e64 v89, v89, 0, vcc
	v_add_u32_e32 v1, v89, v1
	ds_write_b32 v168, v1
.LBB56_76:                              ;   in Loop: Header=BB56_2 Depth=1
	s_or_b64 exec, exec, s[10:11]
	v_mov_b32_e32 v1, 0
	s_waitcnt lgkmcnt(0)
	s_barrier
	s_and_saveexec_b64 s[10:11], s[90:91]
	s_cbranch_execz .LBB56_1
; %bb.77:                               ;   in Loop: Header=BB56_2 Depth=1
	v_add_u32_e32 v1, -4, v3
	ds_read_b32 v1, v1
	s_branch .LBB56_1
.LBB56_78:
	buffer_load_dword v0, off, s[96:99], 0 offset:288 ; 4-byte Folded Reload
	v_readlane_b32 s0, v255, 60
	v_readlane_b32 s4, v253, 0
	;; [unrolled: 1-line block ×5, first 2 shown]
	s_lshl_b64 s[0:1], s[0:1], 2
	s_mov_b64 s[2:3], s[6:7]
	s_add_u32 s0, s2, s0
	s_addc_u32 s1, s3, s1
	v_readlane_b32 s5, v253, 1
	s_waitcnt vmcnt(0)
	v_add_u32_e32 v0, v93, v0
	ds_read_b32 v1, v243 offset:8
	ds_read_b32 v12, v0 offset:8
	;; [unrolled: 1-line block ×16, first 2 shown]
	s_waitcnt lgkmcnt(10)
	v_add3_u32 v7, v71, v70, v6
	s_waitcnt lgkmcnt(9)
	v_add3_u32 v6, v69, v68, v8
	;; [unrolled: 2-line block ×4, first 2 shown]
	buffer_load_dword v16, off, s[96:99], 0 offset:296 ; 4-byte Folded Reload
	v_add3_u32 v3, v88, v87, v1
	v_add3_u32 v2, v86, v85, v0
	;; [unrolled: 1-line block ×8, first 2 shown]
	s_waitcnt lgkmcnt(1)
	v_add3_u32 v14, v53, v52, v17
	s_waitcnt lgkmcnt(0)
	v_add3_u32 v13, v51, v50, v18
	v_add_u32_e32 v12, v12, v49
	v_add3_u32 v11, v63, v62, v11
	s_waitcnt vmcnt(0)
	v_lshlrev_b32_e32 v16, 2, v16
	global_store_dwordx4 v16, v[12:15], s[0:1]
	global_store_dwordx4 v16, v[8:11], s[0:1] offset:16
	global_store_dwordx4 v16, v[4:7], s[0:1] offset:32
	;; [unrolled: 1-line block ×3, first 2 shown]
	s_endpgm
	.section	.rodata,"a",@progbits
	.p2align	6, 0x0
	.amdhsa_kernel _Z11rank_kernelIhLj4ELb0EL18RadixRankAlgorithm2ELj128ELj16ELj10EEvPKT_Pi
		.amdhsa_group_segment_fixed_size 520
		.amdhsa_private_segment_fixed_size 304
		.amdhsa_kernarg_size 272
		.amdhsa_user_sgpr_count 6
		.amdhsa_user_sgpr_private_segment_buffer 1
		.amdhsa_user_sgpr_dispatch_ptr 0
		.amdhsa_user_sgpr_queue_ptr 0
		.amdhsa_user_sgpr_kernarg_segment_ptr 1
		.amdhsa_user_sgpr_dispatch_id 0
		.amdhsa_user_sgpr_flat_scratch_init 0
		.amdhsa_user_sgpr_private_segment_size 0
		.amdhsa_uses_dynamic_stack 0
		.amdhsa_system_sgpr_private_segment_wavefront_offset 1
		.amdhsa_system_sgpr_workgroup_id_x 1
		.amdhsa_system_sgpr_workgroup_id_y 0
		.amdhsa_system_sgpr_workgroup_id_z 0
		.amdhsa_system_sgpr_workgroup_info 0
		.amdhsa_system_vgpr_workitem_id 2
		.amdhsa_next_free_vgpr 256
		.amdhsa_next_free_sgpr 100
		.amdhsa_reserve_vcc 1
		.amdhsa_reserve_flat_scratch 0
		.amdhsa_float_round_mode_32 0
		.amdhsa_float_round_mode_16_64 0
		.amdhsa_float_denorm_mode_32 3
		.amdhsa_float_denorm_mode_16_64 3
		.amdhsa_dx10_clamp 1
		.amdhsa_ieee_mode 1
		.amdhsa_fp16_overflow 0
		.amdhsa_exception_fp_ieee_invalid_op 0
		.amdhsa_exception_fp_denorm_src 0
		.amdhsa_exception_fp_ieee_div_zero 0
		.amdhsa_exception_fp_ieee_overflow 0
		.amdhsa_exception_fp_ieee_underflow 0
		.amdhsa_exception_fp_ieee_inexact 0
		.amdhsa_exception_int_div_zero 0
	.end_amdhsa_kernel
	.section	.text._Z11rank_kernelIhLj4ELb0EL18RadixRankAlgorithm2ELj128ELj16ELj10EEvPKT_Pi,"axG",@progbits,_Z11rank_kernelIhLj4ELb0EL18RadixRankAlgorithm2ELj128ELj16ELj10EEvPKT_Pi,comdat
.Lfunc_end56:
	.size	_Z11rank_kernelIhLj4ELb0EL18RadixRankAlgorithm2ELj128ELj16ELj10EEvPKT_Pi, .Lfunc_end56-_Z11rank_kernelIhLj4ELb0EL18RadixRankAlgorithm2ELj128ELj16ELj10EEvPKT_Pi
                                        ; -- End function
	.set _Z11rank_kernelIhLj4ELb0EL18RadixRankAlgorithm2ELj128ELj16ELj10EEvPKT_Pi.num_vgpr, 256
	.set _Z11rank_kernelIhLj4ELb0EL18RadixRankAlgorithm2ELj128ELj16ELj10EEvPKT_Pi.num_agpr, 0
	.set _Z11rank_kernelIhLj4ELb0EL18RadixRankAlgorithm2ELj128ELj16ELj10EEvPKT_Pi.numbered_sgpr, 100
	.set _Z11rank_kernelIhLj4ELb0EL18RadixRankAlgorithm2ELj128ELj16ELj10EEvPKT_Pi.num_named_barrier, 0
	.set _Z11rank_kernelIhLj4ELb0EL18RadixRankAlgorithm2ELj128ELj16ELj10EEvPKT_Pi.private_seg_size, 304
	.set _Z11rank_kernelIhLj4ELb0EL18RadixRankAlgorithm2ELj128ELj16ELj10EEvPKT_Pi.uses_vcc, 1
	.set _Z11rank_kernelIhLj4ELb0EL18RadixRankAlgorithm2ELj128ELj16ELj10EEvPKT_Pi.uses_flat_scratch, 0
	.set _Z11rank_kernelIhLj4ELb0EL18RadixRankAlgorithm2ELj128ELj16ELj10EEvPKT_Pi.has_dyn_sized_stack, 0
	.set _Z11rank_kernelIhLj4ELb0EL18RadixRankAlgorithm2ELj128ELj16ELj10EEvPKT_Pi.has_recursion, 0
	.set _Z11rank_kernelIhLj4ELb0EL18RadixRankAlgorithm2ELj128ELj16ELj10EEvPKT_Pi.has_indirect_call, 0
	.section	.AMDGPU.csdata,"",@progbits
; Kernel info:
; codeLenInByte = 16124
; TotalNumSgprs: 104
; NumVgprs: 256
; ScratchSize: 304
; MemoryBound: 0
; FloatMode: 240
; IeeeMode: 1
; LDSByteSize: 520 bytes/workgroup (compile time only)
; SGPRBlocks: 12
; VGPRBlocks: 63
; NumSGPRsForWavesPerEU: 104
; NumVGPRsForWavesPerEU: 256
; Occupancy: 1
; WaveLimiterHint : 0
; COMPUTE_PGM_RSRC2:SCRATCH_EN: 1
; COMPUTE_PGM_RSRC2:USER_SGPR: 6
; COMPUTE_PGM_RSRC2:TRAP_HANDLER: 0
; COMPUTE_PGM_RSRC2:TGID_X_EN: 1
; COMPUTE_PGM_RSRC2:TGID_Y_EN: 0
; COMPUTE_PGM_RSRC2:TGID_Z_EN: 0
; COMPUTE_PGM_RSRC2:TIDIG_COMP_CNT: 2
	.section	.text._Z11rank_kernelIhLj4ELb0EL18RadixRankAlgorithm0ELj128ELj32ELj10EEvPKT_Pi,"axG",@progbits,_Z11rank_kernelIhLj4ELb0EL18RadixRankAlgorithm0ELj128ELj32ELj10EEvPKT_Pi,comdat
	.protected	_Z11rank_kernelIhLj4ELb0EL18RadixRankAlgorithm0ELj128ELj32ELj10EEvPKT_Pi ; -- Begin function _Z11rank_kernelIhLj4ELb0EL18RadixRankAlgorithm0ELj128ELj32ELj10EEvPKT_Pi
	.globl	_Z11rank_kernelIhLj4ELb0EL18RadixRankAlgorithm0ELj128ELj32ELj10EEvPKT_Pi
	.p2align	8
	.type	_Z11rank_kernelIhLj4ELb0EL18RadixRankAlgorithm0ELj128ELj32ELj10EEvPKT_Pi,@function
_Z11rank_kernelIhLj4ELb0EL18RadixRankAlgorithm0ELj128ELj32ELj10EEvPKT_Pi: ; @_Z11rank_kernelIhLj4ELb0EL18RadixRankAlgorithm0ELj128ELj32ELj10EEvPKT_Pi
; %bb.0:
	s_load_dwordx4 s[20:23], s[4:5], 0x0
	s_lshl_b32 s24, s6, 12
	v_lshlrev_b32_e32 v9, 5, v0
	v_mbcnt_lo_u32_b32 v10, -1, 0
	v_mbcnt_hi_u32_b32 v10, -1, v10
	s_waitcnt lgkmcnt(0)
	s_add_u32 s0, s20, s24
	s_addc_u32 s1, s21, 0
	global_load_dwordx4 v[1:4], v9, s[0:1]
	global_load_dwordx4 v[5:8], v9, s[0:1] offset:16
	v_and_b32_e32 v11, 15, v10
	v_cmp_eq_u32_e64 s[0:1], 0, v11
	v_cmp_lt_u32_e64 s[2:3], 1, v11
	v_cmp_lt_u32_e64 s[4:5], 3, v11
	;; [unrolled: 1-line block ×3, first 2 shown]
	v_and_b32_e32 v11, 16, v10
	v_cmp_eq_u32_e64 s[8:9], 0, v11
	v_or_b32_e32 v11, 63, v0
	v_cmp_eq_u32_e64 s[12:13], v0, v11
	v_subrev_co_u32_e64 v11, s[18:19], 1, v10
	v_and_b32_e32 v12, 64, v10
	v_cmp_lt_i32_e32 vcc, v11, v12
	v_cndmask_b32_e32 v11, v11, v10, vcc
	v_lshlrev_b32_e32 v30, 2, v11
	v_lshrrev_b32_e32 v11, 4, v0
	s_mov_b32 s25, 0
	v_cmp_lt_u32_e64 s[10:11], 31, v10
	v_and_b32_e32 v31, 4, v11
	v_mul_i32_i24_e32 v11, 0xffffffe4, v0
	v_and_b32_e32 v10, 1, v10
	v_mov_b32_e32 v22, 0
	v_cmp_gt_u32_e64 s[14:15], 2, v0
	v_cmp_lt_u32_e64 s[16:17], 63, v0
	v_cmp_eq_u32_e64 s[20:21], 0, v10
	v_lshlrev_b32_e32 v33, 2, v0
	v_or_b32_e32 v36, 0xffffff80, v0
	s_movk_i32 s30, 0x37f
	s_movk_i32 s31, 0x380
	v_add_u32_e32 v39, v9, v11
	s_mov_b32 s33, s25
	s_branch .LBB57_2
.LBB57_1:                               ;   in Loop: Header=BB57_2 Depth=1
	s_add_i32 s33, s33, 1
	s_cmp_eq_u32 s33, 10
	s_cbranch_scc1 .LBB57_12
.LBB57_2:                               ; =>This Loop Header: Depth=1
                                        ;     Child Loop BB57_4 Depth 2
                                        ;       Child Loop BB57_5 Depth 3
	s_mov_b32 s34, 28
	s_mov_b64 s[26:27], -1
	s_branch .LBB57_4
.LBB57_3:                               ;   in Loop: Header=BB57_4 Depth=2
	s_or_b64 exec, exec, s[28:29]
	s_waitcnt lgkmcnt(0)
	v_add_u32_e32 v80, v81, v80
	ds_bpermute_b32 v80, v30, v80
	ds_read_b32 v88, v22 offset:4100
	ds_read2_b64 v[82:85], v9 offset1:1
	ds_read_b64 v[86:87], v9 offset:16
	ds_read_b32 v89, v9 offset:24
	s_mov_b32 s34, 24
	s_andn2_b64 vcc, exec, s[26:27]
	s_mov_b64 s[26:27], 0
	s_waitcnt lgkmcnt(4)
	v_cndmask_b32_e64 v80, v80, v81, s[18:19]
	s_waitcnt lgkmcnt(3)
	v_lshl_add_u32 v80, v88, 16, v80
	s_waitcnt lgkmcnt(2)
	v_add_u32_e32 v81, v80, v82
	v_add_u32_e32 v82, v83, v81
	;; [unrolled: 1-line block ×3, first 2 shown]
	ds_write2_b64 v9, v[80:81], v[82:83] offset1:1
	v_add_u32_e32 v80, v85, v83
	s_waitcnt lgkmcnt(2)
	v_add_u32_e32 v81, v86, v80
	v_add_u32_e32 v82, v87, v81
	s_waitcnt lgkmcnt(1)
	v_add_u32_e32 v83, v89, v82
	ds_write2_b64 v9, v[80:81], v[82:83] offset0:2 offset1:3
	s_waitcnt lgkmcnt(0)
	s_barrier
	s_cbranch_vccz .LBB57_1
.LBB57_4:                               ;   Parent Loop BB57_2 Depth=1
                                        ; =>  This Loop Header: Depth=2
                                        ;       Child Loop BB57_5 Depth 3
	s_xor_b64 s[26:27], s[26:27], -1
	s_mov_b64 s[28:29], 0
	v_mov_b32_e32 v10, v36
	v_mov_b32_e32 v11, v33
.LBB57_5:                               ;   Parent Loop BB57_2 Depth=1
                                        ;     Parent Loop BB57_4 Depth=2
                                        ; =>    This Inner Loop Header: Depth=3
	v_add_u32_e32 v10, 0x80, v10
	v_cmp_lt_u32_e32 vcc, s30, v10
	ds_write_b32 v11, v22
	s_or_b64 s[28:29], vcc, s[28:29]
	v_add_u32_e32 v11, 0x200, v11
	s_andn2_b64 exec, exec, s[28:29]
	s_cbranch_execnz .LBB57_5
; %bb.6:                                ;   in Loop: Header=BB57_4 Depth=2
	s_or_b64 exec, exec, s[28:29]
	s_waitcnt vmcnt(1)
	v_lshlrev_b32_sdwa v10, s34, v1 dst_sel:DWORD dst_unused:UNUSED_PAD src0_sel:DWORD src1_sel:BYTE_0
	v_lshrrev_b32_e32 v11, 21, v10
	v_and_or_b32 v11, v11, s31, v0
	v_alignbit_b32 v10, v11, v10, 31
	v_lshlrev_b32_e32 v14, 1, v10
	ds_read_u16 v12, v14
	v_lshlrev_b32_sdwa v10, s34, v1 dst_sel:DWORD dst_unused:UNUSED_PAD src0_sel:DWORD src1_sel:BYTE_1
	v_lshrrev_b32_e32 v11, 21, v10
	v_and_or_b32 v11, v11, s31, v0
	v_alignbit_b32 v10, v11, v10, 31
	s_waitcnt lgkmcnt(0)
	v_add_u16_e32 v11, 1, v12
	ds_write_b16 v14, v11
	v_lshlrev_b32_e32 v18, 1, v10
	ds_read_u16 v16, v18
	v_lshlrev_b32_sdwa v10, s34, v1 dst_sel:DWORD dst_unused:UNUSED_PAD src0_sel:DWORD src1_sel:BYTE_2
	v_lshrrev_b32_e32 v11, 21, v10
	v_and_or_b32 v11, v11, s31, v0
	v_alignbit_b32 v10, v11, v10, 31
	s_waitcnt lgkmcnt(0)
	v_add_u16_e32 v13, 1, v16
	ds_write_b16 v18, v13
	v_lshlrev_b32_e32 v23, 1, v10
	ds_read_u16 v21, v23
	v_lshlrev_b32_sdwa v10, s34, v1 dst_sel:DWORD dst_unused:UNUSED_PAD src0_sel:DWORD src1_sel:BYTE_3
	v_lshrrev_b32_e32 v11, 21, v10
	v_and_or_b32 v11, v11, s31, v0
	v_alignbit_b32 v10, v11, v10, 31
	s_waitcnt lgkmcnt(0)
	v_add_u16_e32 v13, 1, v21
	ds_write_b16 v23, v13
	v_lshlrev_b32_e32 v51, 1, v10
	ds_read_u16 v27, v51
	v_lshlrev_b32_sdwa v10, s34, v2 dst_sel:DWORD dst_unused:UNUSED_PAD src0_sel:DWORD src1_sel:BYTE_0
	s_waitcnt lgkmcnt(0)
	v_add_u16_e32 v11, 1, v27
	ds_write_b16 v51, v11
	v_lshrrev_b32_e32 v11, 21, v10
	v_and_or_b32 v11, v11, s31, v0
	v_alignbit_b32 v10, v11, v10, 31
	v_lshlrev_b32_e32 v34, 1, v10
	ds_read_u16 v26, v34
	s_waitcnt lgkmcnt(0)
	v_add_u16_e32 v10, 1, v26
	ds_write_b16 v34, v10
	v_lshlrev_b32_sdwa v10, s34, v2 dst_sel:DWORD dst_unused:UNUSED_PAD src0_sel:DWORD src1_sel:BYTE_1
	v_lshrrev_b32_e32 v11, 21, v10
	v_and_or_b32 v11, v11, s31, v0
	v_alignbit_b32 v10, v11, v10, 31
	v_lshlrev_b32_e32 v38, 1, v10
	ds_read_u16 v29, v38
	s_waitcnt lgkmcnt(0)
	v_add_u16_e32 v10, 1, v29
	ds_write_b16 v38, v10
	v_lshlrev_b32_sdwa v10, s34, v2 dst_sel:DWORD dst_unused:UNUSED_PAD src0_sel:DWORD src1_sel:BYTE_2
	v_lshrrev_b32_e32 v11, 21, v10
	v_and_or_b32 v11, v11, s31, v0
	v_alignbit_b32 v10, v11, v10, 31
	v_lshlrev_b32_e32 v42, 1, v10
	ds_read_u16 v35, v42
	s_waitcnt lgkmcnt(0)
	v_add_u16_e32 v10, 1, v35
	ds_write_b16 v42, v10
	v_lshlrev_b32_sdwa v10, s34, v2 dst_sel:DWORD dst_unused:UNUSED_PAD src0_sel:DWORD src1_sel:BYTE_3
	v_lshrrev_b32_e32 v11, 21, v10
	v_and_or_b32 v11, v11, s31, v0
	v_alignbit_b32 v10, v11, v10, 31
	v_lshlrev_b32_e32 v45, 1, v10
	ds_read_u16 v41, v45
	s_waitcnt lgkmcnt(0)
	v_add_u16_e32 v10, 1, v41
	ds_write_b16 v45, v10
	v_lshlrev_b32_sdwa v10, s34, v3 dst_sel:DWORD dst_unused:UNUSED_PAD src0_sel:DWORD src1_sel:BYTE_0
	v_lshrrev_b32_e32 v11, 21, v10
	v_and_or_b32 v11, v11, s31, v0
	v_alignbit_b32 v10, v11, v10, 31
	v_lshlrev_b32_e32 v11, 1, v10
	ds_read_u16 v10, v11
	s_waitcnt lgkmcnt(0)
	v_add_u16_e32 v13, 1, v10
	ds_write_b16 v11, v13
	v_lshlrev_b32_sdwa v13, s34, v3 dst_sel:DWORD dst_unused:UNUSED_PAD src0_sel:DWORD src1_sel:BYTE_1
	v_lshrrev_b32_e32 v15, 21, v13
	v_and_or_b32 v15, v15, s31, v0
	v_alignbit_b32 v13, v15, v13, 31
	v_lshlrev_b32_e32 v15, 1, v13
	ds_read_u16 v13, v15
	s_waitcnt lgkmcnt(0)
	v_add_u16_e32 v17, 1, v13
	ds_write_b16 v15, v17
	v_lshlrev_b32_sdwa v17, s34, v3 dst_sel:DWORD dst_unused:UNUSED_PAD src0_sel:DWORD src1_sel:BYTE_2
	v_lshrrev_b32_e32 v19, 21, v17
	v_and_or_b32 v19, v19, s31, v0
	v_alignbit_b32 v17, v19, v17, 31
	v_lshlrev_b32_e32 v19, 1, v17
	ds_read_u16 v17, v19
	s_waitcnt lgkmcnt(0)
	v_add_u16_e32 v20, 1, v17
	ds_write_b16 v19, v20
	v_lshlrev_b32_sdwa v20, s34, v3 dst_sel:DWORD dst_unused:UNUSED_PAD src0_sel:DWORD src1_sel:BYTE_3
	v_lshrrev_b32_e32 v24, 21, v20
	v_and_or_b32 v24, v24, s31, v0
	v_alignbit_b32 v20, v24, v20, 31
	v_lshlrev_b32_e32 v24, 1, v20
	ds_read_u16 v20, v24
	s_waitcnt lgkmcnt(0)
	v_add_u16_e32 v25, 1, v20
	ds_write_b16 v24, v25
	v_lshlrev_b32_sdwa v25, s34, v4 dst_sel:DWORD dst_unused:UNUSED_PAD src0_sel:DWORD src1_sel:BYTE_0
	v_lshrrev_b32_e32 v28, 21, v25
	v_and_or_b32 v28, v28, s31, v0
	v_alignbit_b32 v25, v28, v25, 31
	v_lshlrev_b32_e32 v28, 1, v25
	ds_read_u16 v25, v28
	s_waitcnt lgkmcnt(0)
	v_add_u16_e32 v32, 1, v25
	ds_write_b16 v28, v32
	v_lshlrev_b32_sdwa v32, s34, v4 dst_sel:DWORD dst_unused:UNUSED_PAD src0_sel:DWORD src1_sel:BYTE_1
	v_lshrrev_b32_e32 v37, 21, v32
	v_and_or_b32 v37, v37, s31, v0
	v_alignbit_b32 v32, v37, v32, 31
	v_lshlrev_b32_e32 v37, 1, v32
	ds_read_u16 v32, v37
	s_waitcnt lgkmcnt(0)
	v_add_u16_e32 v40, 1, v32
	ds_write_b16 v37, v40
	v_lshlrev_b32_sdwa v40, s34, v4 dst_sel:DWORD dst_unused:UNUSED_PAD src0_sel:DWORD src1_sel:BYTE_2
	v_lshrrev_b32_e32 v43, 21, v40
	v_and_or_b32 v43, v43, s31, v0
	v_alignbit_b32 v40, v43, v40, 31
	v_lshlrev_b32_e32 v43, 1, v40
	ds_read_u16 v40, v43
	s_waitcnt lgkmcnt(0)
	v_add_u16_e32 v44, 1, v40
	ds_write_b16 v43, v44
	v_lshlrev_b32_sdwa v44, s34, v4 dst_sel:DWORD dst_unused:UNUSED_PAD src0_sel:DWORD src1_sel:BYTE_3
	v_lshrrev_b32_e32 v46, 21, v44
	v_and_or_b32 v46, v46, s31, v0
	v_alignbit_b32 v44, v46, v44, 31
	v_lshlrev_b32_e32 v46, 1, v44
	ds_read_u16 v44, v46
	s_waitcnt lgkmcnt(0)
	v_add_u16_e32 v47, 1, v44
	ds_write_b16 v46, v47
	s_waitcnt vmcnt(0)
	v_lshlrev_b32_sdwa v47, s34, v5 dst_sel:DWORD dst_unused:UNUSED_PAD src0_sel:DWORD src1_sel:BYTE_0
	v_lshrrev_b32_e32 v48, 21, v47
	v_and_or_b32 v48, v48, s31, v0
	v_alignbit_b32 v47, v48, v47, 31
	v_lshlrev_b32_e32 v48, 1, v47
	ds_read_u16 v47, v48
	s_waitcnt lgkmcnt(0)
	v_add_u16_e32 v49, 1, v47
	ds_write_b16 v48, v49
	v_lshlrev_b32_sdwa v49, s34, v5 dst_sel:DWORD dst_unused:UNUSED_PAD src0_sel:DWORD src1_sel:BYTE_1
	v_lshrrev_b32_e32 v50, 21, v49
	v_and_or_b32 v50, v50, s31, v0
	v_alignbit_b32 v49, v50, v49, 31
	v_lshlrev_b32_e32 v50, 1, v49
	ds_read_u16 v49, v50
	s_waitcnt lgkmcnt(0)
	v_add_u16_e32 v52, 1, v49
	ds_write_b16 v50, v52
	v_lshlrev_b32_sdwa v52, s34, v5 dst_sel:DWORD dst_unused:UNUSED_PAD src0_sel:DWORD src1_sel:BYTE_2
	v_lshrrev_b32_e32 v53, 21, v52
	v_and_or_b32 v53, v53, s31, v0
	v_alignbit_b32 v52, v53, v52, 31
	v_lshlrev_b32_e32 v53, 1, v52
	ds_read_u16 v52, v53
	s_waitcnt lgkmcnt(0)
	v_add_u16_e32 v54, 1, v52
	ds_write_b16 v53, v54
	v_lshlrev_b32_sdwa v54, s34, v5 dst_sel:DWORD dst_unused:UNUSED_PAD src0_sel:DWORD src1_sel:BYTE_3
	v_lshrrev_b32_e32 v55, 21, v54
	v_and_or_b32 v55, v55, s31, v0
	v_alignbit_b32 v54, v55, v54, 31
	v_lshlrev_b32_e32 v55, 1, v54
	ds_read_u16 v54, v55
	s_waitcnt lgkmcnt(0)
	v_add_u16_e32 v56, 1, v54
	ds_write_b16 v55, v56
	v_lshlrev_b32_sdwa v56, s34, v6 dst_sel:DWORD dst_unused:UNUSED_PAD src0_sel:DWORD src1_sel:BYTE_0
	v_lshrrev_b32_e32 v57, 21, v56
	v_and_or_b32 v57, v57, s31, v0
	v_alignbit_b32 v56, v57, v56, 31
	v_lshlrev_b32_e32 v57, 1, v56
	ds_read_u16 v56, v57
	s_waitcnt lgkmcnt(0)
	v_add_u16_e32 v58, 1, v56
	ds_write_b16 v57, v58
	v_lshlrev_b32_sdwa v58, s34, v6 dst_sel:DWORD dst_unused:UNUSED_PAD src0_sel:DWORD src1_sel:BYTE_1
	v_lshrrev_b32_e32 v59, 21, v58
	v_and_or_b32 v59, v59, s31, v0
	v_alignbit_b32 v58, v59, v58, 31
	v_lshlrev_b32_e32 v59, 1, v58
	ds_read_u16 v58, v59
	s_waitcnt lgkmcnt(0)
	v_add_u16_e32 v60, 1, v58
	ds_write_b16 v59, v60
	v_lshlrev_b32_sdwa v60, s34, v6 dst_sel:DWORD dst_unused:UNUSED_PAD src0_sel:DWORD src1_sel:BYTE_2
	v_lshrrev_b32_e32 v61, 21, v60
	v_and_or_b32 v61, v61, s31, v0
	v_alignbit_b32 v60, v61, v60, 31
	v_lshlrev_b32_e32 v61, 1, v60
	ds_read_u16 v60, v61
	s_waitcnt lgkmcnt(0)
	v_add_u16_e32 v62, 1, v60
	ds_write_b16 v61, v62
	v_lshlrev_b32_sdwa v62, s34, v6 dst_sel:DWORD dst_unused:UNUSED_PAD src0_sel:DWORD src1_sel:BYTE_3
	v_lshrrev_b32_e32 v63, 21, v62
	v_and_or_b32 v63, v63, s31, v0
	v_alignbit_b32 v62, v63, v62, 31
	v_lshlrev_b32_e32 v63, 1, v62
	ds_read_u16 v62, v63
	s_waitcnt lgkmcnt(0)
	v_add_u16_e32 v64, 1, v62
	ds_write_b16 v63, v64
	v_lshlrev_b32_sdwa v64, s34, v7 dst_sel:DWORD dst_unused:UNUSED_PAD src0_sel:DWORD src1_sel:BYTE_0
	v_lshrrev_b32_e32 v65, 21, v64
	v_and_or_b32 v65, v65, s31, v0
	v_alignbit_b32 v64, v65, v64, 31
	v_lshlrev_b32_e32 v65, 1, v64
	ds_read_u16 v64, v65
	s_waitcnt lgkmcnt(0)
	v_add_u16_e32 v66, 1, v64
	ds_write_b16 v65, v66
	v_lshlrev_b32_sdwa v66, s34, v7 dst_sel:DWORD dst_unused:UNUSED_PAD src0_sel:DWORD src1_sel:BYTE_1
	v_lshrrev_b32_e32 v67, 21, v66
	v_and_or_b32 v67, v67, s31, v0
	v_alignbit_b32 v66, v67, v66, 31
	v_lshlrev_b32_e32 v67, 1, v66
	ds_read_u16 v66, v67
	s_waitcnt lgkmcnt(0)
	v_add_u16_e32 v68, 1, v66
	ds_write_b16 v67, v68
	v_lshlrev_b32_sdwa v68, s34, v7 dst_sel:DWORD dst_unused:UNUSED_PAD src0_sel:DWORD src1_sel:BYTE_2
	v_lshrrev_b32_e32 v69, 21, v68
	v_and_or_b32 v69, v69, s31, v0
	v_alignbit_b32 v68, v69, v68, 31
	v_lshlrev_b32_e32 v69, 1, v68
	ds_read_u16 v68, v69
	s_waitcnt lgkmcnt(0)
	v_add_u16_e32 v70, 1, v68
	ds_write_b16 v69, v70
	v_lshlrev_b32_sdwa v70, s34, v7 dst_sel:DWORD dst_unused:UNUSED_PAD src0_sel:DWORD src1_sel:BYTE_3
	v_lshrrev_b32_e32 v71, 21, v70
	v_and_or_b32 v71, v71, s31, v0
	v_alignbit_b32 v70, v71, v70, 31
	v_lshlrev_b32_e32 v71, 1, v70
	ds_read_u16 v70, v71
	s_waitcnt lgkmcnt(0)
	v_add_u16_e32 v72, 1, v70
	ds_write_b16 v71, v72
	v_lshlrev_b32_sdwa v72, s34, v8 dst_sel:DWORD dst_unused:UNUSED_PAD src0_sel:DWORD src1_sel:BYTE_0
	v_lshrrev_b32_e32 v73, 21, v72
	v_and_or_b32 v73, v73, s31, v0
	v_alignbit_b32 v72, v73, v72, 31
	v_lshlrev_b32_e32 v73, 1, v72
	ds_read_u16 v72, v73
	s_waitcnt lgkmcnt(0)
	v_add_u16_e32 v74, 1, v72
	ds_write_b16 v73, v74
	v_lshlrev_b32_sdwa v74, s34, v8 dst_sel:DWORD dst_unused:UNUSED_PAD src0_sel:DWORD src1_sel:BYTE_1
	v_lshrrev_b32_e32 v75, 21, v74
	v_and_or_b32 v75, v75, s31, v0
	v_alignbit_b32 v74, v75, v74, 31
	v_lshlrev_b32_e32 v75, 1, v74
	ds_read_u16 v74, v75
	s_waitcnt lgkmcnt(0)
	v_add_u16_e32 v76, 1, v74
	ds_write_b16 v75, v76
	v_lshlrev_b32_sdwa v76, s34, v8 dst_sel:DWORD dst_unused:UNUSED_PAD src0_sel:DWORD src1_sel:BYTE_2
	v_lshrrev_b32_e32 v77, 21, v76
	v_and_or_b32 v77, v77, s31, v0
	v_alignbit_b32 v76, v77, v76, 31
	v_lshlrev_b32_e32 v77, 1, v76
	ds_read_u16 v76, v77
	s_waitcnt lgkmcnt(0)
	v_add_u16_e32 v78, 1, v76
	ds_write_b16 v77, v78
	v_lshlrev_b32_sdwa v78, s34, v8 dst_sel:DWORD dst_unused:UNUSED_PAD src0_sel:DWORD src1_sel:BYTE_3
	v_lshrrev_b32_e32 v79, 21, v78
	v_and_or_b32 v79, v79, s31, v0
	v_alignbit_b32 v78, v79, v78, 31
	v_lshlrev_b32_e32 v79, 1, v78
	ds_read_u16 v78, v79
	s_waitcnt lgkmcnt(0)
	v_add_u16_e32 v80, 1, v78
	ds_write_b16 v79, v80
	s_waitcnt lgkmcnt(0)
	s_barrier
	ds_read2_b64 v[80:83], v9 offset1:1
	ds_read2_b64 v[84:87], v9 offset0:2 offset1:3
	s_waitcnt lgkmcnt(1)
	v_add_u32_e32 v80, v81, v80
	v_add3_u32 v80, v80, v82, v83
	s_waitcnt lgkmcnt(0)
	v_add3_u32 v80, v80, v84, v85
	v_add3_u32 v80, v80, v86, v87
	s_nop 1
	v_mov_b32_dpp v81, v80 row_shr:1 row_mask:0xf bank_mask:0xf
	v_cndmask_b32_e64 v81, v81, 0, s[0:1]
	v_add_u32_e32 v80, v81, v80
	s_nop 1
	v_mov_b32_dpp v81, v80 row_shr:2 row_mask:0xf bank_mask:0xf
	v_cndmask_b32_e64 v81, 0, v81, s[2:3]
	v_add_u32_e32 v80, v80, v81
	;; [unrolled: 4-line block ×4, first 2 shown]
	s_nop 1
	v_mov_b32_dpp v81, v80 row_bcast:15 row_mask:0xf bank_mask:0xf
	v_cndmask_b32_e64 v81, v81, 0, s[8:9]
	v_add_u32_e32 v80, v80, v81
	s_nop 1
	v_mov_b32_dpp v81, v80 row_bcast:31 row_mask:0xf bank_mask:0xf
	v_cndmask_b32_e64 v81, 0, v81, s[10:11]
	v_add_u32_e32 v80, v80, v81
	s_and_saveexec_b64 s[28:29], s[12:13]
; %bb.7:                                ;   in Loop: Header=BB57_4 Depth=2
	ds_write_b32 v31, v80 offset:4096
; %bb.8:                                ;   in Loop: Header=BB57_4 Depth=2
	s_or_b64 exec, exec, s[28:29]
	s_waitcnt lgkmcnt(0)
	s_barrier
	s_and_saveexec_b64 s[28:29], s[14:15]
	s_cbranch_execz .LBB57_10
; %bb.9:                                ;   in Loop: Header=BB57_4 Depth=2
	ds_read_b32 v81, v39 offset:4096
	s_waitcnt lgkmcnt(0)
	s_nop 0
	v_mov_b32_dpp v82, v81 row_shr:1 row_mask:0xf bank_mask:0xf
	v_cndmask_b32_e64 v82, v82, 0, s[20:21]
	v_add_u32_e32 v81, v82, v81
	ds_write_b32 v39, v81 offset:4096
.LBB57_10:                              ;   in Loop: Header=BB57_4 Depth=2
	s_or_b64 exec, exec, s[28:29]
	v_mov_b32_e32 v81, 0
	s_waitcnt lgkmcnt(0)
	s_barrier
	s_and_saveexec_b64 s[28:29], s[16:17]
	s_cbranch_execz .LBB57_3
; %bb.11:                               ;   in Loop: Header=BB57_4 Depth=2
	ds_read_b32 v81, v31 offset:4092
	s_branch .LBB57_3
.LBB57_12:
	ds_read_u16 v0, v51
	ds_read_u16 v4, v34
	;; [unrolled: 1-line block ×8, first 2 shown]
	s_lshl_b64 s[0:1], s[24:25], 2
	s_add_u32 s0, s22, s0
	s_waitcnt lgkmcnt(7)
	v_add_u32_sdwa v3, v0, v27 dst_sel:DWORD dst_unused:UNUSED_PAD src0_sel:DWORD src1_sel:WORD_0
	s_waitcnt lgkmcnt(5)
	v_add_u32_sdwa v2, v1, v21 dst_sel:DWORD dst_unused:UNUSED_PAD src0_sel:DWORD src1_sel:WORD_0
	;; [unrolled: 2-line block ×4, first 2 shown]
	s_addc_u32 s1, s23, s1
	v_lshlrev_b32_e32 v9, 2, v9
	global_store_dwordx4 v9, v[0:3], s[0:1]
	s_nop 0
	v_add_u32_sdwa v0, v4, v26 dst_sel:DWORD dst_unused:UNUSED_PAD src0_sel:DWORD src1_sel:WORD_0
	ds_read_u16 v4, v79
	ds_read_u16 v5, v77
	s_waitcnt lgkmcnt(4)
	v_add_u32_sdwa v3, v7, v41 dst_sel:DWORD dst_unused:UNUSED_PAD src0_sel:DWORD src1_sel:WORD_0
	s_waitcnt lgkmcnt(3)
	v_add_u32_sdwa v2, v8, v35 dst_sel:DWORD dst_unused:UNUSED_PAD src0_sel:DWORD src1_sel:WORD_0
	;; [unrolled: 2-line block ×3, first 2 shown]
	global_store_dwordx4 v9, v[0:3], s[0:1] offset:16
	ds_read_u16 v0, v75
	ds_read_u16 v6, v73
	s_waitcnt lgkmcnt(3)
	v_add_u32_sdwa v3, v4, v78 dst_sel:DWORD dst_unused:UNUSED_PAD src0_sel:DWORD src1_sel:WORD_0
	ds_read_u16 v4, v71
	s_waitcnt lgkmcnt(3)
	v_add_u32_sdwa v2, v5, v76 dst_sel:DWORD dst_unused:UNUSED_PAD src0_sel:DWORD src1_sel:WORD_0
	ds_read_u16 v5, v69
	ds_read_u16 v8, v67
	s_waitcnt lgkmcnt(4)
	v_add_u32_sdwa v1, v0, v74 dst_sel:DWORD dst_unused:UNUSED_PAD src0_sel:DWORD src1_sel:WORD_0
	s_waitcnt lgkmcnt(3)
	v_add_u32_sdwa v0, v6, v72 dst_sel:DWORD dst_unused:UNUSED_PAD src0_sel:DWORD src1_sel:WORD_0
	;; [unrolled: 2-line block ×3, first 2 shown]
	ds_read_u16 v4, v65
	ds_read_u16 v12, v63
	s_waitcnt lgkmcnt(3)
	v_add_u32_sdwa v6, v5, v68 dst_sel:DWORD dst_unused:UNUSED_PAD src0_sel:DWORD src1_sel:WORD_0
	s_waitcnt lgkmcnt(2)
	v_add_u32_sdwa v5, v8, v66 dst_sel:DWORD dst_unused:UNUSED_PAD src0_sel:DWORD src1_sel:WORD_0
	ds_read_u16 v8, v61
	s_waitcnt lgkmcnt(2)
	v_add_u32_sdwa v4, v4, v64 dst_sel:DWORD dst_unused:UNUSED_PAD src0_sel:DWORD src1_sel:WORD_0
	s_waitcnt lgkmcnt(1)
	v_add_u32_sdwa v36, v12, v62 dst_sel:DWORD dst_unused:UNUSED_PAD src0_sel:DWORD src1_sel:WORD_0
	ds_read_u16 v12, v59
	ds_read_u16 v14, v57
	s_waitcnt lgkmcnt(2)
	v_add_u32_sdwa v35, v8, v60 dst_sel:DWORD dst_unused:UNUSED_PAD src0_sel:DWORD src1_sel:WORD_0
	ds_read_u16 v8, v55
	ds_read_u16 v16, v53
	s_waitcnt lgkmcnt(3)
	v_add_u32_sdwa v34, v12, v58 dst_sel:DWORD dst_unused:UNUSED_PAD src0_sel:DWORD src1_sel:WORD_0
	ds_read_u16 v12, v50
	s_waitcnt lgkmcnt(3)
	v_add_u32_sdwa v33, v14, v56 dst_sel:DWORD dst_unused:UNUSED_PAD src0_sel:DWORD src1_sel:WORD_0
	s_waitcnt lgkmcnt(2)
	v_add_u32_sdwa v51, v8, v54 dst_sel:DWORD dst_unused:UNUSED_PAD src0_sel:DWORD src1_sel:WORD_0
	;; [unrolled: 2-line block ×3, first 2 shown]
	ds_read_u16 v8, v48
	ds_read_u16 v14, v46
	;; [unrolled: 1-line block ×3, first 2 shown]
	s_waitcnt lgkmcnt(3)
	v_add_u32_sdwa v49, v12, v49 dst_sel:DWORD dst_unused:UNUSED_PAD src0_sel:DWORD src1_sel:WORD_0
	ds_read_u16 v12, v37
	s_waitcnt lgkmcnt(3)
	v_add_u32_sdwa v48, v8, v47 dst_sel:DWORD dst_unused:UNUSED_PAD src0_sel:DWORD src1_sel:WORD_0
	s_waitcnt lgkmcnt(2)
	v_add_u32_sdwa v30, v14, v44 dst_sel:DWORD dst_unused:UNUSED_PAD src0_sel:DWORD src1_sel:WORD_0
	;; [unrolled: 2-line block ×3, first 2 shown]
	ds_read_u16 v8, v28
	s_waitcnt lgkmcnt(1)
	v_add_u32_sdwa v28, v12, v32 dst_sel:DWORD dst_unused:UNUSED_PAD src0_sel:DWORD src1_sel:WORD_0
	ds_read_u16 v12, v24
	ds_read_u16 v14, v19
	;; [unrolled: 1-line block ×4, first 2 shown]
	s_waitcnt lgkmcnt(3)
	v_add_u32_sdwa v15, v12, v20 dst_sel:DWORD dst_unused:UNUSED_PAD src0_sel:DWORD src1_sel:WORD_0
	s_waitcnt lgkmcnt(2)
	v_add_u32_sdwa v14, v14, v17 dst_sel:DWORD dst_unused:UNUSED_PAD src0_sel:DWORD src1_sel:WORD_0
	;; [unrolled: 2-line block ×4, first 2 shown]
	v_add_u32_sdwa v27, v8, v25 dst_sel:DWORD dst_unused:UNUSED_PAD src0_sel:DWORD src1_sel:WORD_0
	global_store_dwordx4 v9, v[12:15], s[0:1] offset:32
	global_store_dwordx4 v9, v[27:30], s[0:1] offset:48
	;; [unrolled: 1-line block ×6, first 2 shown]
	s_endpgm
	.section	.rodata,"a",@progbits
	.p2align	6, 0x0
	.amdhsa_kernel _Z11rank_kernelIhLj4ELb0EL18RadixRankAlgorithm0ELj128ELj32ELj10EEvPKT_Pi
		.amdhsa_group_segment_fixed_size 4104
		.amdhsa_private_segment_fixed_size 0
		.amdhsa_kernarg_size 16
		.amdhsa_user_sgpr_count 6
		.amdhsa_user_sgpr_private_segment_buffer 1
		.amdhsa_user_sgpr_dispatch_ptr 0
		.amdhsa_user_sgpr_queue_ptr 0
		.amdhsa_user_sgpr_kernarg_segment_ptr 1
		.amdhsa_user_sgpr_dispatch_id 0
		.amdhsa_user_sgpr_flat_scratch_init 0
		.amdhsa_user_sgpr_private_segment_size 0
		.amdhsa_uses_dynamic_stack 0
		.amdhsa_system_sgpr_private_segment_wavefront_offset 0
		.amdhsa_system_sgpr_workgroup_id_x 1
		.amdhsa_system_sgpr_workgroup_id_y 0
		.amdhsa_system_sgpr_workgroup_id_z 0
		.amdhsa_system_sgpr_workgroup_info 0
		.amdhsa_system_vgpr_workitem_id 0
		.amdhsa_next_free_vgpr 90
		.amdhsa_next_free_sgpr 61
		.amdhsa_reserve_vcc 1
		.amdhsa_reserve_flat_scratch 0
		.amdhsa_float_round_mode_32 0
		.amdhsa_float_round_mode_16_64 0
		.amdhsa_float_denorm_mode_32 3
		.amdhsa_float_denorm_mode_16_64 3
		.amdhsa_dx10_clamp 1
		.amdhsa_ieee_mode 1
		.amdhsa_fp16_overflow 0
		.amdhsa_exception_fp_ieee_invalid_op 0
		.amdhsa_exception_fp_denorm_src 0
		.amdhsa_exception_fp_ieee_div_zero 0
		.amdhsa_exception_fp_ieee_overflow 0
		.amdhsa_exception_fp_ieee_underflow 0
		.amdhsa_exception_fp_ieee_inexact 0
		.amdhsa_exception_int_div_zero 0
	.end_amdhsa_kernel
	.section	.text._Z11rank_kernelIhLj4ELb0EL18RadixRankAlgorithm0ELj128ELj32ELj10EEvPKT_Pi,"axG",@progbits,_Z11rank_kernelIhLj4ELb0EL18RadixRankAlgorithm0ELj128ELj32ELj10EEvPKT_Pi,comdat
.Lfunc_end57:
	.size	_Z11rank_kernelIhLj4ELb0EL18RadixRankAlgorithm0ELj128ELj32ELj10EEvPKT_Pi, .Lfunc_end57-_Z11rank_kernelIhLj4ELb0EL18RadixRankAlgorithm0ELj128ELj32ELj10EEvPKT_Pi
                                        ; -- End function
	.set _Z11rank_kernelIhLj4ELb0EL18RadixRankAlgorithm0ELj128ELj32ELj10EEvPKT_Pi.num_vgpr, 90
	.set _Z11rank_kernelIhLj4ELb0EL18RadixRankAlgorithm0ELj128ELj32ELj10EEvPKT_Pi.num_agpr, 0
	.set _Z11rank_kernelIhLj4ELb0EL18RadixRankAlgorithm0ELj128ELj32ELj10EEvPKT_Pi.numbered_sgpr, 35
	.set _Z11rank_kernelIhLj4ELb0EL18RadixRankAlgorithm0ELj128ELj32ELj10EEvPKT_Pi.num_named_barrier, 0
	.set _Z11rank_kernelIhLj4ELb0EL18RadixRankAlgorithm0ELj128ELj32ELj10EEvPKT_Pi.private_seg_size, 0
	.set _Z11rank_kernelIhLj4ELb0EL18RadixRankAlgorithm0ELj128ELj32ELj10EEvPKT_Pi.uses_vcc, 1
	.set _Z11rank_kernelIhLj4ELb0EL18RadixRankAlgorithm0ELj128ELj32ELj10EEvPKT_Pi.uses_flat_scratch, 0
	.set _Z11rank_kernelIhLj4ELb0EL18RadixRankAlgorithm0ELj128ELj32ELj10EEvPKT_Pi.has_dyn_sized_stack, 0
	.set _Z11rank_kernelIhLj4ELb0EL18RadixRankAlgorithm0ELj128ELj32ELj10EEvPKT_Pi.has_recursion, 0
	.set _Z11rank_kernelIhLj4ELb0EL18RadixRankAlgorithm0ELj128ELj32ELj10EEvPKT_Pi.has_indirect_call, 0
	.section	.AMDGPU.csdata,"",@progbits
; Kernel info:
; codeLenInByte = 3312
; TotalNumSgprs: 39
; NumVgprs: 90
; ScratchSize: 0
; MemoryBound: 0
; FloatMode: 240
; IeeeMode: 1
; LDSByteSize: 4104 bytes/workgroup (compile time only)
; SGPRBlocks: 8
; VGPRBlocks: 22
; NumSGPRsForWavesPerEU: 65
; NumVGPRsForWavesPerEU: 90
; Occupancy: 2
; WaveLimiterHint : 0
; COMPUTE_PGM_RSRC2:SCRATCH_EN: 0
; COMPUTE_PGM_RSRC2:USER_SGPR: 6
; COMPUTE_PGM_RSRC2:TRAP_HANDLER: 0
; COMPUTE_PGM_RSRC2:TGID_X_EN: 1
; COMPUTE_PGM_RSRC2:TGID_Y_EN: 0
; COMPUTE_PGM_RSRC2:TGID_Z_EN: 0
; COMPUTE_PGM_RSRC2:TIDIG_COMP_CNT: 0
	.section	.text._Z11rank_kernelIhLj4ELb0EL18RadixRankAlgorithm1ELj128ELj32ELj10EEvPKT_Pi,"axG",@progbits,_Z11rank_kernelIhLj4ELb0EL18RadixRankAlgorithm1ELj128ELj32ELj10EEvPKT_Pi,comdat
	.protected	_Z11rank_kernelIhLj4ELb0EL18RadixRankAlgorithm1ELj128ELj32ELj10EEvPKT_Pi ; -- Begin function _Z11rank_kernelIhLj4ELb0EL18RadixRankAlgorithm1ELj128ELj32ELj10EEvPKT_Pi
	.globl	_Z11rank_kernelIhLj4ELb0EL18RadixRankAlgorithm1ELj128ELj32ELj10EEvPKT_Pi
	.p2align	8
	.type	_Z11rank_kernelIhLj4ELb0EL18RadixRankAlgorithm1ELj128ELj32ELj10EEvPKT_Pi,@function
_Z11rank_kernelIhLj4ELb0EL18RadixRankAlgorithm1ELj128ELj32ELj10EEvPKT_Pi: ; @_Z11rank_kernelIhLj4ELb0EL18RadixRankAlgorithm1ELj128ELj32ELj10EEvPKT_Pi
; %bb.0:
	s_load_dwordx4 s[20:23], s[4:5], 0x0
	s_lshl_b32 s24, s6, 12
	v_lshlrev_b32_e32 v17, 5, v0
	v_mbcnt_lo_u32_b32 v9, -1, 0
	v_mbcnt_hi_u32_b32 v9, -1, v9
	s_waitcnt lgkmcnt(0)
	s_add_u32 s0, s20, s24
	s_addc_u32 s1, s21, 0
	global_load_dwordx4 v[1:4], v17, s[0:1]
	global_load_dwordx4 v[5:8], v17, s[0:1] offset:16
	v_and_b32_e32 v10, 15, v9
	v_cmp_eq_u32_e64 s[0:1], 0, v10
	v_cmp_lt_u32_e64 s[2:3], 1, v10
	v_cmp_lt_u32_e64 s[4:5], 3, v10
	;; [unrolled: 1-line block ×3, first 2 shown]
	v_and_b32_e32 v10, 16, v9
	v_cmp_eq_u32_e64 s[8:9], 0, v10
	v_or_b32_e32 v10, 63, v0
	v_cmp_eq_u32_e64 s[12:13], v0, v10
	v_subrev_co_u32_e64 v10, s[18:19], 1, v9
	v_and_b32_e32 v11, 64, v9
	v_cmp_lt_i32_e32 vcc, v10, v11
	v_cndmask_b32_e32 v10, v10, v9, vcc
	v_lshlrev_b32_e32 v38, 2, v10
	v_lshrrev_b32_e32 v10, 4, v0
	s_mov_b32 s25, 0
	v_cmp_lt_u32_e64 s[10:11], 31, v9
	v_and_b32_e32 v39, 4, v10
	v_mul_i32_i24_e32 v10, 0xffffffe4, v0
	v_and_b32_e32 v9, 1, v9
	v_mov_b32_e32 v30, 0
	v_cmp_gt_u32_e64 s[14:15], 2, v0
	v_cmp_lt_u32_e64 s[16:17], 63, v0
	v_cmp_eq_u32_e64 s[20:21], 0, v9
	v_lshlrev_b32_e32 v41, 2, v0
	v_or_b32_e32 v44, 0xffffff80, v0
	s_movk_i32 s30, 0x37f
	s_movk_i32 s31, 0x380
	v_add_u32_e32 v47, v17, v10
	s_mov_b32 s33, s25
	s_branch .LBB58_2
.LBB58_1:                               ;   in Loop: Header=BB58_2 Depth=1
	s_add_i32 s33, s33, 1
	s_cmp_eq_u32 s33, 10
	s_cbranch_scc1 .LBB58_12
.LBB58_2:                               ; =>This Loop Header: Depth=1
                                        ;     Child Loop BB58_4 Depth 2
                                        ;       Child Loop BB58_5 Depth 3
	s_mov_b32 s34, 28
	s_mov_b64 s[26:27], -1
	s_branch .LBB58_4
.LBB58_3:                               ;   in Loop: Header=BB58_4 Depth=2
	s_or_b64 exec, exec, s[28:29]
	s_waitcnt lgkmcnt(0)
	v_add_u32_e32 v12, v88, v12
	ds_bpermute_b32 v12, v38, v12
	ds_read_b32 v89, v30 offset:4100
	s_mov_b32 s34, 24
	s_andn2_b64 vcc, exec, s[26:27]
	s_mov_b64 s[26:27], 0
	s_waitcnt lgkmcnt(1)
	v_cndmask_b32_e64 v12, v12, v88, s[18:19]
	s_waitcnt lgkmcnt(0)
	v_lshl_add_u32 v12, v89, 16, v12
	v_add_u32_e32 v13, v12, v13
	v_add_u32_e32 v14, v13, v14
	;; [unrolled: 1-line block ×7, first 2 shown]
	ds_write2_b64 v17, v[12:13], v[14:15] offset1:1
	ds_write2_b64 v17, v[88:89], v[9:10] offset0:2 offset1:3
	s_waitcnt lgkmcnt(0)
	s_barrier
	s_cbranch_vccz .LBB58_1
.LBB58_4:                               ;   Parent Loop BB58_2 Depth=1
                                        ; =>  This Loop Header: Depth=2
                                        ;       Child Loop BB58_5 Depth 3
	s_xor_b64 s[26:27], s[26:27], -1
	s_mov_b64 s[28:29], 0
	v_mov_b32_e32 v9, v44
	v_mov_b32_e32 v10, v41
.LBB58_5:                               ;   Parent Loop BB58_2 Depth=1
                                        ;     Parent Loop BB58_4 Depth=2
                                        ; =>    This Inner Loop Header: Depth=3
	v_add_u32_e32 v9, 0x80, v9
	v_cmp_lt_u32_e32 vcc, s30, v9
	ds_write_b32 v10, v30
	s_or_b64 s[28:29], vcc, s[28:29]
	v_add_u32_e32 v10, 0x200, v10
	s_andn2_b64 exec, exec, s[28:29]
	s_cbranch_execnz .LBB58_5
; %bb.6:                                ;   in Loop: Header=BB58_4 Depth=2
	s_or_b64 exec, exec, s[28:29]
	s_waitcnt vmcnt(1)
	v_lshlrev_b32_sdwa v9, s34, v1 dst_sel:DWORD dst_unused:UNUSED_PAD src0_sel:DWORD src1_sel:BYTE_0
	v_lshrrev_b32_e32 v10, 21, v9
	v_and_or_b32 v10, v10, s31, v0
	v_alignbit_b32 v9, v10, v9, 31
	v_lshlrev_b32_e32 v22, 1, v9
	ds_read_u16 v20, v22
	v_lshlrev_b32_sdwa v9, s34, v1 dst_sel:DWORD dst_unused:UNUSED_PAD src0_sel:DWORD src1_sel:BYTE_1
	v_lshrrev_b32_e32 v10, 21, v9
	v_and_or_b32 v10, v10, s31, v0
	v_alignbit_b32 v9, v10, v9, 31
	s_waitcnt lgkmcnt(0)
	v_add_u16_e32 v10, 1, v20
	ds_write_b16 v22, v10
	v_lshlrev_b32_e32 v26, 1, v9
	ds_read_u16 v24, v26
	v_lshlrev_b32_sdwa v9, s34, v1 dst_sel:DWORD dst_unused:UNUSED_PAD src0_sel:DWORD src1_sel:BYTE_2
	v_lshrrev_b32_e32 v10, 21, v9
	v_and_or_b32 v10, v10, s31, v0
	v_alignbit_b32 v9, v10, v9, 31
	s_waitcnt lgkmcnt(0)
	v_add_u16_e32 v11, 1, v24
	ds_write_b16 v26, v11
	v_lshlrev_b32_e32 v31, 1, v9
	ds_read_u16 v29, v31
	v_lshlrev_b32_sdwa v9, s34, v1 dst_sel:DWORD dst_unused:UNUSED_PAD src0_sel:DWORD src1_sel:BYTE_3
	v_lshrrev_b32_e32 v10, 21, v9
	v_and_or_b32 v10, v10, s31, v0
	v_alignbit_b32 v9, v10, v9, 31
	s_waitcnt lgkmcnt(0)
	v_add_u16_e32 v11, 1, v29
	ds_write_b16 v31, v11
	v_lshlrev_b32_e32 v59, 1, v9
	ds_read_u16 v35, v59
	v_lshlrev_b32_sdwa v9, s34, v2 dst_sel:DWORD dst_unused:UNUSED_PAD src0_sel:DWORD src1_sel:BYTE_0
	s_waitcnt lgkmcnt(0)
	v_add_u16_e32 v10, 1, v35
	ds_write_b16 v59, v10
	v_lshrrev_b32_e32 v10, 21, v9
	v_and_or_b32 v10, v10, s31, v0
	v_alignbit_b32 v9, v10, v9, 31
	v_lshlrev_b32_e32 v42, 1, v9
	ds_read_u16 v34, v42
	s_waitcnt lgkmcnt(0)
	v_add_u16_e32 v9, 1, v34
	ds_write_b16 v42, v9
	v_lshlrev_b32_sdwa v9, s34, v2 dst_sel:DWORD dst_unused:UNUSED_PAD src0_sel:DWORD src1_sel:BYTE_1
	v_lshrrev_b32_e32 v10, 21, v9
	v_and_or_b32 v10, v10, s31, v0
	v_alignbit_b32 v9, v10, v9, 31
	v_lshlrev_b32_e32 v46, 1, v9
	ds_read_u16 v37, v46
	s_waitcnt lgkmcnt(0)
	v_add_u16_e32 v9, 1, v37
	ds_write_b16 v46, v9
	v_lshlrev_b32_sdwa v9, s34, v2 dst_sel:DWORD dst_unused:UNUSED_PAD src0_sel:DWORD src1_sel:BYTE_2
	v_lshrrev_b32_e32 v10, 21, v9
	v_and_or_b32 v10, v10, s31, v0
	v_alignbit_b32 v9, v10, v9, 31
	v_lshlrev_b32_e32 v50, 1, v9
	ds_read_u16 v43, v50
	s_waitcnt lgkmcnt(0)
	v_add_u16_e32 v9, 1, v43
	ds_write_b16 v50, v9
	v_lshlrev_b32_sdwa v9, s34, v2 dst_sel:DWORD dst_unused:UNUSED_PAD src0_sel:DWORD src1_sel:BYTE_3
	v_lshrrev_b32_e32 v10, 21, v9
	v_and_or_b32 v10, v10, s31, v0
	v_alignbit_b32 v9, v10, v9, 31
	v_lshlrev_b32_e32 v53, 1, v9
	ds_read_u16 v49, v53
	s_waitcnt lgkmcnt(0)
	v_add_u16_e32 v9, 1, v49
	ds_write_b16 v53, v9
	v_lshlrev_b32_sdwa v9, s34, v3 dst_sel:DWORD dst_unused:UNUSED_PAD src0_sel:DWORD src1_sel:BYTE_0
	v_lshrrev_b32_e32 v10, 21, v9
	v_and_or_b32 v10, v10, s31, v0
	v_alignbit_b32 v9, v10, v9, 31
	v_lshlrev_b32_e32 v19, 1, v9
	ds_read_u16 v18, v19
	s_waitcnt lgkmcnt(0)
	v_add_u16_e32 v9, 1, v18
	ds_write_b16 v19, v9
	v_lshlrev_b32_sdwa v9, s34, v3 dst_sel:DWORD dst_unused:UNUSED_PAD src0_sel:DWORD src1_sel:BYTE_1
	v_lshrrev_b32_e32 v10, 21, v9
	v_and_or_b32 v10, v10, s31, v0
	v_alignbit_b32 v9, v10, v9, 31
	v_lshlrev_b32_e32 v23, 1, v9
	ds_read_u16 v21, v23
	s_waitcnt lgkmcnt(0)
	v_add_u16_e32 v9, 1, v21
	ds_write_b16 v23, v9
	v_lshlrev_b32_sdwa v9, s34, v3 dst_sel:DWORD dst_unused:UNUSED_PAD src0_sel:DWORD src1_sel:BYTE_2
	v_lshrrev_b32_e32 v10, 21, v9
	v_and_or_b32 v10, v10, s31, v0
	v_alignbit_b32 v9, v10, v9, 31
	v_lshlrev_b32_e32 v27, 1, v9
	ds_read_u16 v25, v27
	s_waitcnt lgkmcnt(0)
	v_add_u16_e32 v9, 1, v25
	ds_write_b16 v27, v9
	v_lshlrev_b32_sdwa v9, s34, v3 dst_sel:DWORD dst_unused:UNUSED_PAD src0_sel:DWORD src1_sel:BYTE_3
	v_lshrrev_b32_e32 v10, 21, v9
	v_and_or_b32 v10, v10, s31, v0
	v_alignbit_b32 v9, v10, v9, 31
	v_lshlrev_b32_e32 v32, 1, v9
	ds_read_u16 v28, v32
	s_waitcnt lgkmcnt(0)
	v_add_u16_e32 v9, 1, v28
	ds_write_b16 v32, v9
	v_lshlrev_b32_sdwa v9, s34, v4 dst_sel:DWORD dst_unused:UNUSED_PAD src0_sel:DWORD src1_sel:BYTE_0
	v_lshrrev_b32_e32 v10, 21, v9
	v_and_or_b32 v10, v10, s31, v0
	v_alignbit_b32 v9, v10, v9, 31
	v_lshlrev_b32_e32 v36, 1, v9
	ds_read_u16 v33, v36
	s_waitcnt lgkmcnt(0)
	v_add_u16_e32 v9, 1, v33
	ds_write_b16 v36, v9
	v_lshlrev_b32_sdwa v9, s34, v4 dst_sel:DWORD dst_unused:UNUSED_PAD src0_sel:DWORD src1_sel:BYTE_1
	v_lshrrev_b32_e32 v10, 21, v9
	v_and_or_b32 v10, v10, s31, v0
	v_alignbit_b32 v9, v10, v9, 31
	v_lshlrev_b32_e32 v45, 1, v9
	ds_read_u16 v40, v45
	s_waitcnt lgkmcnt(0)
	v_add_u16_e32 v9, 1, v40
	ds_write_b16 v45, v9
	v_lshlrev_b32_sdwa v9, s34, v4 dst_sel:DWORD dst_unused:UNUSED_PAD src0_sel:DWORD src1_sel:BYTE_2
	v_lshrrev_b32_e32 v10, 21, v9
	v_and_or_b32 v10, v10, s31, v0
	v_alignbit_b32 v9, v10, v9, 31
	v_lshlrev_b32_e32 v51, 1, v9
	ds_read_u16 v48, v51
	s_waitcnt lgkmcnt(0)
	v_add_u16_e32 v9, 1, v48
	ds_write_b16 v51, v9
	v_lshlrev_b32_sdwa v9, s34, v4 dst_sel:DWORD dst_unused:UNUSED_PAD src0_sel:DWORD src1_sel:BYTE_3
	v_lshrrev_b32_e32 v10, 21, v9
	v_and_or_b32 v10, v10, s31, v0
	v_alignbit_b32 v9, v10, v9, 31
	v_lshlrev_b32_e32 v54, 1, v9
	ds_read_u16 v52, v54
	s_waitcnt lgkmcnt(0)
	v_add_u16_e32 v9, 1, v52
	ds_write_b16 v54, v9
	s_waitcnt vmcnt(0)
	v_lshlrev_b32_sdwa v9, s34, v5 dst_sel:DWORD dst_unused:UNUSED_PAD src0_sel:DWORD src1_sel:BYTE_0
	v_lshrrev_b32_e32 v10, 21, v9
	v_and_or_b32 v10, v10, s31, v0
	v_alignbit_b32 v9, v10, v9, 31
	v_lshlrev_b32_e32 v56, 1, v9
	ds_read_u16 v55, v56
	s_waitcnt lgkmcnt(0)
	v_add_u16_e32 v9, 1, v55
	ds_write_b16 v56, v9
	v_lshlrev_b32_sdwa v9, s34, v5 dst_sel:DWORD dst_unused:UNUSED_PAD src0_sel:DWORD src1_sel:BYTE_1
	v_lshrrev_b32_e32 v10, 21, v9
	v_and_or_b32 v10, v10, s31, v0
	v_alignbit_b32 v9, v10, v9, 31
	v_lshlrev_b32_e32 v58, 1, v9
	ds_read_u16 v57, v58
	s_waitcnt lgkmcnt(0)
	v_add_u16_e32 v9, 1, v57
	ds_write_b16 v58, v9
	v_lshlrev_b32_sdwa v9, s34, v5 dst_sel:DWORD dst_unused:UNUSED_PAD src0_sel:DWORD src1_sel:BYTE_2
	v_lshrrev_b32_e32 v10, 21, v9
	v_and_or_b32 v10, v10, s31, v0
	v_alignbit_b32 v9, v10, v9, 31
	v_lshlrev_b32_e32 v61, 1, v9
	ds_read_u16 v60, v61
	s_waitcnt lgkmcnt(0)
	v_add_u16_e32 v9, 1, v60
	ds_write_b16 v61, v9
	v_lshlrev_b32_sdwa v9, s34, v5 dst_sel:DWORD dst_unused:UNUSED_PAD src0_sel:DWORD src1_sel:BYTE_3
	v_lshrrev_b32_e32 v10, 21, v9
	v_and_or_b32 v10, v10, s31, v0
	v_alignbit_b32 v9, v10, v9, 31
	v_lshlrev_b32_e32 v63, 1, v9
	ds_read_u16 v62, v63
	s_waitcnt lgkmcnt(0)
	v_add_u16_e32 v9, 1, v62
	ds_write_b16 v63, v9
	v_lshlrev_b32_sdwa v9, s34, v6 dst_sel:DWORD dst_unused:UNUSED_PAD src0_sel:DWORD src1_sel:BYTE_0
	v_lshrrev_b32_e32 v10, 21, v9
	v_and_or_b32 v10, v10, s31, v0
	v_alignbit_b32 v9, v10, v9, 31
	v_lshlrev_b32_e32 v65, 1, v9
	ds_read_u16 v64, v65
	s_waitcnt lgkmcnt(0)
	v_add_u16_e32 v9, 1, v64
	ds_write_b16 v65, v9
	v_lshlrev_b32_sdwa v9, s34, v6 dst_sel:DWORD dst_unused:UNUSED_PAD src0_sel:DWORD src1_sel:BYTE_1
	v_lshrrev_b32_e32 v10, 21, v9
	v_and_or_b32 v10, v10, s31, v0
	v_alignbit_b32 v9, v10, v9, 31
	v_lshlrev_b32_e32 v67, 1, v9
	ds_read_u16 v66, v67
	s_waitcnt lgkmcnt(0)
	v_add_u16_e32 v9, 1, v66
	ds_write_b16 v67, v9
	v_lshlrev_b32_sdwa v9, s34, v6 dst_sel:DWORD dst_unused:UNUSED_PAD src0_sel:DWORD src1_sel:BYTE_2
	v_lshrrev_b32_e32 v10, 21, v9
	v_and_or_b32 v10, v10, s31, v0
	v_alignbit_b32 v9, v10, v9, 31
	v_lshlrev_b32_e32 v69, 1, v9
	ds_read_u16 v68, v69
	s_waitcnt lgkmcnt(0)
	v_add_u16_e32 v9, 1, v68
	ds_write_b16 v69, v9
	v_lshlrev_b32_sdwa v9, s34, v6 dst_sel:DWORD dst_unused:UNUSED_PAD src0_sel:DWORD src1_sel:BYTE_3
	v_lshrrev_b32_e32 v10, 21, v9
	v_and_or_b32 v10, v10, s31, v0
	v_alignbit_b32 v9, v10, v9, 31
	v_lshlrev_b32_e32 v71, 1, v9
	ds_read_u16 v70, v71
	s_waitcnt lgkmcnt(0)
	v_add_u16_e32 v9, 1, v70
	ds_write_b16 v71, v9
	;; [unrolled: 36-line block ×4, first 2 shown]
	s_waitcnt lgkmcnt(0)
	s_barrier
	ds_read2_b64 v[13:16], v17 offset1:1
	ds_read2_b64 v[9:12], v17 offset0:2 offset1:3
	s_waitcnt lgkmcnt(1)
	v_add_u32_e32 v88, v14, v13
	v_add3_u32 v88, v88, v15, v16
	s_waitcnt lgkmcnt(0)
	v_add3_u32 v88, v88, v9, v10
	v_add3_u32 v12, v88, v11, v12
	s_nop 1
	v_mov_b32_dpp v88, v12 row_shr:1 row_mask:0xf bank_mask:0xf
	v_cndmask_b32_e64 v88, v88, 0, s[0:1]
	v_add_u32_e32 v12, v88, v12
	s_nop 1
	v_mov_b32_dpp v88, v12 row_shr:2 row_mask:0xf bank_mask:0xf
	v_cndmask_b32_e64 v88, 0, v88, s[2:3]
	v_add_u32_e32 v12, v12, v88
	;; [unrolled: 4-line block ×4, first 2 shown]
	s_nop 1
	v_mov_b32_dpp v88, v12 row_bcast:15 row_mask:0xf bank_mask:0xf
	v_cndmask_b32_e64 v88, v88, 0, s[8:9]
	v_add_u32_e32 v12, v12, v88
	s_nop 1
	v_mov_b32_dpp v88, v12 row_bcast:31 row_mask:0xf bank_mask:0xf
	v_cndmask_b32_e64 v88, 0, v88, s[10:11]
	v_add_u32_e32 v12, v12, v88
	s_and_saveexec_b64 s[28:29], s[12:13]
; %bb.7:                                ;   in Loop: Header=BB58_4 Depth=2
	ds_write_b32 v39, v12 offset:4096
; %bb.8:                                ;   in Loop: Header=BB58_4 Depth=2
	s_or_b64 exec, exec, s[28:29]
	s_waitcnt lgkmcnt(0)
	s_barrier
	s_and_saveexec_b64 s[28:29], s[14:15]
	s_cbranch_execz .LBB58_10
; %bb.9:                                ;   in Loop: Header=BB58_4 Depth=2
	ds_read_b32 v88, v47 offset:4096
	s_waitcnt lgkmcnt(0)
	s_nop 0
	v_mov_b32_dpp v89, v88 row_shr:1 row_mask:0xf bank_mask:0xf
	v_cndmask_b32_e64 v89, v89, 0, s[20:21]
	v_add_u32_e32 v88, v89, v88
	ds_write_b32 v47, v88 offset:4096
.LBB58_10:                              ;   in Loop: Header=BB58_4 Depth=2
	s_or_b64 exec, exec, s[28:29]
	v_mov_b32_e32 v88, 0
	s_waitcnt lgkmcnt(0)
	s_barrier
	s_and_saveexec_b64 s[28:29], s[16:17]
	s_cbranch_execz .LBB58_3
; %bb.11:                               ;   in Loop: Header=BB58_4 Depth=2
	ds_read_b32 v88, v39 offset:4092
	s_branch .LBB58_3
.LBB58_12:
	ds_read_u16 v0, v59
	ds_read_u16 v4, v42
	;; [unrolled: 1-line block ×8, first 2 shown]
	s_lshl_b64 s[0:1], s[24:25], 2
	s_add_u32 s0, s22, s0
	s_waitcnt lgkmcnt(7)
	v_add_u32_sdwa v3, v0, v35 dst_sel:DWORD dst_unused:UNUSED_PAD src0_sel:DWORD src1_sel:WORD_0
	s_waitcnt lgkmcnt(5)
	v_add_u32_sdwa v2, v1, v29 dst_sel:DWORD dst_unused:UNUSED_PAD src0_sel:DWORD src1_sel:WORD_0
	;; [unrolled: 2-line block ×4, first 2 shown]
	s_addc_u32 s1, s23, s1
	v_lshlrev_b32_e32 v16, 2, v17
	global_store_dwordx4 v16, v[0:3], s[0:1]
	s_nop 0
	v_add_u32_sdwa v0, v4, v34 dst_sel:DWORD dst_unused:UNUSED_PAD src0_sel:DWORD src1_sel:WORD_0
	ds_read_u16 v4, v87
	ds_read_u16 v5, v85
	s_waitcnt lgkmcnt(4)
	v_add_u32_sdwa v3, v7, v49 dst_sel:DWORD dst_unused:UNUSED_PAD src0_sel:DWORD src1_sel:WORD_0
	s_waitcnt lgkmcnt(3)
	v_add_u32_sdwa v2, v8, v43 dst_sel:DWORD dst_unused:UNUSED_PAD src0_sel:DWORD src1_sel:WORD_0
	;; [unrolled: 2-line block ×3, first 2 shown]
	global_store_dwordx4 v16, v[0:3], s[0:1] offset:16
	ds_read_u16 v0, v83
	ds_read_u16 v6, v81
	s_waitcnt lgkmcnt(3)
	v_add_u32_sdwa v3, v4, v86 dst_sel:DWORD dst_unused:UNUSED_PAD src0_sel:DWORD src1_sel:WORD_0
	ds_read_u16 v4, v79
	s_waitcnt lgkmcnt(3)
	v_add_u32_sdwa v2, v5, v84 dst_sel:DWORD dst_unused:UNUSED_PAD src0_sel:DWORD src1_sel:WORD_0
	ds_read_u16 v5, v77
	ds_read_u16 v8, v75
	s_waitcnt lgkmcnt(4)
	v_add_u32_sdwa v1, v0, v82 dst_sel:DWORD dst_unused:UNUSED_PAD src0_sel:DWORD src1_sel:WORD_0
	s_waitcnt lgkmcnt(3)
	v_add_u32_sdwa v0, v6, v80 dst_sel:DWORD dst_unused:UNUSED_PAD src0_sel:DWORD src1_sel:WORD_0
	;; [unrolled: 2-line block ×3, first 2 shown]
	ds_read_u16 v4, v73
	ds_read_u16 v9, v71
	s_waitcnt lgkmcnt(3)
	v_add_u32_sdwa v6, v5, v76 dst_sel:DWORD dst_unused:UNUSED_PAD src0_sel:DWORD src1_sel:WORD_0
	s_waitcnt lgkmcnt(2)
	v_add_u32_sdwa v5, v8, v74 dst_sel:DWORD dst_unused:UNUSED_PAD src0_sel:DWORD src1_sel:WORD_0
	ds_read_u16 v8, v69
	s_waitcnt lgkmcnt(2)
	v_add_u32_sdwa v4, v4, v72 dst_sel:DWORD dst_unused:UNUSED_PAD src0_sel:DWORD src1_sel:WORD_0
	s_waitcnt lgkmcnt(1)
	v_add_u32_sdwa v11, v9, v70 dst_sel:DWORD dst_unused:UNUSED_PAD src0_sel:DWORD src1_sel:WORD_0
	ds_read_u16 v9, v67
	ds_read_u16 v12, v65
	;; [unrolled: 1-line block ×4, first 2 shown]
	s_waitcnt lgkmcnt(4)
	v_add_u32_sdwa v10, v8, v68 dst_sel:DWORD dst_unused:UNUSED_PAD src0_sel:DWORD src1_sel:WORD_0
	s_waitcnt lgkmcnt(3)
	v_add_u32_sdwa v9, v9, v66 dst_sel:DWORD dst_unused:UNUSED_PAD src0_sel:DWORD src1_sel:WORD_0
	;; [unrolled: 2-line block ×3, first 2 shown]
	ds_read_u16 v12, v58
	ds_read_u16 v17, v56
	;; [unrolled: 1-line block ×5, first 2 shown]
	s_waitcnt lgkmcnt(6)
	v_add_u32_sdwa v15, v13, v62 dst_sel:DWORD dst_unused:UNUSED_PAD src0_sel:DWORD src1_sel:WORD_0
	s_waitcnt lgkmcnt(5)
	v_add_u32_sdwa v14, v14, v60 dst_sel:DWORD dst_unused:UNUSED_PAD src0_sel:DWORD src1_sel:WORD_0
	;; [unrolled: 2-line block ×6, first 2 shown]
	ds_read_u16 v17, v36
	s_waitcnt lgkmcnt(1)
	v_add_u32_sdwa v36, v24, v40 dst_sel:DWORD dst_unused:UNUSED_PAD src0_sel:DWORD src1_sel:WORD_0
	ds_read_u16 v20, v32
	ds_read_u16 v22, v27
	;; [unrolled: 1-line block ×4, first 2 shown]
	s_waitcnt lgkmcnt(3)
	v_add_u32_sdwa v23, v20, v28 dst_sel:DWORD dst_unused:UNUSED_PAD src0_sel:DWORD src1_sel:WORD_0
	s_waitcnt lgkmcnt(2)
	v_add_u32_sdwa v22, v22, v25 dst_sel:DWORD dst_unused:UNUSED_PAD src0_sel:DWORD src1_sel:WORD_0
	;; [unrolled: 2-line block ×4, first 2 shown]
	v_add_u32_sdwa v35, v17, v33 dst_sel:DWORD dst_unused:UNUSED_PAD src0_sel:DWORD src1_sel:WORD_0
	global_store_dwordx4 v16, v[20:23], s[0:1] offset:32
	global_store_dwordx4 v16, v[35:38], s[0:1] offset:48
	;; [unrolled: 1-line block ×6, first 2 shown]
	s_endpgm
	.section	.rodata,"a",@progbits
	.p2align	6, 0x0
	.amdhsa_kernel _Z11rank_kernelIhLj4ELb0EL18RadixRankAlgorithm1ELj128ELj32ELj10EEvPKT_Pi
		.amdhsa_group_segment_fixed_size 4104
		.amdhsa_private_segment_fixed_size 0
		.amdhsa_kernarg_size 16
		.amdhsa_user_sgpr_count 6
		.amdhsa_user_sgpr_private_segment_buffer 1
		.amdhsa_user_sgpr_dispatch_ptr 0
		.amdhsa_user_sgpr_queue_ptr 0
		.amdhsa_user_sgpr_kernarg_segment_ptr 1
		.amdhsa_user_sgpr_dispatch_id 0
		.amdhsa_user_sgpr_flat_scratch_init 0
		.amdhsa_user_sgpr_private_segment_size 0
		.amdhsa_uses_dynamic_stack 0
		.amdhsa_system_sgpr_private_segment_wavefront_offset 0
		.amdhsa_system_sgpr_workgroup_id_x 1
		.amdhsa_system_sgpr_workgroup_id_y 0
		.amdhsa_system_sgpr_workgroup_id_z 0
		.amdhsa_system_sgpr_workgroup_info 0
		.amdhsa_system_vgpr_workitem_id 0
		.amdhsa_next_free_vgpr 90
		.amdhsa_next_free_sgpr 61
		.amdhsa_reserve_vcc 1
		.amdhsa_reserve_flat_scratch 0
		.amdhsa_float_round_mode_32 0
		.amdhsa_float_round_mode_16_64 0
		.amdhsa_float_denorm_mode_32 3
		.amdhsa_float_denorm_mode_16_64 3
		.amdhsa_dx10_clamp 1
		.amdhsa_ieee_mode 1
		.amdhsa_fp16_overflow 0
		.amdhsa_exception_fp_ieee_invalid_op 0
		.amdhsa_exception_fp_denorm_src 0
		.amdhsa_exception_fp_ieee_div_zero 0
		.amdhsa_exception_fp_ieee_overflow 0
		.amdhsa_exception_fp_ieee_underflow 0
		.amdhsa_exception_fp_ieee_inexact 0
		.amdhsa_exception_int_div_zero 0
	.end_amdhsa_kernel
	.section	.text._Z11rank_kernelIhLj4ELb0EL18RadixRankAlgorithm1ELj128ELj32ELj10EEvPKT_Pi,"axG",@progbits,_Z11rank_kernelIhLj4ELb0EL18RadixRankAlgorithm1ELj128ELj32ELj10EEvPKT_Pi,comdat
.Lfunc_end58:
	.size	_Z11rank_kernelIhLj4ELb0EL18RadixRankAlgorithm1ELj128ELj32ELj10EEvPKT_Pi, .Lfunc_end58-_Z11rank_kernelIhLj4ELb0EL18RadixRankAlgorithm1ELj128ELj32ELj10EEvPKT_Pi
                                        ; -- End function
	.set _Z11rank_kernelIhLj4ELb0EL18RadixRankAlgorithm1ELj128ELj32ELj10EEvPKT_Pi.num_vgpr, 90
	.set _Z11rank_kernelIhLj4ELb0EL18RadixRankAlgorithm1ELj128ELj32ELj10EEvPKT_Pi.num_agpr, 0
	.set _Z11rank_kernelIhLj4ELb0EL18RadixRankAlgorithm1ELj128ELj32ELj10EEvPKT_Pi.numbered_sgpr, 35
	.set _Z11rank_kernelIhLj4ELb0EL18RadixRankAlgorithm1ELj128ELj32ELj10EEvPKT_Pi.num_named_barrier, 0
	.set _Z11rank_kernelIhLj4ELb0EL18RadixRankAlgorithm1ELj128ELj32ELj10EEvPKT_Pi.private_seg_size, 0
	.set _Z11rank_kernelIhLj4ELb0EL18RadixRankAlgorithm1ELj128ELj32ELj10EEvPKT_Pi.uses_vcc, 1
	.set _Z11rank_kernelIhLj4ELb0EL18RadixRankAlgorithm1ELj128ELj32ELj10EEvPKT_Pi.uses_flat_scratch, 0
	.set _Z11rank_kernelIhLj4ELb0EL18RadixRankAlgorithm1ELj128ELj32ELj10EEvPKT_Pi.has_dyn_sized_stack, 0
	.set _Z11rank_kernelIhLj4ELb0EL18RadixRankAlgorithm1ELj128ELj32ELj10EEvPKT_Pi.has_recursion, 0
	.set _Z11rank_kernelIhLj4ELb0EL18RadixRankAlgorithm1ELj128ELj32ELj10EEvPKT_Pi.has_indirect_call, 0
	.section	.AMDGPU.csdata,"",@progbits
; Kernel info:
; codeLenInByte = 3276
; TotalNumSgprs: 39
; NumVgprs: 90
; ScratchSize: 0
; MemoryBound: 0
; FloatMode: 240
; IeeeMode: 1
; LDSByteSize: 4104 bytes/workgroup (compile time only)
; SGPRBlocks: 8
; VGPRBlocks: 22
; NumSGPRsForWavesPerEU: 65
; NumVGPRsForWavesPerEU: 90
; Occupancy: 2
; WaveLimiterHint : 0
; COMPUTE_PGM_RSRC2:SCRATCH_EN: 0
; COMPUTE_PGM_RSRC2:USER_SGPR: 6
; COMPUTE_PGM_RSRC2:TRAP_HANDLER: 0
; COMPUTE_PGM_RSRC2:TGID_X_EN: 1
; COMPUTE_PGM_RSRC2:TGID_Y_EN: 0
; COMPUTE_PGM_RSRC2:TGID_Z_EN: 0
; COMPUTE_PGM_RSRC2:TIDIG_COMP_CNT: 0
	.section	.text._Z11rank_kernelIhLj4ELb0EL18RadixRankAlgorithm2ELj128ELj32ELj10EEvPKT_Pi,"axG",@progbits,_Z11rank_kernelIhLj4ELb0EL18RadixRankAlgorithm2ELj128ELj32ELj10EEvPKT_Pi,comdat
	.protected	_Z11rank_kernelIhLj4ELb0EL18RadixRankAlgorithm2ELj128ELj32ELj10EEvPKT_Pi ; -- Begin function _Z11rank_kernelIhLj4ELb0EL18RadixRankAlgorithm2ELj128ELj32ELj10EEvPKT_Pi
	.globl	_Z11rank_kernelIhLj4ELb0EL18RadixRankAlgorithm2ELj128ELj32ELj10EEvPKT_Pi
	.p2align	8
	.type	_Z11rank_kernelIhLj4ELb0EL18RadixRankAlgorithm2ELj128ELj32ELj10EEvPKT_Pi,@function
_Z11rank_kernelIhLj4ELb0EL18RadixRankAlgorithm2ELj128ELj32ELj10EEvPKT_Pi: ; @_Z11rank_kernelIhLj4ELb0EL18RadixRankAlgorithm2ELj128ELj32ELj10EEvPKT_Pi
; %bb.0:
	s_load_dwordx4 s[24:27], s[4:5], 0x0
	s_load_dword s2, s[4:5], 0x1c
	s_lshl_b32 s28, s6, 12
	v_lshlrev_b32_e32 v13, 5, v0
	v_lshlrev_b32_e32 v17, 2, v0
	s_waitcnt lgkmcnt(0)
	s_add_u32 s0, s24, s28
	s_addc_u32 s1, s25, 0
	global_load_dwordx4 v[3:6], v13, s[0:1]
	global_load_dwordx4 v[7:10], v13, s[0:1] offset:16
	s_lshr_b32 s0, s2, 16
	v_mad_u32_u24 v1, v2, s0, v1
	v_mbcnt_lo_u32_b32 v2, -1, 0
	v_mbcnt_hi_u32_b32 v2, -1, v2
	s_and_b32 s1, s2, 0xffff
	v_and_b32_e32 v12, 15, v2
	v_mad_u32_u24 v1, v1, s1, v0
	v_cmp_eq_u32_e64 s[0:1], 0, v12
	v_cmp_lt_u32_e64 s[2:3], 1, v12
	v_cmp_lt_u32_e64 s[4:5], 3, v12
	;; [unrolled: 1-line block ×3, first 2 shown]
	v_and_b32_e32 v12, 16, v2
	v_cmp_eq_u32_e64 s[8:9], 0, v12
	v_or_b32_e32 v12, 63, v0
	v_cmp_eq_u32_e64 s[12:13], v0, v12
	v_cmp_gt_u32_e64 s[14:15], 2, v0
	v_cmp_lt_u32_e64 s[16:17], 63, v0
	v_subrev_co_u32_e64 v12, s[18:19], 1, v2
	v_and_b32_e32 v14, 64, v2
	v_lshrrev_b32_e32 v0, 4, v0
	v_cmp_lt_i32_e32 vcc, v12, v14
	v_and_b32_e32 v19, 4, v0
	v_and_b32_e32 v0, 1, v2
	s_mov_b32 s29, 0
	v_cndmask_b32_e32 v12, v12, v2, vcc
	v_cmp_eq_u32_e64 s[20:21], 0, v0
	v_lshrrev_b32_e32 v0, 4, v1
	v_mov_b32_e32 v11, 0
	v_cmp_lt_u32_e64 s[10:11], 31, v2
	v_lshlrev_b32_e32 v18, 2, v12
	v_add_u32_e32 v20, -4, v19
	v_and_b32_e32 v2, 0xffffffc, v0
	s_mov_b32 s30, s29
	s_branch .LBB59_2
.LBB59_1:                               ;   in Loop: Header=BB59_2 Depth=1
	s_add_i32 s30, s30, 1
	s_cmp_eq_u32 s30, 10
	s_cbranch_scc1 .LBB59_74
.LBB59_2:                               ; =>This Loop Header: Depth=1
                                        ;     Child Loop BB59_4 Depth 2
	s_mov_b64 s[24:25], -1
	s_mov_b32 s31, 28
	s_branch .LBB59_4
.LBB59_3:                               ;   in Loop: Header=BB59_4 Depth=2
	s_or_b64 exec, exec, s[22:23]
	s_waitcnt lgkmcnt(0)
	v_add_u32_e32 v0, v1, v0
	ds_bpermute_b32 v0, v18, v0
	s_xor_b64 s[22:23], s[24:25], -1
	s_mov_b32 s31, 24
	s_andn2_b64 vcc, exec, s[22:23]
	s_mov_b64 s[24:25], 0
	s_waitcnt lgkmcnt(0)
	v_cndmask_b32_e64 v0, v0, v1, s[18:19]
	ds_write_b32 v17, v0 offset:8
	s_waitcnt lgkmcnt(0)
	s_barrier
	s_cbranch_vccz .LBB59_1
.LBB59_4:                               ;   Parent Loop BB59_2 Depth=1
                                        ; =>  This Inner Loop Header: Depth=2
	s_waitcnt vmcnt(1)
	v_lshlrev_b32_sdwa v0, s31, v3 dst_sel:DWORD dst_unused:UNUSED_PAD src0_sel:DWORD src1_sel:BYTE_0
	v_lshrrev_b32_e32 v0, 28, v0
	v_and_b32_e32 v1, 1, v0
	v_add_co_u32_e32 v12, vcc, -1, v1
	v_addc_co_u32_e64 v14, s[22:23], 0, -1, vcc
	v_cmp_ne_u32_e32 vcc, 0, v1
	v_xor_b32_e32 v12, vcc_lo, v12
	v_xor_b32_e32 v1, vcc_hi, v14
	v_and_b32_e32 v14, exec_lo, v12
	v_lshlrev_b32_e32 v12, 30, v0
	v_cmp_gt_i64_e32 vcc, 0, v[11:12]
	v_not_b32_e32 v12, v12
	v_ashrrev_i32_e32 v12, 31, v12
	v_xor_b32_e32 v15, vcc_hi, v12
	v_xor_b32_e32 v12, vcc_lo, v12
	v_and_b32_e32 v14, v14, v12
	v_lshlrev_b32_e32 v12, 29, v0
	v_cmp_gt_i64_e32 vcc, 0, v[11:12]
	v_not_b32_e32 v12, v12
	v_and_b32_e32 v1, exec_hi, v1
	v_ashrrev_i32_e32 v12, 31, v12
	v_and_b32_e32 v1, v1, v15
	v_xor_b32_e32 v15, vcc_hi, v12
	v_xor_b32_e32 v12, vcc_lo, v12
	v_and_b32_e32 v14, v14, v12
	v_lshlrev_b32_e32 v12, 28, v0
	v_mul_u32_u24_e32 v16, 12, v0
	v_cmp_gt_i64_e32 vcc, 0, v[11:12]
	v_not_b32_e32 v0, v12
	v_ashrrev_i32_e32 v0, 31, v0
	v_xor_b32_e32 v12, vcc_hi, v0
	v_xor_b32_e32 v0, vcc_lo, v0
	v_and_b32_e32 v1, v1, v15
	v_and_b32_e32 v0, v14, v0
	;; [unrolled: 1-line block ×3, first 2 shown]
	v_mbcnt_lo_u32_b32 v12, v0, 0
	v_mbcnt_hi_u32_b32 v14, v1, v12
	v_cmp_ne_u64_e32 vcc, 0, v[0:1]
	v_cmp_eq_u32_e64 s[22:23], 0, v14
	s_and_b64 s[34:35], vcc, s[22:23]
	ds_write_b32 v17, v11 offset:8
	s_waitcnt vmcnt(0) lgkmcnt(0)
	s_barrier
	; wave barrier
	s_and_saveexec_b64 s[22:23], s[34:35]
; %bb.5:                                ;   in Loop: Header=BB59_4 Depth=2
	v_bcnt_u32_b32 v0, v0, 0
	v_bcnt_u32_b32 v0, v1, v0
	v_add_u32_e32 v1, v2, v16
	ds_write_b32 v1, v0 offset:8
; %bb.6:                                ;   in Loop: Header=BB59_4 Depth=2
	s_or_b64 exec, exec, s[22:23]
	v_lshlrev_b32_sdwa v0, s31, v3 dst_sel:DWORD dst_unused:UNUSED_PAD src0_sel:DWORD src1_sel:BYTE_1
	v_lshrrev_b32_e32 v0, 28, v0
	v_mad_u32_u24 v1, v0, 12, v2
	; wave barrier
	ds_read_b32 v15, v1 offset:8
	v_and_b32_e32 v1, 1, v0
	v_add_co_u32_e32 v12, vcc, -1, v1
	v_addc_co_u32_e64 v21, s[22:23], 0, -1, vcc
	v_cmp_ne_u32_e32 vcc, 0, v1
	v_xor_b32_e32 v12, vcc_lo, v12
	v_xor_b32_e32 v1, vcc_hi, v21
	v_and_b32_e32 v21, exec_lo, v12
	v_lshlrev_b32_e32 v12, 30, v0
	v_cmp_gt_i64_e32 vcc, 0, v[11:12]
	v_not_b32_e32 v12, v12
	v_ashrrev_i32_e32 v12, 31, v12
	v_xor_b32_e32 v22, vcc_hi, v12
	v_xor_b32_e32 v12, vcc_lo, v12
	v_and_b32_e32 v21, v21, v12
	v_lshlrev_b32_e32 v12, 29, v0
	v_cmp_gt_i64_e32 vcc, 0, v[11:12]
	v_not_b32_e32 v12, v12
	v_and_b32_e32 v1, exec_hi, v1
	v_ashrrev_i32_e32 v12, 31, v12
	v_and_b32_e32 v1, v1, v22
	v_xor_b32_e32 v22, vcc_hi, v12
	v_xor_b32_e32 v12, vcc_lo, v12
	v_and_b32_e32 v21, v21, v12
	v_lshlrev_b32_e32 v12, 28, v0
	v_mul_u32_u24_e32 v23, 12, v0
	v_cmp_gt_i64_e32 vcc, 0, v[11:12]
	v_not_b32_e32 v0, v12
	v_ashrrev_i32_e32 v0, 31, v0
	v_xor_b32_e32 v12, vcc_hi, v0
	v_xor_b32_e32 v0, vcc_lo, v0
	v_and_b32_e32 v1, v1, v22
	v_and_b32_e32 v0, v21, v0
	;; [unrolled: 1-line block ×3, first 2 shown]
	v_mbcnt_lo_u32_b32 v12, v0, 0
	v_mbcnt_hi_u32_b32 v21, v1, v12
	v_cmp_ne_u64_e32 vcc, 0, v[0:1]
	v_cmp_eq_u32_e64 s[22:23], 0, v21
	s_and_b64 s[34:35], vcc, s[22:23]
	; wave barrier
	s_and_saveexec_b64 s[22:23], s[34:35]
	s_cbranch_execz .LBB59_8
; %bb.7:                                ;   in Loop: Header=BB59_4 Depth=2
	v_bcnt_u32_b32 v0, v0, 0
	v_bcnt_u32_b32 v0, v1, v0
	s_waitcnt lgkmcnt(0)
	v_add_u32_e32 v0, v15, v0
	v_add_u32_e32 v1, v2, v23
	ds_write_b32 v1, v0 offset:8
.LBB59_8:                               ;   in Loop: Header=BB59_4 Depth=2
	s_or_b64 exec, exec, s[22:23]
	v_lshlrev_b32_sdwa v0, s31, v3 dst_sel:DWORD dst_unused:UNUSED_PAD src0_sel:DWORD src1_sel:BYTE_2
	v_lshrrev_b32_e32 v0, 28, v0
	v_mad_u32_u24 v1, v0, 12, v2
	; wave barrier
	ds_read_b32 v22, v1 offset:8
	v_and_b32_e32 v1, 1, v0
	v_add_co_u32_e32 v12, vcc, -1, v1
	v_addc_co_u32_e64 v24, s[22:23], 0, -1, vcc
	v_cmp_ne_u32_e32 vcc, 0, v1
	v_xor_b32_e32 v12, vcc_lo, v12
	v_xor_b32_e32 v1, vcc_hi, v24
	v_and_b32_e32 v24, exec_lo, v12
	v_lshlrev_b32_e32 v12, 30, v0
	v_cmp_gt_i64_e32 vcc, 0, v[11:12]
	v_not_b32_e32 v12, v12
	v_ashrrev_i32_e32 v12, 31, v12
	v_xor_b32_e32 v25, vcc_hi, v12
	v_xor_b32_e32 v12, vcc_lo, v12
	v_and_b32_e32 v24, v24, v12
	v_lshlrev_b32_e32 v12, 29, v0
	v_cmp_gt_i64_e32 vcc, 0, v[11:12]
	v_not_b32_e32 v12, v12
	v_and_b32_e32 v1, exec_hi, v1
	v_ashrrev_i32_e32 v12, 31, v12
	v_and_b32_e32 v1, v1, v25
	v_xor_b32_e32 v25, vcc_hi, v12
	v_xor_b32_e32 v12, vcc_lo, v12
	v_and_b32_e32 v24, v24, v12
	v_lshlrev_b32_e32 v12, 28, v0
	v_mul_u32_u24_e32 v26, 12, v0
	v_cmp_gt_i64_e32 vcc, 0, v[11:12]
	v_not_b32_e32 v0, v12
	v_ashrrev_i32_e32 v0, 31, v0
	v_xor_b32_e32 v12, vcc_hi, v0
	v_xor_b32_e32 v0, vcc_lo, v0
	v_and_b32_e32 v1, v1, v25
	v_and_b32_e32 v0, v24, v0
	;; [unrolled: 1-line block ×3, first 2 shown]
	v_mbcnt_lo_u32_b32 v12, v0, 0
	v_mbcnt_hi_u32_b32 v24, v1, v12
	v_cmp_ne_u64_e32 vcc, 0, v[0:1]
	v_cmp_eq_u32_e64 s[22:23], 0, v24
	s_and_b64 s[34:35], vcc, s[22:23]
	; wave barrier
	s_and_saveexec_b64 s[22:23], s[34:35]
	s_cbranch_execz .LBB59_10
; %bb.9:                                ;   in Loop: Header=BB59_4 Depth=2
	v_bcnt_u32_b32 v0, v0, 0
	v_bcnt_u32_b32 v0, v1, v0
	s_waitcnt lgkmcnt(0)
	v_add_u32_e32 v0, v22, v0
	v_add_u32_e32 v1, v2, v26
	ds_write_b32 v1, v0 offset:8
.LBB59_10:                              ;   in Loop: Header=BB59_4 Depth=2
	s_or_b64 exec, exec, s[22:23]
	v_lshlrev_b32_sdwa v0, s31, v3 dst_sel:DWORD dst_unused:UNUSED_PAD src0_sel:DWORD src1_sel:BYTE_3
	v_lshrrev_b32_e32 v0, 28, v0
	v_mad_u32_u24 v1, v0, 12, v2
	; wave barrier
	ds_read_b32 v25, v1 offset:8
	v_and_b32_e32 v1, 1, v0
	v_add_co_u32_e32 v12, vcc, -1, v1
	v_addc_co_u32_e64 v27, s[22:23], 0, -1, vcc
	v_cmp_ne_u32_e32 vcc, 0, v1
	v_xor_b32_e32 v12, vcc_lo, v12
	v_xor_b32_e32 v1, vcc_hi, v27
	v_and_b32_e32 v27, exec_lo, v12
	v_lshlrev_b32_e32 v12, 30, v0
	v_cmp_gt_i64_e32 vcc, 0, v[11:12]
	v_not_b32_e32 v12, v12
	v_ashrrev_i32_e32 v12, 31, v12
	v_xor_b32_e32 v28, vcc_hi, v12
	v_xor_b32_e32 v12, vcc_lo, v12
	v_and_b32_e32 v27, v27, v12
	v_lshlrev_b32_e32 v12, 29, v0
	v_cmp_gt_i64_e32 vcc, 0, v[11:12]
	v_not_b32_e32 v12, v12
	v_and_b32_e32 v1, exec_hi, v1
	v_ashrrev_i32_e32 v12, 31, v12
	v_and_b32_e32 v1, v1, v28
	v_xor_b32_e32 v28, vcc_hi, v12
	v_xor_b32_e32 v12, vcc_lo, v12
	v_and_b32_e32 v27, v27, v12
	v_lshlrev_b32_e32 v12, 28, v0
	v_mul_u32_u24_e32 v29, 12, v0
	v_cmp_gt_i64_e32 vcc, 0, v[11:12]
	v_not_b32_e32 v0, v12
	v_ashrrev_i32_e32 v0, 31, v0
	v_xor_b32_e32 v12, vcc_hi, v0
	v_xor_b32_e32 v0, vcc_lo, v0
	v_and_b32_e32 v1, v1, v28
	v_and_b32_e32 v0, v27, v0
	v_and_b32_e32 v1, v1, v12
	v_mbcnt_lo_u32_b32 v12, v0, 0
	v_mbcnt_hi_u32_b32 v27, v1, v12
	v_cmp_ne_u64_e32 vcc, 0, v[0:1]
	v_cmp_eq_u32_e64 s[22:23], 0, v27
	s_and_b64 s[34:35], vcc, s[22:23]
	; wave barrier
	s_and_saveexec_b64 s[22:23], s[34:35]
	s_cbranch_execz .LBB59_12
; %bb.11:                               ;   in Loop: Header=BB59_4 Depth=2
	v_bcnt_u32_b32 v0, v0, 0
	v_bcnt_u32_b32 v0, v1, v0
	s_waitcnt lgkmcnt(0)
	v_add_u32_e32 v0, v25, v0
	v_add_u32_e32 v1, v2, v29
	ds_write_b32 v1, v0 offset:8
.LBB59_12:                              ;   in Loop: Header=BB59_4 Depth=2
	s_or_b64 exec, exec, s[22:23]
	v_lshlrev_b32_sdwa v0, s31, v4 dst_sel:DWORD dst_unused:UNUSED_PAD src0_sel:DWORD src1_sel:BYTE_0
	v_lshrrev_b32_e32 v0, 28, v0
	v_mad_u32_u24 v1, v0, 12, v2
	; wave barrier
	ds_read_b32 v28, v1 offset:8
	v_and_b32_e32 v1, 1, v0
	v_add_co_u32_e32 v12, vcc, -1, v1
	v_addc_co_u32_e64 v31, s[22:23], 0, -1, vcc
	v_cmp_ne_u32_e32 vcc, 0, v1
	v_xor_b32_e32 v12, vcc_lo, v12
	v_xor_b32_e32 v1, vcc_hi, v31
	v_and_b32_e32 v31, exec_lo, v12
	v_lshlrev_b32_e32 v12, 30, v0
	v_cmp_gt_i64_e32 vcc, 0, v[11:12]
	v_not_b32_e32 v12, v12
	v_ashrrev_i32_e32 v12, 31, v12
	v_xor_b32_e32 v32, vcc_hi, v12
	v_xor_b32_e32 v12, vcc_lo, v12
	v_and_b32_e32 v31, v31, v12
	v_lshlrev_b32_e32 v12, 29, v0
	v_cmp_gt_i64_e32 vcc, 0, v[11:12]
	v_not_b32_e32 v12, v12
	v_and_b32_e32 v1, exec_hi, v1
	v_ashrrev_i32_e32 v12, 31, v12
	v_and_b32_e32 v1, v1, v32
	v_xor_b32_e32 v32, vcc_hi, v12
	v_xor_b32_e32 v12, vcc_lo, v12
	v_and_b32_e32 v31, v31, v12
	v_lshlrev_b32_e32 v12, 28, v0
	v_mul_u32_u24_e32 v30, 12, v0
	v_cmp_gt_i64_e32 vcc, 0, v[11:12]
	v_not_b32_e32 v0, v12
	v_ashrrev_i32_e32 v0, 31, v0
	v_xor_b32_e32 v12, vcc_hi, v0
	v_xor_b32_e32 v0, vcc_lo, v0
	v_and_b32_e32 v1, v1, v32
	v_and_b32_e32 v0, v31, v0
	;; [unrolled: 1-line block ×3, first 2 shown]
	v_mbcnt_lo_u32_b32 v12, v0, 0
	v_mbcnt_hi_u32_b32 v31, v1, v12
	v_cmp_ne_u64_e32 vcc, 0, v[0:1]
	v_cmp_eq_u32_e64 s[22:23], 0, v31
	s_and_b64 s[34:35], vcc, s[22:23]
	; wave barrier
	s_and_saveexec_b64 s[22:23], s[34:35]
	s_cbranch_execz .LBB59_14
; %bb.13:                               ;   in Loop: Header=BB59_4 Depth=2
	v_bcnt_u32_b32 v0, v0, 0
	v_bcnt_u32_b32 v0, v1, v0
	s_waitcnt lgkmcnt(0)
	v_add_u32_e32 v0, v28, v0
	v_add_u32_e32 v1, v2, v30
	ds_write_b32 v1, v0 offset:8
.LBB59_14:                              ;   in Loop: Header=BB59_4 Depth=2
	s_or_b64 exec, exec, s[22:23]
	v_lshlrev_b32_sdwa v0, s31, v4 dst_sel:DWORD dst_unused:UNUSED_PAD src0_sel:DWORD src1_sel:BYTE_1
	v_lshrrev_b32_e32 v0, 28, v0
	v_mad_u32_u24 v1, v0, 12, v2
	; wave barrier
	ds_read_b32 v32, v1 offset:8
	v_and_b32_e32 v1, 1, v0
	v_add_co_u32_e32 v12, vcc, -1, v1
	v_addc_co_u32_e64 v34, s[22:23], 0, -1, vcc
	v_cmp_ne_u32_e32 vcc, 0, v1
	v_xor_b32_e32 v12, vcc_lo, v12
	v_xor_b32_e32 v1, vcc_hi, v34
	v_and_b32_e32 v34, exec_lo, v12
	v_lshlrev_b32_e32 v12, 30, v0
	v_cmp_gt_i64_e32 vcc, 0, v[11:12]
	v_not_b32_e32 v12, v12
	v_ashrrev_i32_e32 v12, 31, v12
	v_xor_b32_e32 v35, vcc_hi, v12
	v_xor_b32_e32 v12, vcc_lo, v12
	v_and_b32_e32 v34, v34, v12
	v_lshlrev_b32_e32 v12, 29, v0
	v_cmp_gt_i64_e32 vcc, 0, v[11:12]
	v_not_b32_e32 v12, v12
	v_and_b32_e32 v1, exec_hi, v1
	v_ashrrev_i32_e32 v12, 31, v12
	v_and_b32_e32 v1, v1, v35
	v_xor_b32_e32 v35, vcc_hi, v12
	v_xor_b32_e32 v12, vcc_lo, v12
	v_and_b32_e32 v34, v34, v12
	v_lshlrev_b32_e32 v12, 28, v0
	v_mul_u32_u24_e32 v33, 12, v0
	v_cmp_gt_i64_e32 vcc, 0, v[11:12]
	v_not_b32_e32 v0, v12
	v_ashrrev_i32_e32 v0, 31, v0
	v_xor_b32_e32 v12, vcc_hi, v0
	v_xor_b32_e32 v0, vcc_lo, v0
	v_and_b32_e32 v1, v1, v35
	v_and_b32_e32 v0, v34, v0
	;; [unrolled: 1-line block ×3, first 2 shown]
	v_mbcnt_lo_u32_b32 v12, v0, 0
	v_mbcnt_hi_u32_b32 v34, v1, v12
	v_cmp_ne_u64_e32 vcc, 0, v[0:1]
	v_cmp_eq_u32_e64 s[22:23], 0, v34
	s_and_b64 s[34:35], vcc, s[22:23]
	; wave barrier
	s_and_saveexec_b64 s[22:23], s[34:35]
	s_cbranch_execz .LBB59_16
; %bb.15:                               ;   in Loop: Header=BB59_4 Depth=2
	v_bcnt_u32_b32 v0, v0, 0
	v_bcnt_u32_b32 v0, v1, v0
	s_waitcnt lgkmcnt(0)
	v_add_u32_e32 v0, v32, v0
	v_add_u32_e32 v1, v2, v33
	ds_write_b32 v1, v0 offset:8
.LBB59_16:                              ;   in Loop: Header=BB59_4 Depth=2
	s_or_b64 exec, exec, s[22:23]
	v_lshlrev_b32_sdwa v0, s31, v4 dst_sel:DWORD dst_unused:UNUSED_PAD src0_sel:DWORD src1_sel:BYTE_2
	v_lshrrev_b32_e32 v0, 28, v0
	v_mad_u32_u24 v1, v0, 12, v2
	; wave barrier
	ds_read_b32 v35, v1 offset:8
	v_and_b32_e32 v1, 1, v0
	v_add_co_u32_e32 v12, vcc, -1, v1
	v_addc_co_u32_e64 v37, s[22:23], 0, -1, vcc
	v_cmp_ne_u32_e32 vcc, 0, v1
	v_xor_b32_e32 v12, vcc_lo, v12
	v_xor_b32_e32 v1, vcc_hi, v37
	v_and_b32_e32 v37, exec_lo, v12
	v_lshlrev_b32_e32 v12, 30, v0
	v_cmp_gt_i64_e32 vcc, 0, v[11:12]
	v_not_b32_e32 v12, v12
	v_ashrrev_i32_e32 v12, 31, v12
	v_xor_b32_e32 v38, vcc_hi, v12
	v_xor_b32_e32 v12, vcc_lo, v12
	v_and_b32_e32 v37, v37, v12
	v_lshlrev_b32_e32 v12, 29, v0
	v_cmp_gt_i64_e32 vcc, 0, v[11:12]
	v_not_b32_e32 v12, v12
	v_and_b32_e32 v1, exec_hi, v1
	v_ashrrev_i32_e32 v12, 31, v12
	v_and_b32_e32 v1, v1, v38
	v_xor_b32_e32 v38, vcc_hi, v12
	v_xor_b32_e32 v12, vcc_lo, v12
	v_and_b32_e32 v37, v37, v12
	v_lshlrev_b32_e32 v12, 28, v0
	v_mul_u32_u24_e32 v36, 12, v0
	v_cmp_gt_i64_e32 vcc, 0, v[11:12]
	v_not_b32_e32 v0, v12
	v_ashrrev_i32_e32 v0, 31, v0
	v_xor_b32_e32 v12, vcc_hi, v0
	v_xor_b32_e32 v0, vcc_lo, v0
	v_and_b32_e32 v1, v1, v38
	v_and_b32_e32 v0, v37, v0
	;; [unrolled: 1-line block ×3, first 2 shown]
	v_mbcnt_lo_u32_b32 v12, v0, 0
	v_mbcnt_hi_u32_b32 v37, v1, v12
	v_cmp_ne_u64_e32 vcc, 0, v[0:1]
	v_cmp_eq_u32_e64 s[22:23], 0, v37
	s_and_b64 s[34:35], vcc, s[22:23]
	; wave barrier
	s_and_saveexec_b64 s[22:23], s[34:35]
	s_cbranch_execz .LBB59_18
; %bb.17:                               ;   in Loop: Header=BB59_4 Depth=2
	v_bcnt_u32_b32 v0, v0, 0
	v_bcnt_u32_b32 v0, v1, v0
	s_waitcnt lgkmcnt(0)
	v_add_u32_e32 v0, v35, v0
	v_add_u32_e32 v1, v2, v36
	ds_write_b32 v1, v0 offset:8
.LBB59_18:                              ;   in Loop: Header=BB59_4 Depth=2
	s_or_b64 exec, exec, s[22:23]
	v_lshlrev_b32_sdwa v0, s31, v4 dst_sel:DWORD dst_unused:UNUSED_PAD src0_sel:DWORD src1_sel:BYTE_3
	v_lshrrev_b32_e32 v0, 28, v0
	v_mad_u32_u24 v1, v0, 12, v2
	; wave barrier
	ds_read_b32 v38, v1 offset:8
	v_and_b32_e32 v1, 1, v0
	v_add_co_u32_e32 v12, vcc, -1, v1
	v_addc_co_u32_e64 v39, s[22:23], 0, -1, vcc
	v_cmp_ne_u32_e32 vcc, 0, v1
	v_xor_b32_e32 v12, vcc_lo, v12
	v_xor_b32_e32 v1, vcc_hi, v39
	v_and_b32_e32 v39, exec_lo, v12
	v_lshlrev_b32_e32 v12, 30, v0
	v_cmp_gt_i64_e32 vcc, 0, v[11:12]
	v_not_b32_e32 v12, v12
	v_ashrrev_i32_e32 v12, 31, v12
	v_xor_b32_e32 v41, vcc_hi, v12
	v_xor_b32_e32 v12, vcc_lo, v12
	v_and_b32_e32 v39, v39, v12
	v_lshlrev_b32_e32 v12, 29, v0
	v_cmp_gt_i64_e32 vcc, 0, v[11:12]
	v_not_b32_e32 v12, v12
	v_and_b32_e32 v1, exec_hi, v1
	v_ashrrev_i32_e32 v12, 31, v12
	v_and_b32_e32 v1, v1, v41
	v_xor_b32_e32 v41, vcc_hi, v12
	v_xor_b32_e32 v12, vcc_lo, v12
	v_and_b32_e32 v39, v39, v12
	v_lshlrev_b32_e32 v12, 28, v0
	v_mul_u32_u24_e32 v40, 12, v0
	v_cmp_gt_i64_e32 vcc, 0, v[11:12]
	v_not_b32_e32 v0, v12
	v_ashrrev_i32_e32 v0, 31, v0
	v_xor_b32_e32 v12, vcc_hi, v0
	v_xor_b32_e32 v0, vcc_lo, v0
	v_and_b32_e32 v1, v1, v41
	v_and_b32_e32 v0, v39, v0
	;; [unrolled: 1-line block ×3, first 2 shown]
	v_mbcnt_lo_u32_b32 v12, v0, 0
	v_mbcnt_hi_u32_b32 v41, v1, v12
	v_cmp_ne_u64_e32 vcc, 0, v[0:1]
	v_cmp_eq_u32_e64 s[22:23], 0, v41
	s_and_b64 s[34:35], vcc, s[22:23]
	; wave barrier
	s_and_saveexec_b64 s[22:23], s[34:35]
	s_cbranch_execz .LBB59_20
; %bb.19:                               ;   in Loop: Header=BB59_4 Depth=2
	v_bcnt_u32_b32 v0, v0, 0
	v_bcnt_u32_b32 v0, v1, v0
	s_waitcnt lgkmcnt(0)
	v_add_u32_e32 v0, v38, v0
	v_add_u32_e32 v1, v2, v40
	ds_write_b32 v1, v0 offset:8
.LBB59_20:                              ;   in Loop: Header=BB59_4 Depth=2
	s_or_b64 exec, exec, s[22:23]
	v_lshlrev_b32_sdwa v0, s31, v5 dst_sel:DWORD dst_unused:UNUSED_PAD src0_sel:DWORD src1_sel:BYTE_0
	v_lshrrev_b32_e32 v0, 28, v0
	v_mad_u32_u24 v1, v0, 12, v2
	; wave barrier
	ds_read_b32 v39, v1 offset:8
	v_and_b32_e32 v1, 1, v0
	v_add_co_u32_e32 v12, vcc, -1, v1
	v_addc_co_u32_e64 v43, s[22:23], 0, -1, vcc
	v_cmp_ne_u32_e32 vcc, 0, v1
	v_xor_b32_e32 v12, vcc_lo, v12
	v_xor_b32_e32 v1, vcc_hi, v43
	v_and_b32_e32 v43, exec_lo, v12
	v_lshlrev_b32_e32 v12, 30, v0
	v_cmp_gt_i64_e32 vcc, 0, v[11:12]
	v_not_b32_e32 v12, v12
	v_ashrrev_i32_e32 v12, 31, v12
	v_xor_b32_e32 v44, vcc_hi, v12
	v_xor_b32_e32 v12, vcc_lo, v12
	v_and_b32_e32 v43, v43, v12
	v_lshlrev_b32_e32 v12, 29, v0
	v_cmp_gt_i64_e32 vcc, 0, v[11:12]
	v_not_b32_e32 v12, v12
	v_and_b32_e32 v1, exec_hi, v1
	v_ashrrev_i32_e32 v12, 31, v12
	v_and_b32_e32 v1, v1, v44
	v_xor_b32_e32 v44, vcc_hi, v12
	v_xor_b32_e32 v12, vcc_lo, v12
	v_and_b32_e32 v43, v43, v12
	v_lshlrev_b32_e32 v12, 28, v0
	v_mul_u32_u24_e32 v42, 12, v0
	v_cmp_gt_i64_e32 vcc, 0, v[11:12]
	v_not_b32_e32 v0, v12
	v_ashrrev_i32_e32 v0, 31, v0
	v_xor_b32_e32 v12, vcc_hi, v0
	v_xor_b32_e32 v0, vcc_lo, v0
	v_and_b32_e32 v1, v1, v44
	v_and_b32_e32 v0, v43, v0
	;; [unrolled: 1-line block ×3, first 2 shown]
	v_mbcnt_lo_u32_b32 v12, v0, 0
	v_mbcnt_hi_u32_b32 v43, v1, v12
	v_cmp_ne_u64_e32 vcc, 0, v[0:1]
	v_cmp_eq_u32_e64 s[22:23], 0, v43
	s_and_b64 s[34:35], vcc, s[22:23]
	; wave barrier
	s_and_saveexec_b64 s[22:23], s[34:35]
	s_cbranch_execz .LBB59_22
; %bb.21:                               ;   in Loop: Header=BB59_4 Depth=2
	v_bcnt_u32_b32 v0, v0, 0
	v_bcnt_u32_b32 v0, v1, v0
	s_waitcnt lgkmcnt(0)
	v_add_u32_e32 v0, v39, v0
	v_add_u32_e32 v1, v2, v42
	ds_write_b32 v1, v0 offset:8
.LBB59_22:                              ;   in Loop: Header=BB59_4 Depth=2
	s_or_b64 exec, exec, s[22:23]
	v_lshlrev_b32_sdwa v0, s31, v5 dst_sel:DWORD dst_unused:UNUSED_PAD src0_sel:DWORD src1_sel:BYTE_1
	v_lshrrev_b32_e32 v0, 28, v0
	v_mad_u32_u24 v1, v0, 12, v2
	; wave barrier
	ds_read_b32 v44, v1 offset:8
	v_and_b32_e32 v1, 1, v0
	v_add_co_u32_e32 v12, vcc, -1, v1
	v_addc_co_u32_e64 v46, s[22:23], 0, -1, vcc
	v_cmp_ne_u32_e32 vcc, 0, v1
	v_xor_b32_e32 v12, vcc_lo, v12
	v_xor_b32_e32 v1, vcc_hi, v46
	v_and_b32_e32 v46, exec_lo, v12
	v_lshlrev_b32_e32 v12, 30, v0
	v_cmp_gt_i64_e32 vcc, 0, v[11:12]
	v_not_b32_e32 v12, v12
	v_ashrrev_i32_e32 v12, 31, v12
	v_xor_b32_e32 v47, vcc_hi, v12
	v_xor_b32_e32 v12, vcc_lo, v12
	v_and_b32_e32 v46, v46, v12
	v_lshlrev_b32_e32 v12, 29, v0
	v_cmp_gt_i64_e32 vcc, 0, v[11:12]
	v_not_b32_e32 v12, v12
	v_and_b32_e32 v1, exec_hi, v1
	v_ashrrev_i32_e32 v12, 31, v12
	v_and_b32_e32 v1, v1, v47
	v_xor_b32_e32 v47, vcc_hi, v12
	v_xor_b32_e32 v12, vcc_lo, v12
	v_and_b32_e32 v46, v46, v12
	v_lshlrev_b32_e32 v12, 28, v0
	v_mul_u32_u24_e32 v45, 12, v0
	v_cmp_gt_i64_e32 vcc, 0, v[11:12]
	v_not_b32_e32 v0, v12
	v_ashrrev_i32_e32 v0, 31, v0
	v_xor_b32_e32 v12, vcc_hi, v0
	v_xor_b32_e32 v0, vcc_lo, v0
	v_and_b32_e32 v1, v1, v47
	v_and_b32_e32 v0, v46, v0
	;; [unrolled: 1-line block ×3, first 2 shown]
	v_mbcnt_lo_u32_b32 v12, v0, 0
	v_mbcnt_hi_u32_b32 v46, v1, v12
	v_cmp_ne_u64_e32 vcc, 0, v[0:1]
	v_cmp_eq_u32_e64 s[22:23], 0, v46
	s_and_b64 s[34:35], vcc, s[22:23]
	; wave barrier
	s_and_saveexec_b64 s[22:23], s[34:35]
	s_cbranch_execz .LBB59_24
; %bb.23:                               ;   in Loop: Header=BB59_4 Depth=2
	v_bcnt_u32_b32 v0, v0, 0
	v_bcnt_u32_b32 v0, v1, v0
	s_waitcnt lgkmcnt(0)
	v_add_u32_e32 v0, v44, v0
	v_add_u32_e32 v1, v2, v45
	ds_write_b32 v1, v0 offset:8
.LBB59_24:                              ;   in Loop: Header=BB59_4 Depth=2
	s_or_b64 exec, exec, s[22:23]
	v_lshlrev_b32_sdwa v0, s31, v5 dst_sel:DWORD dst_unused:UNUSED_PAD src0_sel:DWORD src1_sel:BYTE_2
	v_lshrrev_b32_e32 v0, 28, v0
	v_mad_u32_u24 v1, v0, 12, v2
	; wave barrier
	ds_read_b32 v47, v1 offset:8
	v_and_b32_e32 v1, 1, v0
	v_add_co_u32_e32 v12, vcc, -1, v1
	v_addc_co_u32_e64 v49, s[22:23], 0, -1, vcc
	v_cmp_ne_u32_e32 vcc, 0, v1
	v_xor_b32_e32 v12, vcc_lo, v12
	v_xor_b32_e32 v1, vcc_hi, v49
	v_and_b32_e32 v49, exec_lo, v12
	v_lshlrev_b32_e32 v12, 30, v0
	v_cmp_gt_i64_e32 vcc, 0, v[11:12]
	v_not_b32_e32 v12, v12
	v_ashrrev_i32_e32 v12, 31, v12
	v_xor_b32_e32 v50, vcc_hi, v12
	v_xor_b32_e32 v12, vcc_lo, v12
	v_and_b32_e32 v49, v49, v12
	v_lshlrev_b32_e32 v12, 29, v0
	v_cmp_gt_i64_e32 vcc, 0, v[11:12]
	v_not_b32_e32 v12, v12
	v_and_b32_e32 v1, exec_hi, v1
	v_ashrrev_i32_e32 v12, 31, v12
	v_and_b32_e32 v1, v1, v50
	v_xor_b32_e32 v50, vcc_hi, v12
	v_xor_b32_e32 v12, vcc_lo, v12
	v_and_b32_e32 v49, v49, v12
	v_lshlrev_b32_e32 v12, 28, v0
	v_mul_u32_u24_e32 v48, 12, v0
	v_cmp_gt_i64_e32 vcc, 0, v[11:12]
	v_not_b32_e32 v0, v12
	v_ashrrev_i32_e32 v0, 31, v0
	v_xor_b32_e32 v12, vcc_hi, v0
	v_xor_b32_e32 v0, vcc_lo, v0
	v_and_b32_e32 v1, v1, v50
	v_and_b32_e32 v0, v49, v0
	;; [unrolled: 1-line block ×3, first 2 shown]
	v_mbcnt_lo_u32_b32 v12, v0, 0
	v_mbcnt_hi_u32_b32 v49, v1, v12
	v_cmp_ne_u64_e32 vcc, 0, v[0:1]
	v_cmp_eq_u32_e64 s[22:23], 0, v49
	s_and_b64 s[34:35], vcc, s[22:23]
	; wave barrier
	s_and_saveexec_b64 s[22:23], s[34:35]
	s_cbranch_execz .LBB59_26
; %bb.25:                               ;   in Loop: Header=BB59_4 Depth=2
	v_bcnt_u32_b32 v0, v0, 0
	v_bcnt_u32_b32 v0, v1, v0
	s_waitcnt lgkmcnt(0)
	v_add_u32_e32 v0, v47, v0
	v_add_u32_e32 v1, v2, v48
	ds_write_b32 v1, v0 offset:8
.LBB59_26:                              ;   in Loop: Header=BB59_4 Depth=2
	s_or_b64 exec, exec, s[22:23]
	v_lshlrev_b32_sdwa v0, s31, v5 dst_sel:DWORD dst_unused:UNUSED_PAD src0_sel:DWORD src1_sel:BYTE_3
	v_lshrrev_b32_e32 v0, 28, v0
	v_mad_u32_u24 v1, v0, 12, v2
	; wave barrier
	ds_read_b32 v50, v1 offset:8
	v_and_b32_e32 v1, 1, v0
	v_add_co_u32_e32 v12, vcc, -1, v1
	v_addc_co_u32_e64 v52, s[22:23], 0, -1, vcc
	v_cmp_ne_u32_e32 vcc, 0, v1
	v_xor_b32_e32 v12, vcc_lo, v12
	v_xor_b32_e32 v1, vcc_hi, v52
	v_and_b32_e32 v52, exec_lo, v12
	v_lshlrev_b32_e32 v12, 30, v0
	v_cmp_gt_i64_e32 vcc, 0, v[11:12]
	v_not_b32_e32 v12, v12
	v_ashrrev_i32_e32 v12, 31, v12
	v_xor_b32_e32 v53, vcc_hi, v12
	v_xor_b32_e32 v12, vcc_lo, v12
	v_and_b32_e32 v52, v52, v12
	v_lshlrev_b32_e32 v12, 29, v0
	v_cmp_gt_i64_e32 vcc, 0, v[11:12]
	v_not_b32_e32 v12, v12
	v_and_b32_e32 v1, exec_hi, v1
	v_ashrrev_i32_e32 v12, 31, v12
	v_and_b32_e32 v1, v1, v53
	v_xor_b32_e32 v53, vcc_hi, v12
	v_xor_b32_e32 v12, vcc_lo, v12
	v_and_b32_e32 v52, v52, v12
	v_lshlrev_b32_e32 v12, 28, v0
	v_mul_u32_u24_e32 v51, 12, v0
	v_cmp_gt_i64_e32 vcc, 0, v[11:12]
	v_not_b32_e32 v0, v12
	v_ashrrev_i32_e32 v0, 31, v0
	v_xor_b32_e32 v12, vcc_hi, v0
	v_xor_b32_e32 v0, vcc_lo, v0
	v_and_b32_e32 v1, v1, v53
	v_and_b32_e32 v0, v52, v0
	;; [unrolled: 1-line block ×3, first 2 shown]
	v_mbcnt_lo_u32_b32 v12, v0, 0
	v_mbcnt_hi_u32_b32 v52, v1, v12
	v_cmp_ne_u64_e32 vcc, 0, v[0:1]
	v_cmp_eq_u32_e64 s[22:23], 0, v52
	s_and_b64 s[34:35], vcc, s[22:23]
	; wave barrier
	s_and_saveexec_b64 s[22:23], s[34:35]
	s_cbranch_execz .LBB59_28
; %bb.27:                               ;   in Loop: Header=BB59_4 Depth=2
	v_bcnt_u32_b32 v0, v0, 0
	v_bcnt_u32_b32 v0, v1, v0
	s_waitcnt lgkmcnt(0)
	v_add_u32_e32 v0, v50, v0
	v_add_u32_e32 v1, v2, v51
	ds_write_b32 v1, v0 offset:8
.LBB59_28:                              ;   in Loop: Header=BB59_4 Depth=2
	s_or_b64 exec, exec, s[22:23]
	v_lshlrev_b32_sdwa v0, s31, v6 dst_sel:DWORD dst_unused:UNUSED_PAD src0_sel:DWORD src1_sel:BYTE_0
	v_lshrrev_b32_e32 v0, 28, v0
	v_mad_u32_u24 v1, v0, 12, v2
	; wave barrier
	ds_read_b32 v53, v1 offset:8
	v_and_b32_e32 v1, 1, v0
	v_add_co_u32_e32 v12, vcc, -1, v1
	v_addc_co_u32_e64 v55, s[22:23], 0, -1, vcc
	v_cmp_ne_u32_e32 vcc, 0, v1
	v_xor_b32_e32 v12, vcc_lo, v12
	v_xor_b32_e32 v1, vcc_hi, v55
	v_and_b32_e32 v55, exec_lo, v12
	v_lshlrev_b32_e32 v12, 30, v0
	v_cmp_gt_i64_e32 vcc, 0, v[11:12]
	v_not_b32_e32 v12, v12
	v_ashrrev_i32_e32 v12, 31, v12
	v_xor_b32_e32 v56, vcc_hi, v12
	v_xor_b32_e32 v12, vcc_lo, v12
	v_and_b32_e32 v55, v55, v12
	v_lshlrev_b32_e32 v12, 29, v0
	v_cmp_gt_i64_e32 vcc, 0, v[11:12]
	v_not_b32_e32 v12, v12
	v_and_b32_e32 v1, exec_hi, v1
	v_ashrrev_i32_e32 v12, 31, v12
	v_and_b32_e32 v1, v1, v56
	v_xor_b32_e32 v56, vcc_hi, v12
	v_xor_b32_e32 v12, vcc_lo, v12
	v_and_b32_e32 v55, v55, v12
	v_lshlrev_b32_e32 v12, 28, v0
	v_mul_u32_u24_e32 v54, 12, v0
	v_cmp_gt_i64_e32 vcc, 0, v[11:12]
	v_not_b32_e32 v0, v12
	v_ashrrev_i32_e32 v0, 31, v0
	v_xor_b32_e32 v12, vcc_hi, v0
	v_xor_b32_e32 v0, vcc_lo, v0
	v_and_b32_e32 v1, v1, v56
	v_and_b32_e32 v0, v55, v0
	;; [unrolled: 1-line block ×3, first 2 shown]
	v_mbcnt_lo_u32_b32 v12, v0, 0
	v_mbcnt_hi_u32_b32 v55, v1, v12
	v_cmp_ne_u64_e32 vcc, 0, v[0:1]
	v_cmp_eq_u32_e64 s[22:23], 0, v55
	s_and_b64 s[34:35], vcc, s[22:23]
	; wave barrier
	s_and_saveexec_b64 s[22:23], s[34:35]
	s_cbranch_execz .LBB59_30
; %bb.29:                               ;   in Loop: Header=BB59_4 Depth=2
	v_bcnt_u32_b32 v0, v0, 0
	v_bcnt_u32_b32 v0, v1, v0
	s_waitcnt lgkmcnt(0)
	v_add_u32_e32 v0, v53, v0
	v_add_u32_e32 v1, v2, v54
	ds_write_b32 v1, v0 offset:8
.LBB59_30:                              ;   in Loop: Header=BB59_4 Depth=2
	s_or_b64 exec, exec, s[22:23]
	v_lshlrev_b32_sdwa v0, s31, v6 dst_sel:DWORD dst_unused:UNUSED_PAD src0_sel:DWORD src1_sel:BYTE_1
	v_lshrrev_b32_e32 v0, 28, v0
	v_mad_u32_u24 v1, v0, 12, v2
	; wave barrier
	ds_read_b32 v56, v1 offset:8
	v_and_b32_e32 v1, 1, v0
	v_add_co_u32_e32 v12, vcc, -1, v1
	v_addc_co_u32_e64 v58, s[22:23], 0, -1, vcc
	v_cmp_ne_u32_e32 vcc, 0, v1
	v_xor_b32_e32 v12, vcc_lo, v12
	v_xor_b32_e32 v1, vcc_hi, v58
	v_and_b32_e32 v58, exec_lo, v12
	v_lshlrev_b32_e32 v12, 30, v0
	v_cmp_gt_i64_e32 vcc, 0, v[11:12]
	v_not_b32_e32 v12, v12
	v_ashrrev_i32_e32 v12, 31, v12
	v_xor_b32_e32 v59, vcc_hi, v12
	v_xor_b32_e32 v12, vcc_lo, v12
	v_and_b32_e32 v58, v58, v12
	v_lshlrev_b32_e32 v12, 29, v0
	v_cmp_gt_i64_e32 vcc, 0, v[11:12]
	v_not_b32_e32 v12, v12
	v_and_b32_e32 v1, exec_hi, v1
	v_ashrrev_i32_e32 v12, 31, v12
	v_and_b32_e32 v1, v1, v59
	v_xor_b32_e32 v59, vcc_hi, v12
	v_xor_b32_e32 v12, vcc_lo, v12
	v_and_b32_e32 v58, v58, v12
	v_lshlrev_b32_e32 v12, 28, v0
	v_mul_u32_u24_e32 v57, 12, v0
	v_cmp_gt_i64_e32 vcc, 0, v[11:12]
	v_not_b32_e32 v0, v12
	v_ashrrev_i32_e32 v0, 31, v0
	v_xor_b32_e32 v12, vcc_hi, v0
	v_xor_b32_e32 v0, vcc_lo, v0
	v_and_b32_e32 v1, v1, v59
	v_and_b32_e32 v0, v58, v0
	;; [unrolled: 1-line block ×3, first 2 shown]
	v_mbcnt_lo_u32_b32 v12, v0, 0
	v_mbcnt_hi_u32_b32 v58, v1, v12
	v_cmp_ne_u64_e32 vcc, 0, v[0:1]
	v_cmp_eq_u32_e64 s[22:23], 0, v58
	s_and_b64 s[34:35], vcc, s[22:23]
	; wave barrier
	s_and_saveexec_b64 s[22:23], s[34:35]
	s_cbranch_execz .LBB59_32
; %bb.31:                               ;   in Loop: Header=BB59_4 Depth=2
	v_bcnt_u32_b32 v0, v0, 0
	v_bcnt_u32_b32 v0, v1, v0
	s_waitcnt lgkmcnt(0)
	v_add_u32_e32 v0, v56, v0
	v_add_u32_e32 v1, v2, v57
	ds_write_b32 v1, v0 offset:8
.LBB59_32:                              ;   in Loop: Header=BB59_4 Depth=2
	s_or_b64 exec, exec, s[22:23]
	v_lshlrev_b32_sdwa v0, s31, v6 dst_sel:DWORD dst_unused:UNUSED_PAD src0_sel:DWORD src1_sel:BYTE_2
	v_lshrrev_b32_e32 v0, 28, v0
	v_mad_u32_u24 v1, v0, 12, v2
	; wave barrier
	ds_read_b32 v59, v1 offset:8
	v_and_b32_e32 v1, 1, v0
	v_add_co_u32_e32 v12, vcc, -1, v1
	v_addc_co_u32_e64 v61, s[22:23], 0, -1, vcc
	v_cmp_ne_u32_e32 vcc, 0, v1
	v_xor_b32_e32 v12, vcc_lo, v12
	v_xor_b32_e32 v1, vcc_hi, v61
	v_and_b32_e32 v61, exec_lo, v12
	v_lshlrev_b32_e32 v12, 30, v0
	v_cmp_gt_i64_e32 vcc, 0, v[11:12]
	v_not_b32_e32 v12, v12
	v_ashrrev_i32_e32 v12, 31, v12
	v_xor_b32_e32 v62, vcc_hi, v12
	v_xor_b32_e32 v12, vcc_lo, v12
	v_and_b32_e32 v61, v61, v12
	v_lshlrev_b32_e32 v12, 29, v0
	v_cmp_gt_i64_e32 vcc, 0, v[11:12]
	v_not_b32_e32 v12, v12
	v_and_b32_e32 v1, exec_hi, v1
	v_ashrrev_i32_e32 v12, 31, v12
	v_and_b32_e32 v1, v1, v62
	v_xor_b32_e32 v62, vcc_hi, v12
	v_xor_b32_e32 v12, vcc_lo, v12
	v_and_b32_e32 v61, v61, v12
	v_lshlrev_b32_e32 v12, 28, v0
	v_mul_u32_u24_e32 v60, 12, v0
	v_cmp_gt_i64_e32 vcc, 0, v[11:12]
	v_not_b32_e32 v0, v12
	v_ashrrev_i32_e32 v0, 31, v0
	v_xor_b32_e32 v12, vcc_hi, v0
	v_xor_b32_e32 v0, vcc_lo, v0
	v_and_b32_e32 v1, v1, v62
	v_and_b32_e32 v0, v61, v0
	;; [unrolled: 1-line block ×3, first 2 shown]
	v_mbcnt_lo_u32_b32 v12, v0, 0
	v_mbcnt_hi_u32_b32 v61, v1, v12
	v_cmp_ne_u64_e32 vcc, 0, v[0:1]
	v_cmp_eq_u32_e64 s[22:23], 0, v61
	s_and_b64 s[34:35], vcc, s[22:23]
	; wave barrier
	s_and_saveexec_b64 s[22:23], s[34:35]
	s_cbranch_execz .LBB59_34
; %bb.33:                               ;   in Loop: Header=BB59_4 Depth=2
	v_bcnt_u32_b32 v0, v0, 0
	v_bcnt_u32_b32 v0, v1, v0
	s_waitcnt lgkmcnt(0)
	v_add_u32_e32 v0, v59, v0
	v_add_u32_e32 v1, v2, v60
	ds_write_b32 v1, v0 offset:8
.LBB59_34:                              ;   in Loop: Header=BB59_4 Depth=2
	s_or_b64 exec, exec, s[22:23]
	v_lshlrev_b32_sdwa v0, s31, v6 dst_sel:DWORD dst_unused:UNUSED_PAD src0_sel:DWORD src1_sel:BYTE_3
	v_lshrrev_b32_e32 v0, 28, v0
	v_mad_u32_u24 v1, v0, 12, v2
	; wave barrier
	ds_read_b32 v62, v1 offset:8
	v_and_b32_e32 v1, 1, v0
	v_add_co_u32_e32 v12, vcc, -1, v1
	v_addc_co_u32_e64 v63, s[22:23], 0, -1, vcc
	v_cmp_ne_u32_e32 vcc, 0, v1
	v_xor_b32_e32 v12, vcc_lo, v12
	v_xor_b32_e32 v1, vcc_hi, v63
	v_and_b32_e32 v63, exec_lo, v12
	v_lshlrev_b32_e32 v12, 30, v0
	v_cmp_gt_i64_e32 vcc, 0, v[11:12]
	v_not_b32_e32 v12, v12
	v_ashrrev_i32_e32 v12, 31, v12
	v_xor_b32_e32 v65, vcc_hi, v12
	v_xor_b32_e32 v12, vcc_lo, v12
	v_and_b32_e32 v63, v63, v12
	v_lshlrev_b32_e32 v12, 29, v0
	v_cmp_gt_i64_e32 vcc, 0, v[11:12]
	v_not_b32_e32 v12, v12
	v_and_b32_e32 v1, exec_hi, v1
	v_ashrrev_i32_e32 v12, 31, v12
	v_and_b32_e32 v1, v1, v65
	v_xor_b32_e32 v65, vcc_hi, v12
	v_xor_b32_e32 v12, vcc_lo, v12
	v_and_b32_e32 v63, v63, v12
	v_lshlrev_b32_e32 v12, 28, v0
	v_mul_u32_u24_e32 v64, 12, v0
	v_cmp_gt_i64_e32 vcc, 0, v[11:12]
	v_not_b32_e32 v0, v12
	v_ashrrev_i32_e32 v0, 31, v0
	v_xor_b32_e32 v12, vcc_hi, v0
	v_xor_b32_e32 v0, vcc_lo, v0
	v_and_b32_e32 v1, v1, v65
	v_and_b32_e32 v0, v63, v0
	;; [unrolled: 1-line block ×3, first 2 shown]
	v_mbcnt_lo_u32_b32 v12, v0, 0
	v_mbcnt_hi_u32_b32 v66, v1, v12
	v_cmp_ne_u64_e32 vcc, 0, v[0:1]
	v_cmp_eq_u32_e64 s[22:23], 0, v66
	s_and_b64 s[34:35], vcc, s[22:23]
	; wave barrier
	s_and_saveexec_b64 s[22:23], s[34:35]
	s_cbranch_execz .LBB59_36
; %bb.35:                               ;   in Loop: Header=BB59_4 Depth=2
	v_bcnt_u32_b32 v0, v0, 0
	v_bcnt_u32_b32 v0, v1, v0
	s_waitcnt lgkmcnt(0)
	v_add_u32_e32 v0, v62, v0
	v_add_u32_e32 v1, v2, v64
	ds_write_b32 v1, v0 offset:8
.LBB59_36:                              ;   in Loop: Header=BB59_4 Depth=2
	s_or_b64 exec, exec, s[22:23]
	v_lshlrev_b32_sdwa v0, s31, v7 dst_sel:DWORD dst_unused:UNUSED_PAD src0_sel:DWORD src1_sel:BYTE_0
	v_lshrrev_b32_e32 v0, 28, v0
	v_mad_u32_u24 v1, v0, 12, v2
	; wave barrier
	ds_read_b32 v63, v1 offset:8
	v_and_b32_e32 v1, 1, v0
	v_add_co_u32_e32 v12, vcc, -1, v1
	v_addc_co_u32_e64 v67, s[22:23], 0, -1, vcc
	v_cmp_ne_u32_e32 vcc, 0, v1
	v_xor_b32_e32 v12, vcc_lo, v12
	v_xor_b32_e32 v1, vcc_hi, v67
	v_and_b32_e32 v67, exec_lo, v12
	v_lshlrev_b32_e32 v12, 30, v0
	v_cmp_gt_i64_e32 vcc, 0, v[11:12]
	v_not_b32_e32 v12, v12
	v_ashrrev_i32_e32 v12, 31, v12
	v_xor_b32_e32 v68, vcc_hi, v12
	v_xor_b32_e32 v12, vcc_lo, v12
	v_and_b32_e32 v67, v67, v12
	v_lshlrev_b32_e32 v12, 29, v0
	v_cmp_gt_i64_e32 vcc, 0, v[11:12]
	v_not_b32_e32 v12, v12
	v_and_b32_e32 v1, exec_hi, v1
	v_ashrrev_i32_e32 v12, 31, v12
	v_and_b32_e32 v1, v1, v68
	v_xor_b32_e32 v68, vcc_hi, v12
	v_xor_b32_e32 v12, vcc_lo, v12
	v_and_b32_e32 v67, v67, v12
	v_lshlrev_b32_e32 v12, 28, v0
	v_mul_u32_u24_e32 v65, 12, v0
	v_cmp_gt_i64_e32 vcc, 0, v[11:12]
	v_not_b32_e32 v0, v12
	v_ashrrev_i32_e32 v0, 31, v0
	v_xor_b32_e32 v12, vcc_hi, v0
	v_xor_b32_e32 v0, vcc_lo, v0
	v_and_b32_e32 v1, v1, v68
	v_and_b32_e32 v0, v67, v0
	;; [unrolled: 1-line block ×3, first 2 shown]
	v_mbcnt_lo_u32_b32 v12, v0, 0
	v_mbcnt_hi_u32_b32 v67, v1, v12
	v_cmp_ne_u64_e32 vcc, 0, v[0:1]
	v_cmp_eq_u32_e64 s[22:23], 0, v67
	s_and_b64 s[34:35], vcc, s[22:23]
	; wave barrier
	s_and_saveexec_b64 s[22:23], s[34:35]
	s_cbranch_execz .LBB59_38
; %bb.37:                               ;   in Loop: Header=BB59_4 Depth=2
	v_bcnt_u32_b32 v0, v0, 0
	v_bcnt_u32_b32 v0, v1, v0
	s_waitcnt lgkmcnt(0)
	v_add_u32_e32 v0, v63, v0
	v_add_u32_e32 v1, v2, v65
	ds_write_b32 v1, v0 offset:8
.LBB59_38:                              ;   in Loop: Header=BB59_4 Depth=2
	s_or_b64 exec, exec, s[22:23]
	v_lshlrev_b32_sdwa v0, s31, v7 dst_sel:DWORD dst_unused:UNUSED_PAD src0_sel:DWORD src1_sel:BYTE_1
	v_lshrrev_b32_e32 v0, 28, v0
	v_mad_u32_u24 v1, v0, 12, v2
	; wave barrier
	ds_read_b32 v68, v1 offset:8
	v_and_b32_e32 v1, 1, v0
	v_add_co_u32_e32 v12, vcc, -1, v1
	v_addc_co_u32_e64 v70, s[22:23], 0, -1, vcc
	v_cmp_ne_u32_e32 vcc, 0, v1
	v_xor_b32_e32 v12, vcc_lo, v12
	v_xor_b32_e32 v1, vcc_hi, v70
	v_and_b32_e32 v70, exec_lo, v12
	v_lshlrev_b32_e32 v12, 30, v0
	v_cmp_gt_i64_e32 vcc, 0, v[11:12]
	v_not_b32_e32 v12, v12
	v_ashrrev_i32_e32 v12, 31, v12
	v_xor_b32_e32 v71, vcc_hi, v12
	v_xor_b32_e32 v12, vcc_lo, v12
	v_and_b32_e32 v70, v70, v12
	v_lshlrev_b32_e32 v12, 29, v0
	v_cmp_gt_i64_e32 vcc, 0, v[11:12]
	v_not_b32_e32 v12, v12
	v_and_b32_e32 v1, exec_hi, v1
	v_ashrrev_i32_e32 v12, 31, v12
	v_and_b32_e32 v1, v1, v71
	v_xor_b32_e32 v71, vcc_hi, v12
	v_xor_b32_e32 v12, vcc_lo, v12
	v_and_b32_e32 v70, v70, v12
	v_lshlrev_b32_e32 v12, 28, v0
	v_mul_u32_u24_e32 v69, 12, v0
	v_cmp_gt_i64_e32 vcc, 0, v[11:12]
	v_not_b32_e32 v0, v12
	v_ashrrev_i32_e32 v0, 31, v0
	v_xor_b32_e32 v12, vcc_hi, v0
	v_xor_b32_e32 v0, vcc_lo, v0
	v_and_b32_e32 v1, v1, v71
	v_and_b32_e32 v0, v70, v0
	;; [unrolled: 1-line block ×3, first 2 shown]
	v_mbcnt_lo_u32_b32 v12, v0, 0
	v_mbcnt_hi_u32_b32 v70, v1, v12
	v_cmp_ne_u64_e32 vcc, 0, v[0:1]
	v_cmp_eq_u32_e64 s[22:23], 0, v70
	s_and_b64 s[34:35], vcc, s[22:23]
	; wave barrier
	s_and_saveexec_b64 s[22:23], s[34:35]
	s_cbranch_execz .LBB59_40
; %bb.39:                               ;   in Loop: Header=BB59_4 Depth=2
	v_bcnt_u32_b32 v0, v0, 0
	v_bcnt_u32_b32 v0, v1, v0
	s_waitcnt lgkmcnt(0)
	v_add_u32_e32 v0, v68, v0
	v_add_u32_e32 v1, v2, v69
	ds_write_b32 v1, v0 offset:8
.LBB59_40:                              ;   in Loop: Header=BB59_4 Depth=2
	s_or_b64 exec, exec, s[22:23]
	v_lshlrev_b32_sdwa v0, s31, v7 dst_sel:DWORD dst_unused:UNUSED_PAD src0_sel:DWORD src1_sel:BYTE_2
	v_lshrrev_b32_e32 v0, 28, v0
	v_mad_u32_u24 v1, v0, 12, v2
	; wave barrier
	ds_read_b32 v71, v1 offset:8
	v_and_b32_e32 v1, 1, v0
	v_add_co_u32_e32 v12, vcc, -1, v1
	v_addc_co_u32_e64 v73, s[22:23], 0, -1, vcc
	v_cmp_ne_u32_e32 vcc, 0, v1
	v_xor_b32_e32 v12, vcc_lo, v12
	v_xor_b32_e32 v1, vcc_hi, v73
	v_and_b32_e32 v73, exec_lo, v12
	v_lshlrev_b32_e32 v12, 30, v0
	v_cmp_gt_i64_e32 vcc, 0, v[11:12]
	v_not_b32_e32 v12, v12
	v_ashrrev_i32_e32 v12, 31, v12
	v_xor_b32_e32 v74, vcc_hi, v12
	v_xor_b32_e32 v12, vcc_lo, v12
	v_and_b32_e32 v73, v73, v12
	v_lshlrev_b32_e32 v12, 29, v0
	v_cmp_gt_i64_e32 vcc, 0, v[11:12]
	v_not_b32_e32 v12, v12
	v_and_b32_e32 v1, exec_hi, v1
	v_ashrrev_i32_e32 v12, 31, v12
	v_and_b32_e32 v1, v1, v74
	v_xor_b32_e32 v74, vcc_hi, v12
	v_xor_b32_e32 v12, vcc_lo, v12
	v_and_b32_e32 v73, v73, v12
	v_lshlrev_b32_e32 v12, 28, v0
	v_mul_u32_u24_e32 v72, 12, v0
	v_cmp_gt_i64_e32 vcc, 0, v[11:12]
	v_not_b32_e32 v0, v12
	v_ashrrev_i32_e32 v0, 31, v0
	v_xor_b32_e32 v12, vcc_hi, v0
	v_xor_b32_e32 v0, vcc_lo, v0
	v_and_b32_e32 v1, v1, v74
	v_and_b32_e32 v0, v73, v0
	;; [unrolled: 1-line block ×3, first 2 shown]
	v_mbcnt_lo_u32_b32 v12, v0, 0
	v_mbcnt_hi_u32_b32 v73, v1, v12
	v_cmp_ne_u64_e32 vcc, 0, v[0:1]
	v_cmp_eq_u32_e64 s[22:23], 0, v73
	s_and_b64 s[34:35], vcc, s[22:23]
	; wave barrier
	s_and_saveexec_b64 s[22:23], s[34:35]
	s_cbranch_execz .LBB59_42
; %bb.41:                               ;   in Loop: Header=BB59_4 Depth=2
	v_bcnt_u32_b32 v0, v0, 0
	v_bcnt_u32_b32 v0, v1, v0
	s_waitcnt lgkmcnt(0)
	v_add_u32_e32 v0, v71, v0
	v_add_u32_e32 v1, v2, v72
	ds_write_b32 v1, v0 offset:8
.LBB59_42:                              ;   in Loop: Header=BB59_4 Depth=2
	s_or_b64 exec, exec, s[22:23]
	v_lshlrev_b32_sdwa v0, s31, v7 dst_sel:DWORD dst_unused:UNUSED_PAD src0_sel:DWORD src1_sel:BYTE_3
	v_lshrrev_b32_e32 v0, 28, v0
	v_mad_u32_u24 v1, v0, 12, v2
	; wave barrier
	ds_read_b32 v74, v1 offset:8
	v_and_b32_e32 v1, 1, v0
	v_add_co_u32_e32 v12, vcc, -1, v1
	v_addc_co_u32_e64 v76, s[22:23], 0, -1, vcc
	v_cmp_ne_u32_e32 vcc, 0, v1
	v_xor_b32_e32 v12, vcc_lo, v12
	v_xor_b32_e32 v1, vcc_hi, v76
	v_and_b32_e32 v76, exec_lo, v12
	v_lshlrev_b32_e32 v12, 30, v0
	v_cmp_gt_i64_e32 vcc, 0, v[11:12]
	v_not_b32_e32 v12, v12
	v_ashrrev_i32_e32 v12, 31, v12
	v_xor_b32_e32 v77, vcc_hi, v12
	v_xor_b32_e32 v12, vcc_lo, v12
	v_and_b32_e32 v76, v76, v12
	v_lshlrev_b32_e32 v12, 29, v0
	v_cmp_gt_i64_e32 vcc, 0, v[11:12]
	v_not_b32_e32 v12, v12
	v_and_b32_e32 v1, exec_hi, v1
	v_ashrrev_i32_e32 v12, 31, v12
	v_and_b32_e32 v1, v1, v77
	v_xor_b32_e32 v77, vcc_hi, v12
	v_xor_b32_e32 v12, vcc_lo, v12
	v_and_b32_e32 v76, v76, v12
	v_lshlrev_b32_e32 v12, 28, v0
	v_mul_u32_u24_e32 v75, 12, v0
	v_cmp_gt_i64_e32 vcc, 0, v[11:12]
	v_not_b32_e32 v0, v12
	v_ashrrev_i32_e32 v0, 31, v0
	v_xor_b32_e32 v12, vcc_hi, v0
	v_xor_b32_e32 v0, vcc_lo, v0
	v_and_b32_e32 v1, v1, v77
	v_and_b32_e32 v0, v76, v0
	;; [unrolled: 1-line block ×3, first 2 shown]
	v_mbcnt_lo_u32_b32 v12, v0, 0
	v_mbcnt_hi_u32_b32 v76, v1, v12
	v_cmp_ne_u64_e32 vcc, 0, v[0:1]
	v_cmp_eq_u32_e64 s[22:23], 0, v76
	s_and_b64 s[34:35], vcc, s[22:23]
	; wave barrier
	s_and_saveexec_b64 s[22:23], s[34:35]
	s_cbranch_execz .LBB59_44
; %bb.43:                               ;   in Loop: Header=BB59_4 Depth=2
	v_bcnt_u32_b32 v0, v0, 0
	v_bcnt_u32_b32 v0, v1, v0
	s_waitcnt lgkmcnt(0)
	v_add_u32_e32 v0, v74, v0
	v_add_u32_e32 v1, v2, v75
	ds_write_b32 v1, v0 offset:8
.LBB59_44:                              ;   in Loop: Header=BB59_4 Depth=2
	s_or_b64 exec, exec, s[22:23]
	v_lshlrev_b32_sdwa v0, s31, v8 dst_sel:DWORD dst_unused:UNUSED_PAD src0_sel:DWORD src1_sel:BYTE_0
	v_lshrrev_b32_e32 v0, 28, v0
	v_mad_u32_u24 v1, v0, 12, v2
	; wave barrier
	ds_read_b32 v77, v1 offset:8
	v_and_b32_e32 v1, 1, v0
	v_add_co_u32_e32 v12, vcc, -1, v1
	v_addc_co_u32_e64 v79, s[22:23], 0, -1, vcc
	v_cmp_ne_u32_e32 vcc, 0, v1
	v_xor_b32_e32 v12, vcc_lo, v12
	v_xor_b32_e32 v1, vcc_hi, v79
	v_and_b32_e32 v79, exec_lo, v12
	v_lshlrev_b32_e32 v12, 30, v0
	v_cmp_gt_i64_e32 vcc, 0, v[11:12]
	v_not_b32_e32 v12, v12
	v_ashrrev_i32_e32 v12, 31, v12
	v_xor_b32_e32 v80, vcc_hi, v12
	v_xor_b32_e32 v12, vcc_lo, v12
	v_and_b32_e32 v79, v79, v12
	v_lshlrev_b32_e32 v12, 29, v0
	v_cmp_gt_i64_e32 vcc, 0, v[11:12]
	v_not_b32_e32 v12, v12
	v_and_b32_e32 v1, exec_hi, v1
	v_ashrrev_i32_e32 v12, 31, v12
	v_and_b32_e32 v1, v1, v80
	v_xor_b32_e32 v80, vcc_hi, v12
	v_xor_b32_e32 v12, vcc_lo, v12
	v_and_b32_e32 v79, v79, v12
	v_lshlrev_b32_e32 v12, 28, v0
	v_mul_u32_u24_e32 v78, 12, v0
	v_cmp_gt_i64_e32 vcc, 0, v[11:12]
	v_not_b32_e32 v0, v12
	v_ashrrev_i32_e32 v0, 31, v0
	v_xor_b32_e32 v12, vcc_hi, v0
	v_xor_b32_e32 v0, vcc_lo, v0
	v_and_b32_e32 v1, v1, v80
	v_and_b32_e32 v0, v79, v0
	;; [unrolled: 1-line block ×3, first 2 shown]
	v_mbcnt_lo_u32_b32 v12, v0, 0
	v_mbcnt_hi_u32_b32 v79, v1, v12
	v_cmp_ne_u64_e32 vcc, 0, v[0:1]
	v_cmp_eq_u32_e64 s[22:23], 0, v79
	s_and_b64 s[34:35], vcc, s[22:23]
	; wave barrier
	s_and_saveexec_b64 s[22:23], s[34:35]
	s_cbranch_execz .LBB59_46
; %bb.45:                               ;   in Loop: Header=BB59_4 Depth=2
	v_bcnt_u32_b32 v0, v0, 0
	v_bcnt_u32_b32 v0, v1, v0
	s_waitcnt lgkmcnt(0)
	v_add_u32_e32 v0, v77, v0
	v_add_u32_e32 v1, v2, v78
	ds_write_b32 v1, v0 offset:8
.LBB59_46:                              ;   in Loop: Header=BB59_4 Depth=2
	s_or_b64 exec, exec, s[22:23]
	v_lshlrev_b32_sdwa v0, s31, v8 dst_sel:DWORD dst_unused:UNUSED_PAD src0_sel:DWORD src1_sel:BYTE_1
	v_lshrrev_b32_e32 v0, 28, v0
	v_mad_u32_u24 v1, v0, 12, v2
	; wave barrier
	ds_read_b32 v80, v1 offset:8
	v_and_b32_e32 v1, 1, v0
	v_add_co_u32_e32 v12, vcc, -1, v1
	v_addc_co_u32_e64 v82, s[22:23], 0, -1, vcc
	v_cmp_ne_u32_e32 vcc, 0, v1
	v_xor_b32_e32 v12, vcc_lo, v12
	v_xor_b32_e32 v1, vcc_hi, v82
	v_and_b32_e32 v82, exec_lo, v12
	v_lshlrev_b32_e32 v12, 30, v0
	v_cmp_gt_i64_e32 vcc, 0, v[11:12]
	v_not_b32_e32 v12, v12
	v_ashrrev_i32_e32 v12, 31, v12
	v_xor_b32_e32 v83, vcc_hi, v12
	v_xor_b32_e32 v12, vcc_lo, v12
	v_and_b32_e32 v82, v82, v12
	v_lshlrev_b32_e32 v12, 29, v0
	v_cmp_gt_i64_e32 vcc, 0, v[11:12]
	v_not_b32_e32 v12, v12
	v_and_b32_e32 v1, exec_hi, v1
	v_ashrrev_i32_e32 v12, 31, v12
	v_and_b32_e32 v1, v1, v83
	v_xor_b32_e32 v83, vcc_hi, v12
	v_xor_b32_e32 v12, vcc_lo, v12
	v_and_b32_e32 v82, v82, v12
	v_lshlrev_b32_e32 v12, 28, v0
	v_mul_u32_u24_e32 v81, 12, v0
	v_cmp_gt_i64_e32 vcc, 0, v[11:12]
	v_not_b32_e32 v0, v12
	v_ashrrev_i32_e32 v0, 31, v0
	v_xor_b32_e32 v12, vcc_hi, v0
	v_xor_b32_e32 v0, vcc_lo, v0
	v_and_b32_e32 v1, v1, v83
	v_and_b32_e32 v0, v82, v0
	;; [unrolled: 1-line block ×3, first 2 shown]
	v_mbcnt_lo_u32_b32 v12, v0, 0
	v_mbcnt_hi_u32_b32 v82, v1, v12
	v_cmp_ne_u64_e32 vcc, 0, v[0:1]
	v_cmp_eq_u32_e64 s[22:23], 0, v82
	s_and_b64 s[34:35], vcc, s[22:23]
	; wave barrier
	s_and_saveexec_b64 s[22:23], s[34:35]
	s_cbranch_execz .LBB59_48
; %bb.47:                               ;   in Loop: Header=BB59_4 Depth=2
	v_bcnt_u32_b32 v0, v0, 0
	v_bcnt_u32_b32 v0, v1, v0
	s_waitcnt lgkmcnt(0)
	v_add_u32_e32 v0, v80, v0
	v_add_u32_e32 v1, v2, v81
	ds_write_b32 v1, v0 offset:8
.LBB59_48:                              ;   in Loop: Header=BB59_4 Depth=2
	s_or_b64 exec, exec, s[22:23]
	v_lshlrev_b32_sdwa v0, s31, v8 dst_sel:DWORD dst_unused:UNUSED_PAD src0_sel:DWORD src1_sel:BYTE_2
	v_lshrrev_b32_e32 v0, 28, v0
	v_mad_u32_u24 v1, v0, 12, v2
	; wave barrier
	ds_read_b32 v83, v1 offset:8
	v_and_b32_e32 v1, 1, v0
	v_add_co_u32_e32 v12, vcc, -1, v1
	v_addc_co_u32_e64 v85, s[22:23], 0, -1, vcc
	v_cmp_ne_u32_e32 vcc, 0, v1
	v_xor_b32_e32 v12, vcc_lo, v12
	v_xor_b32_e32 v1, vcc_hi, v85
	v_and_b32_e32 v85, exec_lo, v12
	v_lshlrev_b32_e32 v12, 30, v0
	v_cmp_gt_i64_e32 vcc, 0, v[11:12]
	v_not_b32_e32 v12, v12
	v_ashrrev_i32_e32 v12, 31, v12
	v_xor_b32_e32 v86, vcc_hi, v12
	v_xor_b32_e32 v12, vcc_lo, v12
	v_and_b32_e32 v85, v85, v12
	v_lshlrev_b32_e32 v12, 29, v0
	v_cmp_gt_i64_e32 vcc, 0, v[11:12]
	v_not_b32_e32 v12, v12
	v_and_b32_e32 v1, exec_hi, v1
	v_ashrrev_i32_e32 v12, 31, v12
	v_and_b32_e32 v1, v1, v86
	v_xor_b32_e32 v86, vcc_hi, v12
	v_xor_b32_e32 v12, vcc_lo, v12
	v_and_b32_e32 v85, v85, v12
	v_lshlrev_b32_e32 v12, 28, v0
	v_mul_u32_u24_e32 v84, 12, v0
	v_cmp_gt_i64_e32 vcc, 0, v[11:12]
	v_not_b32_e32 v0, v12
	v_ashrrev_i32_e32 v0, 31, v0
	v_xor_b32_e32 v12, vcc_hi, v0
	v_xor_b32_e32 v0, vcc_lo, v0
	v_and_b32_e32 v1, v1, v86
	v_and_b32_e32 v0, v85, v0
	;; [unrolled: 1-line block ×3, first 2 shown]
	v_mbcnt_lo_u32_b32 v12, v0, 0
	v_mbcnt_hi_u32_b32 v85, v1, v12
	v_cmp_ne_u64_e32 vcc, 0, v[0:1]
	v_cmp_eq_u32_e64 s[22:23], 0, v85
	s_and_b64 s[34:35], vcc, s[22:23]
	; wave barrier
	s_and_saveexec_b64 s[22:23], s[34:35]
	s_cbranch_execz .LBB59_50
; %bb.49:                               ;   in Loop: Header=BB59_4 Depth=2
	v_bcnt_u32_b32 v0, v0, 0
	v_bcnt_u32_b32 v0, v1, v0
	s_waitcnt lgkmcnt(0)
	v_add_u32_e32 v0, v83, v0
	v_add_u32_e32 v1, v2, v84
	ds_write_b32 v1, v0 offset:8
.LBB59_50:                              ;   in Loop: Header=BB59_4 Depth=2
	s_or_b64 exec, exec, s[22:23]
	v_lshlrev_b32_sdwa v0, s31, v8 dst_sel:DWORD dst_unused:UNUSED_PAD src0_sel:DWORD src1_sel:BYTE_3
	v_lshrrev_b32_e32 v0, 28, v0
	v_mad_u32_u24 v1, v0, 12, v2
	; wave barrier
	ds_read_b32 v86, v1 offset:8
	v_and_b32_e32 v1, 1, v0
	v_add_co_u32_e32 v12, vcc, -1, v1
	v_addc_co_u32_e64 v88, s[22:23], 0, -1, vcc
	v_cmp_ne_u32_e32 vcc, 0, v1
	v_xor_b32_e32 v12, vcc_lo, v12
	v_xor_b32_e32 v1, vcc_hi, v88
	v_and_b32_e32 v88, exec_lo, v12
	v_lshlrev_b32_e32 v12, 30, v0
	v_cmp_gt_i64_e32 vcc, 0, v[11:12]
	v_not_b32_e32 v12, v12
	v_ashrrev_i32_e32 v12, 31, v12
	v_xor_b32_e32 v89, vcc_hi, v12
	v_xor_b32_e32 v12, vcc_lo, v12
	v_and_b32_e32 v88, v88, v12
	v_lshlrev_b32_e32 v12, 29, v0
	v_cmp_gt_i64_e32 vcc, 0, v[11:12]
	v_not_b32_e32 v12, v12
	v_and_b32_e32 v1, exec_hi, v1
	v_ashrrev_i32_e32 v12, 31, v12
	v_and_b32_e32 v1, v1, v89
	v_xor_b32_e32 v89, vcc_hi, v12
	v_xor_b32_e32 v12, vcc_lo, v12
	v_and_b32_e32 v88, v88, v12
	v_lshlrev_b32_e32 v12, 28, v0
	v_mul_u32_u24_e32 v87, 12, v0
	v_cmp_gt_i64_e32 vcc, 0, v[11:12]
	v_not_b32_e32 v0, v12
	v_ashrrev_i32_e32 v0, 31, v0
	v_xor_b32_e32 v12, vcc_hi, v0
	v_xor_b32_e32 v0, vcc_lo, v0
	v_and_b32_e32 v1, v1, v89
	v_and_b32_e32 v0, v88, v0
	;; [unrolled: 1-line block ×3, first 2 shown]
	v_mbcnt_lo_u32_b32 v12, v0, 0
	v_mbcnt_hi_u32_b32 v88, v1, v12
	v_cmp_ne_u64_e32 vcc, 0, v[0:1]
	v_cmp_eq_u32_e64 s[22:23], 0, v88
	s_and_b64 s[34:35], vcc, s[22:23]
	; wave barrier
	s_and_saveexec_b64 s[22:23], s[34:35]
	s_cbranch_execz .LBB59_52
; %bb.51:                               ;   in Loop: Header=BB59_4 Depth=2
	v_bcnt_u32_b32 v0, v0, 0
	v_bcnt_u32_b32 v0, v1, v0
	s_waitcnt lgkmcnt(0)
	v_add_u32_e32 v0, v86, v0
	v_add_u32_e32 v1, v2, v87
	ds_write_b32 v1, v0 offset:8
.LBB59_52:                              ;   in Loop: Header=BB59_4 Depth=2
	s_or_b64 exec, exec, s[22:23]
	v_lshlrev_b32_sdwa v0, s31, v9 dst_sel:DWORD dst_unused:UNUSED_PAD src0_sel:DWORD src1_sel:BYTE_0
	v_lshrrev_b32_e32 v0, 28, v0
	v_mad_u32_u24 v1, v0, 12, v2
	; wave barrier
	ds_read_b32 v89, v1 offset:8
	v_and_b32_e32 v1, 1, v0
	v_add_co_u32_e32 v12, vcc, -1, v1
	v_addc_co_u32_e64 v91, s[22:23], 0, -1, vcc
	v_cmp_ne_u32_e32 vcc, 0, v1
	v_xor_b32_e32 v12, vcc_lo, v12
	v_xor_b32_e32 v1, vcc_hi, v91
	v_and_b32_e32 v91, exec_lo, v12
	v_lshlrev_b32_e32 v12, 30, v0
	v_cmp_gt_i64_e32 vcc, 0, v[11:12]
	v_not_b32_e32 v12, v12
	v_ashrrev_i32_e32 v12, 31, v12
	v_xor_b32_e32 v92, vcc_hi, v12
	v_xor_b32_e32 v12, vcc_lo, v12
	v_and_b32_e32 v91, v91, v12
	v_lshlrev_b32_e32 v12, 29, v0
	v_cmp_gt_i64_e32 vcc, 0, v[11:12]
	v_not_b32_e32 v12, v12
	v_and_b32_e32 v1, exec_hi, v1
	v_ashrrev_i32_e32 v12, 31, v12
	v_and_b32_e32 v1, v1, v92
	v_xor_b32_e32 v92, vcc_hi, v12
	v_xor_b32_e32 v12, vcc_lo, v12
	v_and_b32_e32 v91, v91, v12
	v_lshlrev_b32_e32 v12, 28, v0
	v_mul_u32_u24_e32 v90, 12, v0
	v_cmp_gt_i64_e32 vcc, 0, v[11:12]
	v_not_b32_e32 v0, v12
	v_ashrrev_i32_e32 v0, 31, v0
	v_xor_b32_e32 v12, vcc_hi, v0
	v_xor_b32_e32 v0, vcc_lo, v0
	v_and_b32_e32 v1, v1, v92
	v_and_b32_e32 v0, v91, v0
	;; [unrolled: 1-line block ×3, first 2 shown]
	v_mbcnt_lo_u32_b32 v12, v0, 0
	v_mbcnt_hi_u32_b32 v91, v1, v12
	v_cmp_ne_u64_e32 vcc, 0, v[0:1]
	v_cmp_eq_u32_e64 s[22:23], 0, v91
	s_and_b64 s[34:35], vcc, s[22:23]
	; wave barrier
	s_and_saveexec_b64 s[22:23], s[34:35]
	s_cbranch_execz .LBB59_54
; %bb.53:                               ;   in Loop: Header=BB59_4 Depth=2
	v_bcnt_u32_b32 v0, v0, 0
	v_bcnt_u32_b32 v0, v1, v0
	s_waitcnt lgkmcnt(0)
	v_add_u32_e32 v0, v89, v0
	v_add_u32_e32 v1, v2, v90
	ds_write_b32 v1, v0 offset:8
.LBB59_54:                              ;   in Loop: Header=BB59_4 Depth=2
	s_or_b64 exec, exec, s[22:23]
	v_lshlrev_b32_sdwa v0, s31, v9 dst_sel:DWORD dst_unused:UNUSED_PAD src0_sel:DWORD src1_sel:BYTE_1
	v_lshrrev_b32_e32 v0, 28, v0
	v_mad_u32_u24 v1, v0, 12, v2
	; wave barrier
	ds_read_b32 v92, v1 offset:8
	v_and_b32_e32 v1, 1, v0
	v_add_co_u32_e32 v12, vcc, -1, v1
	v_addc_co_u32_e64 v94, s[22:23], 0, -1, vcc
	v_cmp_ne_u32_e32 vcc, 0, v1
	v_xor_b32_e32 v12, vcc_lo, v12
	v_xor_b32_e32 v1, vcc_hi, v94
	v_and_b32_e32 v94, exec_lo, v12
	v_lshlrev_b32_e32 v12, 30, v0
	v_cmp_gt_i64_e32 vcc, 0, v[11:12]
	v_not_b32_e32 v12, v12
	v_ashrrev_i32_e32 v12, 31, v12
	v_xor_b32_e32 v95, vcc_hi, v12
	v_xor_b32_e32 v12, vcc_lo, v12
	v_and_b32_e32 v94, v94, v12
	v_lshlrev_b32_e32 v12, 29, v0
	v_cmp_gt_i64_e32 vcc, 0, v[11:12]
	v_not_b32_e32 v12, v12
	v_and_b32_e32 v1, exec_hi, v1
	v_ashrrev_i32_e32 v12, 31, v12
	v_and_b32_e32 v1, v1, v95
	v_xor_b32_e32 v95, vcc_hi, v12
	v_xor_b32_e32 v12, vcc_lo, v12
	v_and_b32_e32 v94, v94, v12
	v_lshlrev_b32_e32 v12, 28, v0
	v_mul_u32_u24_e32 v93, 12, v0
	v_cmp_gt_i64_e32 vcc, 0, v[11:12]
	v_not_b32_e32 v0, v12
	v_ashrrev_i32_e32 v0, 31, v0
	v_xor_b32_e32 v12, vcc_hi, v0
	v_xor_b32_e32 v0, vcc_lo, v0
	v_and_b32_e32 v1, v1, v95
	v_and_b32_e32 v0, v94, v0
	;; [unrolled: 1-line block ×3, first 2 shown]
	v_mbcnt_lo_u32_b32 v12, v0, 0
	v_mbcnt_hi_u32_b32 v94, v1, v12
	v_cmp_ne_u64_e32 vcc, 0, v[0:1]
	v_cmp_eq_u32_e64 s[22:23], 0, v94
	s_and_b64 s[34:35], vcc, s[22:23]
	; wave barrier
	s_and_saveexec_b64 s[22:23], s[34:35]
	s_cbranch_execz .LBB59_56
; %bb.55:                               ;   in Loop: Header=BB59_4 Depth=2
	v_bcnt_u32_b32 v0, v0, 0
	v_bcnt_u32_b32 v0, v1, v0
	s_waitcnt lgkmcnt(0)
	v_add_u32_e32 v0, v92, v0
	v_add_u32_e32 v1, v2, v93
	ds_write_b32 v1, v0 offset:8
.LBB59_56:                              ;   in Loop: Header=BB59_4 Depth=2
	s_or_b64 exec, exec, s[22:23]
	v_lshlrev_b32_sdwa v0, s31, v9 dst_sel:DWORD dst_unused:UNUSED_PAD src0_sel:DWORD src1_sel:BYTE_2
	v_lshrrev_b32_e32 v0, 28, v0
	v_mad_u32_u24 v1, v0, 12, v2
	; wave barrier
	ds_read_b32 v95, v1 offset:8
	v_and_b32_e32 v1, 1, v0
	v_add_co_u32_e32 v12, vcc, -1, v1
	v_addc_co_u32_e64 v97, s[22:23], 0, -1, vcc
	v_cmp_ne_u32_e32 vcc, 0, v1
	v_xor_b32_e32 v12, vcc_lo, v12
	v_xor_b32_e32 v1, vcc_hi, v97
	v_and_b32_e32 v97, exec_lo, v12
	v_lshlrev_b32_e32 v12, 30, v0
	v_cmp_gt_i64_e32 vcc, 0, v[11:12]
	v_not_b32_e32 v12, v12
	v_ashrrev_i32_e32 v12, 31, v12
	v_xor_b32_e32 v98, vcc_hi, v12
	v_xor_b32_e32 v12, vcc_lo, v12
	v_and_b32_e32 v97, v97, v12
	v_lshlrev_b32_e32 v12, 29, v0
	v_cmp_gt_i64_e32 vcc, 0, v[11:12]
	v_not_b32_e32 v12, v12
	v_and_b32_e32 v1, exec_hi, v1
	v_ashrrev_i32_e32 v12, 31, v12
	v_and_b32_e32 v1, v1, v98
	v_xor_b32_e32 v98, vcc_hi, v12
	v_xor_b32_e32 v12, vcc_lo, v12
	v_and_b32_e32 v97, v97, v12
	v_lshlrev_b32_e32 v12, 28, v0
	v_mul_u32_u24_e32 v96, 12, v0
	v_cmp_gt_i64_e32 vcc, 0, v[11:12]
	v_not_b32_e32 v0, v12
	v_ashrrev_i32_e32 v0, 31, v0
	v_xor_b32_e32 v12, vcc_hi, v0
	v_xor_b32_e32 v0, vcc_lo, v0
	v_and_b32_e32 v1, v1, v98
	v_and_b32_e32 v0, v97, v0
	;; [unrolled: 1-line block ×3, first 2 shown]
	v_mbcnt_lo_u32_b32 v12, v0, 0
	v_mbcnt_hi_u32_b32 v97, v1, v12
	v_cmp_ne_u64_e32 vcc, 0, v[0:1]
	v_cmp_eq_u32_e64 s[22:23], 0, v97
	s_and_b64 s[34:35], vcc, s[22:23]
	; wave barrier
	s_and_saveexec_b64 s[22:23], s[34:35]
	s_cbranch_execz .LBB59_58
; %bb.57:                               ;   in Loop: Header=BB59_4 Depth=2
	v_bcnt_u32_b32 v0, v0, 0
	v_bcnt_u32_b32 v0, v1, v0
	s_waitcnt lgkmcnt(0)
	v_add_u32_e32 v0, v95, v0
	v_add_u32_e32 v1, v2, v96
	ds_write_b32 v1, v0 offset:8
.LBB59_58:                              ;   in Loop: Header=BB59_4 Depth=2
	s_or_b64 exec, exec, s[22:23]
	v_lshlrev_b32_sdwa v0, s31, v9 dst_sel:DWORD dst_unused:UNUSED_PAD src0_sel:DWORD src1_sel:BYTE_3
	v_lshrrev_b32_e32 v0, 28, v0
	v_mad_u32_u24 v1, v0, 12, v2
	; wave barrier
	ds_read_b32 v98, v1 offset:8
	v_and_b32_e32 v1, 1, v0
	v_add_co_u32_e32 v12, vcc, -1, v1
	v_addc_co_u32_e64 v100, s[22:23], 0, -1, vcc
	v_cmp_ne_u32_e32 vcc, 0, v1
	v_xor_b32_e32 v12, vcc_lo, v12
	v_xor_b32_e32 v1, vcc_hi, v100
	v_and_b32_e32 v100, exec_lo, v12
	v_lshlrev_b32_e32 v12, 30, v0
	v_cmp_gt_i64_e32 vcc, 0, v[11:12]
	v_not_b32_e32 v12, v12
	v_ashrrev_i32_e32 v12, 31, v12
	v_xor_b32_e32 v101, vcc_hi, v12
	v_xor_b32_e32 v12, vcc_lo, v12
	v_and_b32_e32 v100, v100, v12
	v_lshlrev_b32_e32 v12, 29, v0
	v_cmp_gt_i64_e32 vcc, 0, v[11:12]
	v_not_b32_e32 v12, v12
	v_and_b32_e32 v1, exec_hi, v1
	v_ashrrev_i32_e32 v12, 31, v12
	v_and_b32_e32 v1, v1, v101
	v_xor_b32_e32 v101, vcc_hi, v12
	v_xor_b32_e32 v12, vcc_lo, v12
	v_and_b32_e32 v100, v100, v12
	v_lshlrev_b32_e32 v12, 28, v0
	v_mul_u32_u24_e32 v99, 12, v0
	v_cmp_gt_i64_e32 vcc, 0, v[11:12]
	v_not_b32_e32 v0, v12
	v_ashrrev_i32_e32 v0, 31, v0
	v_xor_b32_e32 v12, vcc_hi, v0
	v_xor_b32_e32 v0, vcc_lo, v0
	v_and_b32_e32 v1, v1, v101
	v_and_b32_e32 v0, v100, v0
	;; [unrolled: 1-line block ×3, first 2 shown]
	v_mbcnt_lo_u32_b32 v12, v0, 0
	v_mbcnt_hi_u32_b32 v100, v1, v12
	v_cmp_ne_u64_e32 vcc, 0, v[0:1]
	v_cmp_eq_u32_e64 s[22:23], 0, v100
	s_and_b64 s[34:35], vcc, s[22:23]
	; wave barrier
	s_and_saveexec_b64 s[22:23], s[34:35]
	s_cbranch_execz .LBB59_60
; %bb.59:                               ;   in Loop: Header=BB59_4 Depth=2
	v_bcnt_u32_b32 v0, v0, 0
	v_bcnt_u32_b32 v0, v1, v0
	s_waitcnt lgkmcnt(0)
	v_add_u32_e32 v0, v98, v0
	v_add_u32_e32 v1, v2, v99
	ds_write_b32 v1, v0 offset:8
.LBB59_60:                              ;   in Loop: Header=BB59_4 Depth=2
	s_or_b64 exec, exec, s[22:23]
	v_lshlrev_b32_sdwa v0, s31, v10 dst_sel:DWORD dst_unused:UNUSED_PAD src0_sel:DWORD src1_sel:BYTE_0
	v_lshrrev_b32_e32 v0, 28, v0
	v_mad_u32_u24 v1, v0, 12, v2
	; wave barrier
	ds_read_b32 v101, v1 offset:8
	v_and_b32_e32 v1, 1, v0
	v_add_co_u32_e32 v12, vcc, -1, v1
	v_addc_co_u32_e64 v103, s[22:23], 0, -1, vcc
	v_cmp_ne_u32_e32 vcc, 0, v1
	v_xor_b32_e32 v12, vcc_lo, v12
	v_xor_b32_e32 v1, vcc_hi, v103
	v_and_b32_e32 v103, exec_lo, v12
	v_lshlrev_b32_e32 v12, 30, v0
	v_cmp_gt_i64_e32 vcc, 0, v[11:12]
	v_not_b32_e32 v12, v12
	v_ashrrev_i32_e32 v12, 31, v12
	v_xor_b32_e32 v104, vcc_hi, v12
	v_xor_b32_e32 v12, vcc_lo, v12
	v_and_b32_e32 v103, v103, v12
	v_lshlrev_b32_e32 v12, 29, v0
	v_cmp_gt_i64_e32 vcc, 0, v[11:12]
	v_not_b32_e32 v12, v12
	v_and_b32_e32 v1, exec_hi, v1
	v_ashrrev_i32_e32 v12, 31, v12
	v_and_b32_e32 v1, v1, v104
	v_xor_b32_e32 v104, vcc_hi, v12
	v_xor_b32_e32 v12, vcc_lo, v12
	v_and_b32_e32 v103, v103, v12
	v_lshlrev_b32_e32 v12, 28, v0
	v_mul_u32_u24_e32 v102, 12, v0
	v_cmp_gt_i64_e32 vcc, 0, v[11:12]
	v_not_b32_e32 v0, v12
	v_ashrrev_i32_e32 v0, 31, v0
	v_xor_b32_e32 v12, vcc_hi, v0
	v_xor_b32_e32 v0, vcc_lo, v0
	v_and_b32_e32 v1, v1, v104
	v_and_b32_e32 v0, v103, v0
	;; [unrolled: 1-line block ×3, first 2 shown]
	v_mbcnt_lo_u32_b32 v12, v0, 0
	v_mbcnt_hi_u32_b32 v103, v1, v12
	v_cmp_ne_u64_e32 vcc, 0, v[0:1]
	v_cmp_eq_u32_e64 s[22:23], 0, v103
	s_and_b64 s[34:35], vcc, s[22:23]
	; wave barrier
	s_and_saveexec_b64 s[22:23], s[34:35]
	s_cbranch_execz .LBB59_62
; %bb.61:                               ;   in Loop: Header=BB59_4 Depth=2
	v_bcnt_u32_b32 v0, v0, 0
	v_bcnt_u32_b32 v0, v1, v0
	s_waitcnt lgkmcnt(0)
	v_add_u32_e32 v0, v101, v0
	v_add_u32_e32 v1, v2, v102
	ds_write_b32 v1, v0 offset:8
.LBB59_62:                              ;   in Loop: Header=BB59_4 Depth=2
	s_or_b64 exec, exec, s[22:23]
	v_lshlrev_b32_sdwa v0, s31, v10 dst_sel:DWORD dst_unused:UNUSED_PAD src0_sel:DWORD src1_sel:BYTE_1
	v_lshrrev_b32_e32 v0, 28, v0
	v_mad_u32_u24 v1, v0, 12, v2
	; wave barrier
	ds_read_b32 v104, v1 offset:8
	v_and_b32_e32 v1, 1, v0
	v_add_co_u32_e32 v12, vcc, -1, v1
	v_addc_co_u32_e64 v106, s[22:23], 0, -1, vcc
	v_cmp_ne_u32_e32 vcc, 0, v1
	v_xor_b32_e32 v12, vcc_lo, v12
	v_xor_b32_e32 v1, vcc_hi, v106
	v_and_b32_e32 v106, exec_lo, v12
	v_lshlrev_b32_e32 v12, 30, v0
	v_cmp_gt_i64_e32 vcc, 0, v[11:12]
	v_not_b32_e32 v12, v12
	v_ashrrev_i32_e32 v12, 31, v12
	v_xor_b32_e32 v107, vcc_hi, v12
	v_xor_b32_e32 v12, vcc_lo, v12
	v_and_b32_e32 v106, v106, v12
	v_lshlrev_b32_e32 v12, 29, v0
	v_cmp_gt_i64_e32 vcc, 0, v[11:12]
	v_not_b32_e32 v12, v12
	v_and_b32_e32 v1, exec_hi, v1
	v_ashrrev_i32_e32 v12, 31, v12
	v_and_b32_e32 v1, v1, v107
	v_xor_b32_e32 v107, vcc_hi, v12
	v_xor_b32_e32 v12, vcc_lo, v12
	v_and_b32_e32 v106, v106, v12
	v_lshlrev_b32_e32 v12, 28, v0
	v_mul_u32_u24_e32 v105, 12, v0
	v_cmp_gt_i64_e32 vcc, 0, v[11:12]
	v_not_b32_e32 v0, v12
	v_ashrrev_i32_e32 v0, 31, v0
	v_xor_b32_e32 v12, vcc_hi, v0
	v_xor_b32_e32 v0, vcc_lo, v0
	v_and_b32_e32 v1, v1, v107
	v_and_b32_e32 v0, v106, v0
	;; [unrolled: 1-line block ×3, first 2 shown]
	v_mbcnt_lo_u32_b32 v12, v0, 0
	v_mbcnt_hi_u32_b32 v106, v1, v12
	v_cmp_ne_u64_e32 vcc, 0, v[0:1]
	v_cmp_eq_u32_e64 s[22:23], 0, v106
	s_and_b64 s[34:35], vcc, s[22:23]
	; wave barrier
	s_and_saveexec_b64 s[22:23], s[34:35]
	s_cbranch_execz .LBB59_64
; %bb.63:                               ;   in Loop: Header=BB59_4 Depth=2
	v_bcnt_u32_b32 v0, v0, 0
	v_bcnt_u32_b32 v0, v1, v0
	s_waitcnt lgkmcnt(0)
	v_add_u32_e32 v0, v104, v0
	v_add_u32_e32 v1, v2, v105
	ds_write_b32 v1, v0 offset:8
.LBB59_64:                              ;   in Loop: Header=BB59_4 Depth=2
	s_or_b64 exec, exec, s[22:23]
	v_lshlrev_b32_sdwa v0, s31, v10 dst_sel:DWORD dst_unused:UNUSED_PAD src0_sel:DWORD src1_sel:BYTE_2
	v_lshrrev_b32_e32 v0, 28, v0
	v_mad_u32_u24 v1, v0, 12, v2
	; wave barrier
	ds_read_b32 v107, v1 offset:8
	v_and_b32_e32 v1, 1, v0
	v_add_co_u32_e32 v12, vcc, -1, v1
	v_addc_co_u32_e64 v109, s[22:23], 0, -1, vcc
	v_cmp_ne_u32_e32 vcc, 0, v1
	v_xor_b32_e32 v12, vcc_lo, v12
	v_xor_b32_e32 v1, vcc_hi, v109
	v_and_b32_e32 v109, exec_lo, v12
	v_lshlrev_b32_e32 v12, 30, v0
	v_cmp_gt_i64_e32 vcc, 0, v[11:12]
	v_not_b32_e32 v12, v12
	v_ashrrev_i32_e32 v12, 31, v12
	v_xor_b32_e32 v110, vcc_hi, v12
	v_xor_b32_e32 v12, vcc_lo, v12
	v_and_b32_e32 v109, v109, v12
	v_lshlrev_b32_e32 v12, 29, v0
	v_cmp_gt_i64_e32 vcc, 0, v[11:12]
	v_not_b32_e32 v12, v12
	v_and_b32_e32 v1, exec_hi, v1
	v_ashrrev_i32_e32 v12, 31, v12
	v_and_b32_e32 v1, v1, v110
	v_xor_b32_e32 v110, vcc_hi, v12
	v_xor_b32_e32 v12, vcc_lo, v12
	v_and_b32_e32 v109, v109, v12
	v_lshlrev_b32_e32 v12, 28, v0
	v_mul_u32_u24_e32 v108, 12, v0
	v_cmp_gt_i64_e32 vcc, 0, v[11:12]
	v_not_b32_e32 v0, v12
	v_ashrrev_i32_e32 v0, 31, v0
	v_xor_b32_e32 v12, vcc_hi, v0
	v_xor_b32_e32 v0, vcc_lo, v0
	v_and_b32_e32 v1, v1, v110
	v_and_b32_e32 v0, v109, v0
	v_and_b32_e32 v1, v1, v12
	v_mbcnt_lo_u32_b32 v12, v0, 0
	v_mbcnt_hi_u32_b32 v109, v1, v12
	v_cmp_ne_u64_e32 vcc, 0, v[0:1]
	v_cmp_eq_u32_e64 s[22:23], 0, v109
	s_and_b64 s[34:35], vcc, s[22:23]
	; wave barrier
	s_and_saveexec_b64 s[22:23], s[34:35]
	s_cbranch_execz .LBB59_66
; %bb.65:                               ;   in Loop: Header=BB59_4 Depth=2
	v_bcnt_u32_b32 v0, v0, 0
	v_bcnt_u32_b32 v0, v1, v0
	s_waitcnt lgkmcnt(0)
	v_add_u32_e32 v0, v107, v0
	v_add_u32_e32 v1, v2, v108
	ds_write_b32 v1, v0 offset:8
.LBB59_66:                              ;   in Loop: Header=BB59_4 Depth=2
	s_or_b64 exec, exec, s[22:23]
	v_lshlrev_b32_sdwa v0, s31, v10 dst_sel:DWORD dst_unused:UNUSED_PAD src0_sel:DWORD src1_sel:BYTE_3
	v_lshrrev_b32_e32 v0, 28, v0
	v_mad_u32_u24 v1, v0, 12, v2
	; wave barrier
	ds_read_b32 v110, v1 offset:8
	v_and_b32_e32 v1, 1, v0
	v_add_co_u32_e32 v12, vcc, -1, v1
	v_addc_co_u32_e64 v112, s[22:23], 0, -1, vcc
	v_cmp_ne_u32_e32 vcc, 0, v1
	v_xor_b32_e32 v12, vcc_lo, v12
	v_xor_b32_e32 v1, vcc_hi, v112
	v_and_b32_e32 v112, exec_lo, v12
	v_lshlrev_b32_e32 v12, 30, v0
	v_cmp_gt_i64_e32 vcc, 0, v[11:12]
	v_not_b32_e32 v12, v12
	v_ashrrev_i32_e32 v12, 31, v12
	v_xor_b32_e32 v113, vcc_hi, v12
	v_xor_b32_e32 v12, vcc_lo, v12
	v_and_b32_e32 v112, v112, v12
	v_lshlrev_b32_e32 v12, 29, v0
	v_cmp_gt_i64_e32 vcc, 0, v[11:12]
	v_not_b32_e32 v12, v12
	v_and_b32_e32 v1, exec_hi, v1
	v_ashrrev_i32_e32 v12, 31, v12
	v_and_b32_e32 v1, v1, v113
	v_xor_b32_e32 v113, vcc_hi, v12
	v_xor_b32_e32 v12, vcc_lo, v12
	v_and_b32_e32 v112, v112, v12
	v_lshlrev_b32_e32 v12, 28, v0
	v_mul_u32_u24_e32 v111, 12, v0
	v_cmp_gt_i64_e32 vcc, 0, v[11:12]
	v_not_b32_e32 v0, v12
	v_ashrrev_i32_e32 v0, 31, v0
	v_xor_b32_e32 v12, vcc_hi, v0
	v_xor_b32_e32 v0, vcc_lo, v0
	v_and_b32_e32 v1, v1, v113
	v_and_b32_e32 v0, v112, v0
	;; [unrolled: 1-line block ×3, first 2 shown]
	v_mbcnt_lo_u32_b32 v12, v0, 0
	v_mbcnt_hi_u32_b32 v12, v1, v12
	v_cmp_ne_u64_e32 vcc, 0, v[0:1]
	v_cmp_eq_u32_e64 s[22:23], 0, v12
	s_and_b64 s[34:35], vcc, s[22:23]
	; wave barrier
	s_and_saveexec_b64 s[22:23], s[34:35]
	s_cbranch_execz .LBB59_68
; %bb.67:                               ;   in Loop: Header=BB59_4 Depth=2
	v_bcnt_u32_b32 v0, v0, 0
	v_bcnt_u32_b32 v0, v1, v0
	s_waitcnt lgkmcnt(0)
	v_add_u32_e32 v0, v110, v0
	v_add_u32_e32 v1, v2, v111
	ds_write_b32 v1, v0 offset:8
.LBB59_68:                              ;   in Loop: Header=BB59_4 Depth=2
	s_or_b64 exec, exec, s[22:23]
	; wave barrier
	s_waitcnt lgkmcnt(0)
	s_barrier
	ds_read_b32 v0, v17 offset:8
	s_waitcnt lgkmcnt(0)
	s_nop 0
	v_mov_b32_dpp v1, v0 row_shr:1 row_mask:0xf bank_mask:0xf
	v_cndmask_b32_e64 v1, v1, 0, s[0:1]
	v_add_u32_e32 v0, v1, v0
	s_nop 1
	v_mov_b32_dpp v1, v0 row_shr:2 row_mask:0xf bank_mask:0xf
	v_cndmask_b32_e64 v1, 0, v1, s[2:3]
	v_add_u32_e32 v0, v0, v1
	;; [unrolled: 4-line block ×4, first 2 shown]
	s_nop 1
	v_mov_b32_dpp v1, v0 row_bcast:15 row_mask:0xf bank_mask:0xf
	v_cndmask_b32_e64 v1, v1, 0, s[8:9]
	v_add_u32_e32 v0, v0, v1
	s_nop 1
	v_mov_b32_dpp v1, v0 row_bcast:31 row_mask:0xf bank_mask:0xf
	v_cndmask_b32_e64 v1, 0, v1, s[10:11]
	v_add_u32_e32 v0, v0, v1
	s_and_saveexec_b64 s[22:23], s[12:13]
; %bb.69:                               ;   in Loop: Header=BB59_4 Depth=2
	ds_write_b32 v19, v0
; %bb.70:                               ;   in Loop: Header=BB59_4 Depth=2
	s_or_b64 exec, exec, s[22:23]
	s_waitcnt lgkmcnt(0)
	s_barrier
	s_and_saveexec_b64 s[22:23], s[14:15]
	s_cbranch_execz .LBB59_72
; %bb.71:                               ;   in Loop: Header=BB59_4 Depth=2
	ds_read_b32 v1, v17
	s_waitcnt lgkmcnt(0)
	s_nop 0
	v_mov_b32_dpp v112, v1 row_shr:1 row_mask:0xf bank_mask:0xf
	v_cndmask_b32_e64 v112, v112, 0, s[20:21]
	v_add_u32_e32 v1, v112, v1
	ds_write_b32 v17, v1
.LBB59_72:                              ;   in Loop: Header=BB59_4 Depth=2
	s_or_b64 exec, exec, s[22:23]
	v_mov_b32_e32 v1, 0
	s_waitcnt lgkmcnt(0)
	s_barrier
	s_and_saveexec_b64 s[22:23], s[16:17]
	s_cbranch_execz .LBB59_3
; %bb.73:                               ;   in Loop: Header=BB59_4 Depth=2
	ds_read_b32 v1, v20
	s_branch .LBB59_3
.LBB59_74:
	v_add_u32_e32 v0, v2, v29
	v_add_u32_e32 v1, v2, v26
	;; [unrolled: 1-line block ×8, first 2 shown]
	ds_read_b32 v0, v0 offset:8
	ds_read_b32 v1, v1 offset:8
	;; [unrolled: 1-line block ×8, first 2 shown]
	s_lshl_b64 s[0:1], s[28:29], 2
	s_add_u32 s0, s26, s0
	s_waitcnt lgkmcnt(7)
	v_add3_u32 v6, v27, v25, v0
	s_waitcnt lgkmcnt(6)
	v_add3_u32 v5, v24, v22, v1
	;; [unrolled: 2-line block ×3, first 2 shown]
	s_waitcnt lgkmcnt(4)
	v_add_u32_e32 v3, v9, v14
	s_addc_u32 s1, s27, s1
	v_lshlrev_b32_e32 v0, 2, v13
	global_store_dwordx4 v0, v[3:6], s[0:1]
	v_add_u32_e32 v1, v2, v51
	s_waitcnt lgkmcnt(3)
	v_add3_u32 v6, v41, v38, v10
	s_waitcnt lgkmcnt(2)
	v_add3_u32 v5, v37, v35, v11
	s_waitcnt lgkmcnt(1)
	v_add3_u32 v4, v34, v32, v7
	s_waitcnt lgkmcnt(0)
	v_add3_u32 v3, v31, v28, v8
	global_store_dwordx4 v0, v[3:6], s[0:1] offset:16
	v_add_u32_e32 v7, v2, v60
	v_add_u32_e32 v3, v2, v48
	;; [unrolled: 1-line block ×7, first 2 shown]
	ds_read_b32 v1, v1 offset:8
	ds_read_b32 v3, v3 offset:8
	;; [unrolled: 1-line block ×8, first 2 shown]
	s_waitcnt lgkmcnt(7)
	v_add3_u32 v6, v52, v50, v1
	s_waitcnt lgkmcnt(6)
	v_add3_u32 v5, v49, v47, v3
	;; [unrolled: 2-line block ×4, first 2 shown]
	global_store_dwordx4 v0, v[3:6], s[0:1] offset:32
	v_add_u32_e32 v1, v2, v111
	s_waitcnt lgkmcnt(3)
	v_add3_u32 v6, v66, v62, v11
	s_waitcnt lgkmcnt(2)
	v_add3_u32 v5, v61, v59, v7
	;; [unrolled: 2-line block ×4, first 2 shown]
	global_store_dwordx4 v0, v[3:6], s[0:1] offset:48
	v_add_u32_e32 v7, v2, v96
	v_add_u32_e32 v3, v2, v108
	;; [unrolled: 1-line block ×7, first 2 shown]
	ds_read_b32 v1, v1 offset:8
	ds_read_b32 v3, v3 offset:8
	ds_read_b32 v4, v4 offset:8
	ds_read_b32 v10, v5 offset:8
	ds_read_b32 v11, v6 offset:8
	ds_read_b32 v7, v7 offset:8
	ds_read_b32 v8, v8 offset:8
	ds_read_b32 v13, v9 offset:8
	s_waitcnt lgkmcnt(7)
	v_add3_u32 v6, v12, v110, v1
	s_waitcnt lgkmcnt(6)
	v_add3_u32 v5, v109, v107, v3
	;; [unrolled: 2-line block ×6, first 2 shown]
	v_add_u32_e32 v1, v2, v87
	v_add_u32_e32 v11, v2, v84
	;; [unrolled: 1-line block ×8, first 2 shown]
	ds_read_b32 v1, v1 offset:8
	ds_read_b32 v11, v11 offset:8
	;; [unrolled: 1-line block ×8, first 2 shown]
	s_waitcnt lgkmcnt(6)
	v_add3_u32 v13, v85, v83, v11
	s_waitcnt lgkmcnt(4)
	v_add3_u32 v11, v79, v77, v17
	;; [unrolled: 2-line block ×6, first 2 shown]
	v_add3_u32 v4, v106, v104, v4
	v_add3_u32 v8, v94, v92, v8
	;; [unrolled: 1-line block ×4, first 2 shown]
	global_store_dwordx4 v0, v[15:18], s[0:1] offset:64
	global_store_dwordx4 v0, v[11:14], s[0:1] offset:80
	;; [unrolled: 1-line block ×4, first 2 shown]
	s_endpgm
	.section	.rodata,"a",@progbits
	.p2align	6, 0x0
	.amdhsa_kernel _Z11rank_kernelIhLj4ELb0EL18RadixRankAlgorithm2ELj128ELj32ELj10EEvPKT_Pi
		.amdhsa_group_segment_fixed_size 520
		.amdhsa_private_segment_fixed_size 0
		.amdhsa_kernarg_size 272
		.amdhsa_user_sgpr_count 6
		.amdhsa_user_sgpr_private_segment_buffer 1
		.amdhsa_user_sgpr_dispatch_ptr 0
		.amdhsa_user_sgpr_queue_ptr 0
		.amdhsa_user_sgpr_kernarg_segment_ptr 1
		.amdhsa_user_sgpr_dispatch_id 0
		.amdhsa_user_sgpr_flat_scratch_init 0
		.amdhsa_user_sgpr_private_segment_size 0
		.amdhsa_uses_dynamic_stack 0
		.amdhsa_system_sgpr_private_segment_wavefront_offset 0
		.amdhsa_system_sgpr_workgroup_id_x 1
		.amdhsa_system_sgpr_workgroup_id_y 0
		.amdhsa_system_sgpr_workgroup_id_z 0
		.amdhsa_system_sgpr_workgroup_info 0
		.amdhsa_system_vgpr_workitem_id 2
		.amdhsa_next_free_vgpr 114
		.amdhsa_next_free_sgpr 36
		.amdhsa_reserve_vcc 1
		.amdhsa_reserve_flat_scratch 0
		.amdhsa_float_round_mode_32 0
		.amdhsa_float_round_mode_16_64 0
		.amdhsa_float_denorm_mode_32 3
		.amdhsa_float_denorm_mode_16_64 3
		.amdhsa_dx10_clamp 1
		.amdhsa_ieee_mode 1
		.amdhsa_fp16_overflow 0
		.amdhsa_exception_fp_ieee_invalid_op 0
		.amdhsa_exception_fp_denorm_src 0
		.amdhsa_exception_fp_ieee_div_zero 0
		.amdhsa_exception_fp_ieee_overflow 0
		.amdhsa_exception_fp_ieee_underflow 0
		.amdhsa_exception_fp_ieee_inexact 0
		.amdhsa_exception_int_div_zero 0
	.end_amdhsa_kernel
	.section	.text._Z11rank_kernelIhLj4ELb0EL18RadixRankAlgorithm2ELj128ELj32ELj10EEvPKT_Pi,"axG",@progbits,_Z11rank_kernelIhLj4ELb0EL18RadixRankAlgorithm2ELj128ELj32ELj10EEvPKT_Pi,comdat
.Lfunc_end59:
	.size	_Z11rank_kernelIhLj4ELb0EL18RadixRankAlgorithm2ELj128ELj32ELj10EEvPKT_Pi, .Lfunc_end59-_Z11rank_kernelIhLj4ELb0EL18RadixRankAlgorithm2ELj128ELj32ELj10EEvPKT_Pi
                                        ; -- End function
	.set _Z11rank_kernelIhLj4ELb0EL18RadixRankAlgorithm2ELj128ELj32ELj10EEvPKT_Pi.num_vgpr, 114
	.set _Z11rank_kernelIhLj4ELb0EL18RadixRankAlgorithm2ELj128ELj32ELj10EEvPKT_Pi.num_agpr, 0
	.set _Z11rank_kernelIhLj4ELb0EL18RadixRankAlgorithm2ELj128ELj32ELj10EEvPKT_Pi.numbered_sgpr, 36
	.set _Z11rank_kernelIhLj4ELb0EL18RadixRankAlgorithm2ELj128ELj32ELj10EEvPKT_Pi.num_named_barrier, 0
	.set _Z11rank_kernelIhLj4ELb0EL18RadixRankAlgorithm2ELj128ELj32ELj10EEvPKT_Pi.private_seg_size, 0
	.set _Z11rank_kernelIhLj4ELb0EL18RadixRankAlgorithm2ELj128ELj32ELj10EEvPKT_Pi.uses_vcc, 1
	.set _Z11rank_kernelIhLj4ELb0EL18RadixRankAlgorithm2ELj128ELj32ELj10EEvPKT_Pi.uses_flat_scratch, 0
	.set _Z11rank_kernelIhLj4ELb0EL18RadixRankAlgorithm2ELj128ELj32ELj10EEvPKT_Pi.has_dyn_sized_stack, 0
	.set _Z11rank_kernelIhLj4ELb0EL18RadixRankAlgorithm2ELj128ELj32ELj10EEvPKT_Pi.has_recursion, 0
	.set _Z11rank_kernelIhLj4ELb0EL18RadixRankAlgorithm2ELj128ELj32ELj10EEvPKT_Pi.has_indirect_call, 0
	.section	.AMDGPU.csdata,"",@progbits
; Kernel info:
; codeLenInByte = 9260
; TotalNumSgprs: 40
; NumVgprs: 114
; ScratchSize: 0
; MemoryBound: 0
; FloatMode: 240
; IeeeMode: 1
; LDSByteSize: 520 bytes/workgroup (compile time only)
; SGPRBlocks: 4
; VGPRBlocks: 28
; NumSGPRsForWavesPerEU: 40
; NumVGPRsForWavesPerEU: 114
; Occupancy: 2
; WaveLimiterHint : 0
; COMPUTE_PGM_RSRC2:SCRATCH_EN: 0
; COMPUTE_PGM_RSRC2:USER_SGPR: 6
; COMPUTE_PGM_RSRC2:TRAP_HANDLER: 0
; COMPUTE_PGM_RSRC2:TGID_X_EN: 1
; COMPUTE_PGM_RSRC2:TGID_Y_EN: 0
; COMPUTE_PGM_RSRC2:TGID_Z_EN: 0
; COMPUTE_PGM_RSRC2:TIDIG_COMP_CNT: 2
	.section	.text._Z11rank_kernelIhLj4ELb0EL18RadixRankAlgorithm0ELj256ELj1ELj10EEvPKT_Pi,"axG",@progbits,_Z11rank_kernelIhLj4ELb0EL18RadixRankAlgorithm0ELj256ELj1ELj10EEvPKT_Pi,comdat
	.protected	_Z11rank_kernelIhLj4ELb0EL18RadixRankAlgorithm0ELj256ELj1ELj10EEvPKT_Pi ; -- Begin function _Z11rank_kernelIhLj4ELb0EL18RadixRankAlgorithm0ELj256ELj1ELj10EEvPKT_Pi
	.globl	_Z11rank_kernelIhLj4ELb0EL18RadixRankAlgorithm0ELj256ELj1ELj10EEvPKT_Pi
	.p2align	8
	.type	_Z11rank_kernelIhLj4ELb0EL18RadixRankAlgorithm0ELj256ELj1ELj10EEvPKT_Pi,@function
_Z11rank_kernelIhLj4ELb0EL18RadixRankAlgorithm0ELj256ELj1ELj10EEvPKT_Pi: ; @_Z11rank_kernelIhLj4ELb0EL18RadixRankAlgorithm0ELj256ELj1ELj10EEvPKT_Pi
; %bb.0:
	s_load_dwordx4 s[28:31], s[4:5], 0x0
	s_lshl_b32 s34, s6, 8
	v_mbcnt_lo_u32_b32 v3, -1, 0
	v_mbcnt_hi_u32_b32 v4, -1, v3
	v_or_b32_e32 v3, 63, v0
	s_waitcnt lgkmcnt(0)
	s_add_u32 s0, s28, s34
	s_addc_u32 s1, s29, 0
	global_load_ubyte v5, v0, s[0:1]
	v_lshrrev_b32_e32 v6, 4, v0
	v_subrev_co_u32_e64 v11, s[10:11], 1, v4
	v_and_b32_e32 v12, 64, v4
	s_movk_i32 s28, 0x700
	v_or_b32_e32 v8, 0x400, v0
	v_and_b32_e32 v9, 15, v4
	v_cmp_eq_u32_e64 s[8:9], v0, v3
	v_and_b32_e32 v3, 12, v6
	v_and_b32_e32 v6, 3, v4
	v_cmp_lt_i32_e64 s[24:25], v11, v12
	v_and_b32_e32 v10, 16, v4
	v_cmp_lt_u32_e64 s[6:7], 31, v4
	v_cmp_gt_u32_e64 s[12:13], s28, v8
	v_cmp_eq_u32_e64 s[14:15], 0, v9
	v_cmp_lt_u32_e64 s[16:17], 1, v9
	v_cmp_lt_u32_e64 s[18:19], 3, v9
	;; [unrolled: 1-line block ×3, first 2 shown]
	v_cndmask_b32_e64 v4, v11, v4, s[24:25]
	v_cmp_eq_u32_e64 s[24:25], 0, v6
	v_cmp_lt_u32_e64 s[26:27], 1, v6
	s_movk_i32 s2, 0x200
	s_movk_i32 s4, 0x100
	v_lshlrev_b32_e32 v2, 5, v0
	v_mul_i32_i24_e32 v7, 0xffffffe4, v0
	v_cmp_eq_u32_e64 s[22:23], 0, v10
	s_mov_b32 s35, 0
	v_mov_b32_e32 v1, 0
	s_mov_b32 s33, 10
	v_cmp_gt_u32_e32 vcc, 4, v0
	v_cmp_lt_u32_e64 s[0:1], 63, v0
	v_cmp_gt_u32_e64 s[2:3], s2, v0
	v_cmp_gt_u32_e64 s[4:5], s4, v0
	v_lshlrev_b32_e32 v4, 2, v4
	v_add_u32_e32 v7, v2, v7
	s_waitcnt vmcnt(0)
	v_lshlrev_b32_e32 v6, 4, v5
	v_lshrrev_b32_e32 v8, 6, v5
	v_lshlrev_b32_e32 v9, 8, v5
	v_lshrrev_b32_e32 v5, 2, v5
	v_and_or_b32 v6, v6, s28, v0
	v_and_b32_e32 v8, 2, v8
	v_and_or_b32 v9, v9, s28, v0
	v_and_b32_e32 v10, 2, v5
	v_lshl_or_b32 v5, v6, 2, v8
	v_lshl_or_b32 v6, v9, 2, v10
	s_branch .LBB60_2
.LBB60_1:                               ;   in Loop: Header=BB60_2 Depth=1
	s_or_b64 exec, exec, s[28:29]
	s_waitcnt lgkmcnt(0)
	v_add_u32_e32 v9, v10, v9
	ds_bpermute_b32 v9, v4, v9
	ds_read_b32 v17, v1 offset:8204
	ds_read2_b64 v[11:14], v2 offset1:1
	ds_read_b64 v[15:16], v2 offset:16
	ds_read_b32 v18, v2 offset:24
	s_add_i32 s33, s33, -1
	s_cmp_eq_u32 s33, 0
	s_waitcnt lgkmcnt(4)
	v_cndmask_b32_e64 v9, v9, v10, s[10:11]
	s_waitcnt lgkmcnt(3)
	v_lshl_add_u32 v9, v17, 16, v9
	s_waitcnt lgkmcnt(2)
	v_add_u32_e32 v10, v9, v11
	v_add_u32_e32 v11, v12, v10
	v_add_u32_e32 v12, v13, v11
	ds_write2_b64 v2, v[9:10], v[11:12] offset1:1
	v_add_u32_e32 v9, v14, v12
	s_waitcnt lgkmcnt(2)
	v_add_u32_e32 v10, v15, v9
	v_add_u32_e32 v11, v16, v10
	s_waitcnt lgkmcnt(1)
	v_add_u32_e32 v12, v18, v11
	ds_write2_b64 v2, v[9:10], v[11:12] offset0:2 offset1:3
	s_waitcnt lgkmcnt(0)
	s_barrier
	s_cbranch_scc1 .LBB60_22
.LBB60_2:                               ; =>This Inner Loop Header: Depth=1
	ds_write2st64_b32 v7, v1, v1 offset1:4
	ds_write2st64_b32 v7, v1, v1 offset0:8 offset1:12
	ds_write_b32 v7, v1 offset:4096
	s_and_saveexec_b64 s[28:29], s[12:13]
	s_cbranch_execz .LBB60_6
; %bb.3:                                ;   in Loop: Header=BB60_2 Depth=1
	ds_write_b32 v7, v1 offset:5120
	s_and_b64 exec, exec, s[2:3]
	s_cbranch_execz .LBB60_6
; %bb.4:                                ;   in Loop: Header=BB60_2 Depth=1
	ds_write_b32 v7, v1 offset:6144
	s_and_b64 exec, exec, s[4:5]
; %bb.5:                                ;   in Loop: Header=BB60_2 Depth=1
	ds_write_b32 v7, v1 offset:7168
.LBB60_6:                               ;   in Loop: Header=BB60_2 Depth=1
	s_or_b64 exec, exec, s[28:29]
	ds_read_u16 v8, v6
	s_waitcnt lgkmcnt(0)
	v_add_u16_e32 v8, 1, v8
	ds_write_b16 v6, v8
	s_waitcnt lgkmcnt(0)
	s_barrier
	ds_read2_b64 v[8:11], v2 offset1:1
	ds_read2_b64 v[12:15], v2 offset0:2 offset1:3
	s_waitcnt lgkmcnt(1)
	v_add_u32_e32 v8, v9, v8
	v_add3_u32 v8, v8, v10, v11
	s_waitcnt lgkmcnt(0)
	v_add3_u32 v8, v8, v12, v13
	v_add3_u32 v8, v8, v14, v15
	s_nop 1
	v_mov_b32_dpp v9, v8 row_shr:1 row_mask:0xf bank_mask:0xf
	v_cndmask_b32_e64 v9, v9, 0, s[14:15]
	v_add_u32_e32 v8, v9, v8
	s_nop 1
	v_mov_b32_dpp v9, v8 row_shr:2 row_mask:0xf bank_mask:0xf
	v_cndmask_b32_e64 v9, 0, v9, s[16:17]
	v_add_u32_e32 v8, v8, v9
	;; [unrolled: 4-line block ×4, first 2 shown]
	s_nop 1
	v_mov_b32_dpp v9, v8 row_bcast:15 row_mask:0xf bank_mask:0xf
	v_cndmask_b32_e64 v9, v9, 0, s[22:23]
	v_add_u32_e32 v8, v8, v9
	s_nop 1
	v_mov_b32_dpp v9, v8 row_bcast:31 row_mask:0xf bank_mask:0xf
	v_cndmask_b32_e64 v9, 0, v9, s[6:7]
	v_add_u32_e32 v8, v8, v9
	s_and_saveexec_b64 s[28:29], s[8:9]
; %bb.7:                                ;   in Loop: Header=BB60_2 Depth=1
	ds_write_b32 v3, v8 offset:8192
; %bb.8:                                ;   in Loop: Header=BB60_2 Depth=1
	s_or_b64 exec, exec, s[28:29]
	s_waitcnt lgkmcnt(0)
	s_barrier
	s_and_saveexec_b64 s[28:29], vcc
	s_cbranch_execz .LBB60_10
; %bb.9:                                ;   in Loop: Header=BB60_2 Depth=1
	ds_read_b32 v9, v7 offset:8192
	s_waitcnt lgkmcnt(0)
	s_nop 0
	v_mov_b32_dpp v10, v9 row_shr:1 row_mask:0xf bank_mask:0xf
	v_cndmask_b32_e64 v10, v10, 0, s[24:25]
	v_add_u32_e32 v9, v10, v9
	s_nop 1
	v_mov_b32_dpp v10, v9 row_shr:2 row_mask:0xf bank_mask:0xf
	v_cndmask_b32_e64 v10, 0, v10, s[26:27]
	v_add_u32_e32 v9, v9, v10
	ds_write_b32 v7, v9 offset:8192
.LBB60_10:                              ;   in Loop: Header=BB60_2 Depth=1
	s_or_b64 exec, exec, s[28:29]
	v_mov_b32_e32 v9, 0
	s_waitcnt lgkmcnt(0)
	s_barrier
	s_and_saveexec_b64 s[28:29], s[0:1]
; %bb.11:                               ;   in Loop: Header=BB60_2 Depth=1
	ds_read_b32 v9, v3 offset:8188
; %bb.12:                               ;   in Loop: Header=BB60_2 Depth=1
	s_or_b64 exec, exec, s[28:29]
	s_waitcnt lgkmcnt(0)
	v_add_u32_e32 v8, v9, v8
	ds_bpermute_b32 v8, v4, v8
	ds_read_b32 v16, v1 offset:8204
	ds_read2_b64 v[10:13], v2 offset1:1
	ds_read_b64 v[14:15], v2 offset:16
	ds_read_b32 v17, v2 offset:24
	s_waitcnt lgkmcnt(4)
	v_cndmask_b32_e64 v8, v8, v9, s[10:11]
	s_waitcnt lgkmcnt(3)
	v_lshl_add_u32 v8, v16, 16, v8
	s_waitcnt lgkmcnt(2)
	v_add_u32_e32 v9, v8, v10
	v_add_u32_e32 v10, v11, v9
	;; [unrolled: 1-line block ×3, first 2 shown]
	ds_write2_b64 v2, v[8:9], v[10:11] offset1:1
	v_add_u32_e32 v8, v13, v11
	s_waitcnt lgkmcnt(2)
	v_add_u32_e32 v9, v14, v8
	v_add_u32_e32 v10, v15, v9
	s_waitcnt lgkmcnt(1)
	v_add_u32_e32 v11, v17, v10
	ds_write2_b64 v2, v[8:9], v[10:11] offset0:2 offset1:3
	s_waitcnt lgkmcnt(0)
	s_barrier
	ds_write2st64_b32 v7, v1, v1 offset1:4
	ds_write2st64_b32 v7, v1, v1 offset0:8 offset1:12
	ds_write_b32 v7, v1 offset:4096
	s_and_saveexec_b64 s[28:29], s[12:13]
	s_cbranch_execz .LBB60_16
; %bb.13:                               ;   in Loop: Header=BB60_2 Depth=1
	ds_write_b32 v7, v1 offset:5120
	s_and_b64 exec, exec, s[2:3]
	s_cbranch_execz .LBB60_16
; %bb.14:                               ;   in Loop: Header=BB60_2 Depth=1
	ds_write_b32 v7, v1 offset:6144
	s_and_b64 exec, exec, s[4:5]
; %bb.15:                               ;   in Loop: Header=BB60_2 Depth=1
	ds_write_b32 v7, v1 offset:7168
.LBB60_16:                              ;   in Loop: Header=BB60_2 Depth=1
	s_or_b64 exec, exec, s[28:29]
	ds_read_u16 v8, v5
	s_waitcnt lgkmcnt(0)
	v_add_u16_e32 v9, 1, v8
	ds_write_b16 v5, v9
	s_waitcnt lgkmcnt(0)
	s_barrier
	ds_read2_b64 v[9:12], v2 offset1:1
	ds_read2_b64 v[13:16], v2 offset0:2 offset1:3
	s_waitcnt lgkmcnt(1)
	v_add_u32_e32 v9, v10, v9
	v_add3_u32 v9, v9, v11, v12
	s_waitcnt lgkmcnt(0)
	v_add3_u32 v9, v9, v13, v14
	v_add3_u32 v9, v9, v15, v16
	s_nop 1
	v_mov_b32_dpp v10, v9 row_shr:1 row_mask:0xf bank_mask:0xf
	v_cndmask_b32_e64 v10, v10, 0, s[14:15]
	v_add_u32_e32 v9, v10, v9
	s_nop 1
	v_mov_b32_dpp v10, v9 row_shr:2 row_mask:0xf bank_mask:0xf
	v_cndmask_b32_e64 v10, 0, v10, s[16:17]
	v_add_u32_e32 v9, v9, v10
	;; [unrolled: 4-line block ×4, first 2 shown]
	s_nop 1
	v_mov_b32_dpp v10, v9 row_bcast:15 row_mask:0xf bank_mask:0xf
	v_cndmask_b32_e64 v10, v10, 0, s[22:23]
	v_add_u32_e32 v9, v9, v10
	s_nop 1
	v_mov_b32_dpp v10, v9 row_bcast:31 row_mask:0xf bank_mask:0xf
	v_cndmask_b32_e64 v10, 0, v10, s[6:7]
	v_add_u32_e32 v9, v9, v10
	s_and_saveexec_b64 s[28:29], s[8:9]
; %bb.17:                               ;   in Loop: Header=BB60_2 Depth=1
	ds_write_b32 v3, v9 offset:8192
; %bb.18:                               ;   in Loop: Header=BB60_2 Depth=1
	s_or_b64 exec, exec, s[28:29]
	s_waitcnt lgkmcnt(0)
	s_barrier
	s_and_saveexec_b64 s[28:29], vcc
	s_cbranch_execz .LBB60_20
; %bb.19:                               ;   in Loop: Header=BB60_2 Depth=1
	ds_read_b32 v10, v7 offset:8192
	s_waitcnt lgkmcnt(0)
	s_nop 0
	v_mov_b32_dpp v11, v10 row_shr:1 row_mask:0xf bank_mask:0xf
	v_cndmask_b32_e64 v11, v11, 0, s[24:25]
	v_add_u32_e32 v10, v11, v10
	s_nop 1
	v_mov_b32_dpp v11, v10 row_shr:2 row_mask:0xf bank_mask:0xf
	v_cndmask_b32_e64 v11, 0, v11, s[26:27]
	v_add_u32_e32 v10, v10, v11
	ds_write_b32 v7, v10 offset:8192
.LBB60_20:                              ;   in Loop: Header=BB60_2 Depth=1
	s_or_b64 exec, exec, s[28:29]
	v_mov_b32_e32 v10, 0
	s_waitcnt lgkmcnt(0)
	s_barrier
	s_and_saveexec_b64 s[28:29], s[0:1]
	s_cbranch_execz .LBB60_1
; %bb.21:                               ;   in Loop: Header=BB60_2 Depth=1
	ds_read_b32 v10, v3 offset:8188
	s_branch .LBB60_1
.LBB60_22:
	ds_read_u16 v1, v5
	s_lshl_b64 s[0:1], s[34:35], 2
	s_add_u32 s0, s30, s0
	s_addc_u32 s1, s31, s1
	v_lshlrev_b32_e32 v0, 2, v0
	s_waitcnt lgkmcnt(0)
	v_add_u32_sdwa v1, v1, v8 dst_sel:DWORD dst_unused:UNUSED_PAD src0_sel:DWORD src1_sel:WORD_0
	global_store_dword v0, v1, s[0:1]
	s_endpgm
	.section	.rodata,"a",@progbits
	.p2align	6, 0x0
	.amdhsa_kernel _Z11rank_kernelIhLj4ELb0EL18RadixRankAlgorithm0ELj256ELj1ELj10EEvPKT_Pi
		.amdhsa_group_segment_fixed_size 8208
		.amdhsa_private_segment_fixed_size 0
		.amdhsa_kernarg_size 16
		.amdhsa_user_sgpr_count 6
		.amdhsa_user_sgpr_private_segment_buffer 1
		.amdhsa_user_sgpr_dispatch_ptr 0
		.amdhsa_user_sgpr_queue_ptr 0
		.amdhsa_user_sgpr_kernarg_segment_ptr 1
		.amdhsa_user_sgpr_dispatch_id 0
		.amdhsa_user_sgpr_flat_scratch_init 0
		.amdhsa_user_sgpr_private_segment_size 0
		.amdhsa_uses_dynamic_stack 0
		.amdhsa_system_sgpr_private_segment_wavefront_offset 0
		.amdhsa_system_sgpr_workgroup_id_x 1
		.amdhsa_system_sgpr_workgroup_id_y 0
		.amdhsa_system_sgpr_workgroup_id_z 0
		.amdhsa_system_sgpr_workgroup_info 0
		.amdhsa_system_vgpr_workitem_id 0
		.amdhsa_next_free_vgpr 33
		.amdhsa_next_free_sgpr 77
		.amdhsa_reserve_vcc 1
		.amdhsa_reserve_flat_scratch 0
		.amdhsa_float_round_mode_32 0
		.amdhsa_float_round_mode_16_64 0
		.amdhsa_float_denorm_mode_32 3
		.amdhsa_float_denorm_mode_16_64 3
		.amdhsa_dx10_clamp 1
		.amdhsa_ieee_mode 1
		.amdhsa_fp16_overflow 0
		.amdhsa_exception_fp_ieee_invalid_op 0
		.amdhsa_exception_fp_denorm_src 0
		.amdhsa_exception_fp_ieee_div_zero 0
		.amdhsa_exception_fp_ieee_overflow 0
		.amdhsa_exception_fp_ieee_underflow 0
		.amdhsa_exception_fp_ieee_inexact 0
		.amdhsa_exception_int_div_zero 0
	.end_amdhsa_kernel
	.section	.text._Z11rank_kernelIhLj4ELb0EL18RadixRankAlgorithm0ELj256ELj1ELj10EEvPKT_Pi,"axG",@progbits,_Z11rank_kernelIhLj4ELb0EL18RadixRankAlgorithm0ELj256ELj1ELj10EEvPKT_Pi,comdat
.Lfunc_end60:
	.size	_Z11rank_kernelIhLj4ELb0EL18RadixRankAlgorithm0ELj256ELj1ELj10EEvPKT_Pi, .Lfunc_end60-_Z11rank_kernelIhLj4ELb0EL18RadixRankAlgorithm0ELj256ELj1ELj10EEvPKT_Pi
                                        ; -- End function
	.set _Z11rank_kernelIhLj4ELb0EL18RadixRankAlgorithm0ELj256ELj1ELj10EEvPKT_Pi.num_vgpr, 19
	.set _Z11rank_kernelIhLj4ELb0EL18RadixRankAlgorithm0ELj256ELj1ELj10EEvPKT_Pi.num_agpr, 0
	.set _Z11rank_kernelIhLj4ELb0EL18RadixRankAlgorithm0ELj256ELj1ELj10EEvPKT_Pi.numbered_sgpr, 36
	.set _Z11rank_kernelIhLj4ELb0EL18RadixRankAlgorithm0ELj256ELj1ELj10EEvPKT_Pi.num_named_barrier, 0
	.set _Z11rank_kernelIhLj4ELb0EL18RadixRankAlgorithm0ELj256ELj1ELj10EEvPKT_Pi.private_seg_size, 0
	.set _Z11rank_kernelIhLj4ELb0EL18RadixRankAlgorithm0ELj256ELj1ELj10EEvPKT_Pi.uses_vcc, 1
	.set _Z11rank_kernelIhLj4ELb0EL18RadixRankAlgorithm0ELj256ELj1ELj10EEvPKT_Pi.uses_flat_scratch, 0
	.set _Z11rank_kernelIhLj4ELb0EL18RadixRankAlgorithm0ELj256ELj1ELj10EEvPKT_Pi.has_dyn_sized_stack, 0
	.set _Z11rank_kernelIhLj4ELb0EL18RadixRankAlgorithm0ELj256ELj1ELj10EEvPKT_Pi.has_recursion, 0
	.set _Z11rank_kernelIhLj4ELb0EL18RadixRankAlgorithm0ELj256ELj1ELj10EEvPKT_Pi.has_indirect_call, 0
	.section	.AMDGPU.csdata,"",@progbits
; Kernel info:
; codeLenInByte = 1528
; TotalNumSgprs: 40
; NumVgprs: 19
; ScratchSize: 0
; MemoryBound: 0
; FloatMode: 240
; IeeeMode: 1
; LDSByteSize: 8208 bytes/workgroup (compile time only)
; SGPRBlocks: 10
; VGPRBlocks: 8
; NumSGPRsForWavesPerEU: 81
; NumVGPRsForWavesPerEU: 33
; Occupancy: 7
; WaveLimiterHint : 0
; COMPUTE_PGM_RSRC2:SCRATCH_EN: 0
; COMPUTE_PGM_RSRC2:USER_SGPR: 6
; COMPUTE_PGM_RSRC2:TRAP_HANDLER: 0
; COMPUTE_PGM_RSRC2:TGID_X_EN: 1
; COMPUTE_PGM_RSRC2:TGID_Y_EN: 0
; COMPUTE_PGM_RSRC2:TGID_Z_EN: 0
; COMPUTE_PGM_RSRC2:TIDIG_COMP_CNT: 0
	.section	.text._Z11rank_kernelIhLj4ELb0EL18RadixRankAlgorithm1ELj256ELj1ELj10EEvPKT_Pi,"axG",@progbits,_Z11rank_kernelIhLj4ELb0EL18RadixRankAlgorithm1ELj256ELj1ELj10EEvPKT_Pi,comdat
	.protected	_Z11rank_kernelIhLj4ELb0EL18RadixRankAlgorithm1ELj256ELj1ELj10EEvPKT_Pi ; -- Begin function _Z11rank_kernelIhLj4ELb0EL18RadixRankAlgorithm1ELj256ELj1ELj10EEvPKT_Pi
	.globl	_Z11rank_kernelIhLj4ELb0EL18RadixRankAlgorithm1ELj256ELj1ELj10EEvPKT_Pi
	.p2align	8
	.type	_Z11rank_kernelIhLj4ELb0EL18RadixRankAlgorithm1ELj256ELj1ELj10EEvPKT_Pi,@function
_Z11rank_kernelIhLj4ELb0EL18RadixRankAlgorithm1ELj256ELj1ELj10EEvPKT_Pi: ; @_Z11rank_kernelIhLj4ELb0EL18RadixRankAlgorithm1ELj256ELj1ELj10EEvPKT_Pi
; %bb.0:
	s_load_dwordx4 s[28:31], s[4:5], 0x0
	s_lshl_b32 s34, s6, 8
	v_mbcnt_lo_u32_b32 v2, -1, 0
	v_mbcnt_hi_u32_b32 v2, -1, v2
	v_or_b32_e32 v3, 63, v0
	s_waitcnt lgkmcnt(0)
	s_add_u32 s0, s28, s34
	s_addc_u32 s1, s29, 0
	global_load_ubyte v1, v0, s[0:1]
	v_cmp_eq_u32_e64 s[8:9], v0, v3
	v_subrev_co_u32_e64 v3, s[10:11], 1, v2
	v_and_b32_e32 v12, 64, v2
	v_lshrrev_b32_e32 v4, 4, v0
	v_cmp_lt_i32_e64 s[24:25], v3, v12
	v_and_b32_e32 v7, 15, v2
	v_and_b32_e32 v8, 16, v2
	v_cmp_lt_u32_e64 s[6:7], 31, v2
	v_and_b32_e32 v11, 12, v4
	v_and_b32_e32 v4, 3, v2
	v_cndmask_b32_e64 v2, v3, v2, s[24:25]
	s_movk_i32 s28, 0x700
	v_cmp_eq_u32_e64 s[24:25], 0, v4
	v_cmp_lt_u32_e64 s[26:27], 1, v4
	v_lshlrev_b32_e32 v12, 2, v2
	s_movk_i32 s2, 0x200
	s_movk_i32 s4, 0x100
	v_lshlrev_b32_e32 v10, 5, v0
	v_mul_i32_i24_e32 v5, 0xffffffe4, v0
	v_or_b32_e32 v6, 0x400, v0
	s_mov_b32 s35, 0
	v_mov_b32_e32 v9, 0
	s_mov_b32 s33, 10
	v_cmp_gt_u32_e32 vcc, 4, v0
	v_cmp_lt_u32_e64 s[0:1], 63, v0
	v_cmp_gt_u32_e64 s[2:3], s2, v0
	v_cmp_gt_u32_e64 s[4:5], s4, v0
	;; [unrolled: 1-line block ×3, first 2 shown]
	v_cmp_eq_u32_e64 s[14:15], 0, v7
	v_cmp_lt_u32_e64 s[16:17], 1, v7
	v_cmp_lt_u32_e64 s[18:19], 3, v7
	;; [unrolled: 1-line block ×3, first 2 shown]
	v_cmp_eq_u32_e64 s[22:23], 0, v8
	v_add_u32_e32 v15, v10, v5
	s_waitcnt vmcnt(0)
	v_lshlrev_b32_e32 v2, 4, v1
	v_lshrrev_b32_e32 v3, 6, v1
	v_lshlrev_b32_e32 v4, 8, v1
	v_lshrrev_b32_e32 v1, 2, v1
	v_and_or_b32 v2, v2, s28, v0
	v_and_b32_e32 v3, 2, v3
	v_and_or_b32 v4, v4, s28, v0
	v_and_b32_e32 v1, 2, v1
	v_lshl_or_b32 v13, v2, 2, v3
	v_lshl_or_b32 v14, v4, 2, v1
	s_branch .LBB61_2
.LBB61_1:                               ;   in Loop: Header=BB61_2 Depth=1
	s_or_b64 exec, exec, s[28:29]
	s_waitcnt lgkmcnt(0)
	v_add_u32_e32 v4, v17, v4
	ds_bpermute_b32 v4, v12, v4
	ds_read_b32 v18, v9 offset:8204
	s_add_i32 s33, s33, -1
	s_cmp_eq_u32 s33, 0
	s_waitcnt lgkmcnt(1)
	v_cndmask_b32_e64 v4, v4, v17, s[10:11]
	s_waitcnt lgkmcnt(0)
	v_lshl_add_u32 v4, v18, 16, v4
	v_add_u32_e32 v5, v4, v5
	v_add_u32_e32 v6, v5, v6
	;; [unrolled: 1-line block ×7, first 2 shown]
	ds_write2_b64 v10, v[4:5], v[6:7] offset1:1
	ds_write2_b64 v10, v[17:18], v[1:2] offset0:2 offset1:3
	s_waitcnt lgkmcnt(0)
	s_barrier
	s_cbranch_scc1 .LBB61_22
.LBB61_2:                               ; =>This Inner Loop Header: Depth=1
	ds_write2st64_b32 v15, v9, v9 offset1:4
	ds_write2st64_b32 v15, v9, v9 offset0:8 offset1:12
	ds_write_b32 v15, v9 offset:4096
	s_and_saveexec_b64 s[28:29], s[12:13]
	s_cbranch_execz .LBB61_6
; %bb.3:                                ;   in Loop: Header=BB61_2 Depth=1
	ds_write_b32 v15, v9 offset:5120
	s_and_b64 exec, exec, s[2:3]
	s_cbranch_execz .LBB61_6
; %bb.4:                                ;   in Loop: Header=BB61_2 Depth=1
	ds_write_b32 v15, v9 offset:6144
	s_and_b64 exec, exec, s[4:5]
; %bb.5:                                ;   in Loop: Header=BB61_2 Depth=1
	ds_write_b32 v15, v9 offset:7168
.LBB61_6:                               ;   in Loop: Header=BB61_2 Depth=1
	s_or_b64 exec, exec, s[28:29]
	ds_read_u16 v1, v14
	s_waitcnt lgkmcnt(0)
	v_add_u16_e32 v1, 1, v1
	ds_write_b16 v14, v1
	s_waitcnt lgkmcnt(0)
	s_barrier
	ds_read2_b64 v[5:8], v10 offset1:1
	ds_read2_b64 v[1:4], v10 offset0:2 offset1:3
	s_waitcnt lgkmcnt(1)
	v_add_u32_e32 v16, v6, v5
	v_add3_u32 v16, v16, v7, v8
	s_waitcnt lgkmcnt(0)
	v_add3_u32 v16, v16, v1, v2
	v_add3_u32 v4, v16, v3, v4
	s_nop 1
	v_mov_b32_dpp v16, v4 row_shr:1 row_mask:0xf bank_mask:0xf
	v_cndmask_b32_e64 v16, v16, 0, s[14:15]
	v_add_u32_e32 v4, v16, v4
	s_nop 1
	v_mov_b32_dpp v16, v4 row_shr:2 row_mask:0xf bank_mask:0xf
	v_cndmask_b32_e64 v16, 0, v16, s[16:17]
	v_add_u32_e32 v4, v4, v16
	;; [unrolled: 4-line block ×4, first 2 shown]
	s_nop 1
	v_mov_b32_dpp v16, v4 row_bcast:15 row_mask:0xf bank_mask:0xf
	v_cndmask_b32_e64 v16, v16, 0, s[22:23]
	v_add_u32_e32 v4, v4, v16
	s_nop 1
	v_mov_b32_dpp v16, v4 row_bcast:31 row_mask:0xf bank_mask:0xf
	v_cndmask_b32_e64 v16, 0, v16, s[6:7]
	v_add_u32_e32 v4, v4, v16
	s_and_saveexec_b64 s[28:29], s[8:9]
; %bb.7:                                ;   in Loop: Header=BB61_2 Depth=1
	ds_write_b32 v11, v4 offset:8192
; %bb.8:                                ;   in Loop: Header=BB61_2 Depth=1
	s_or_b64 exec, exec, s[28:29]
	s_waitcnt lgkmcnt(0)
	s_barrier
	s_and_saveexec_b64 s[28:29], vcc
	s_cbranch_execz .LBB61_10
; %bb.9:                                ;   in Loop: Header=BB61_2 Depth=1
	ds_read_b32 v16, v15 offset:8192
	s_waitcnt lgkmcnt(0)
	s_nop 0
	v_mov_b32_dpp v17, v16 row_shr:1 row_mask:0xf bank_mask:0xf
	v_cndmask_b32_e64 v17, v17, 0, s[24:25]
	v_add_u32_e32 v16, v17, v16
	s_nop 1
	v_mov_b32_dpp v17, v16 row_shr:2 row_mask:0xf bank_mask:0xf
	v_cndmask_b32_e64 v17, 0, v17, s[26:27]
	v_add_u32_e32 v16, v16, v17
	ds_write_b32 v15, v16 offset:8192
.LBB61_10:                              ;   in Loop: Header=BB61_2 Depth=1
	s_or_b64 exec, exec, s[28:29]
	v_mov_b32_e32 v16, 0
	s_waitcnt lgkmcnt(0)
	s_barrier
	s_and_saveexec_b64 s[28:29], s[0:1]
; %bb.11:                               ;   in Loop: Header=BB61_2 Depth=1
	ds_read_b32 v16, v11 offset:8188
; %bb.12:                               ;   in Loop: Header=BB61_2 Depth=1
	s_or_b64 exec, exec, s[28:29]
	s_waitcnt lgkmcnt(0)
	v_add_u32_e32 v4, v16, v4
	ds_bpermute_b32 v4, v12, v4
	ds_read_b32 v17, v9 offset:8204
	s_waitcnt lgkmcnt(1)
	v_cndmask_b32_e64 v4, v4, v16, s[10:11]
	s_waitcnt lgkmcnt(0)
	v_lshl_add_u32 v4, v17, 16, v4
	v_add_u32_e32 v5, v4, v5
	v_add_u32_e32 v6, v5, v6
	;; [unrolled: 1-line block ×7, first 2 shown]
	ds_write2_b64 v10, v[4:5], v[6:7] offset1:1
	ds_write2_b64 v10, v[16:17], v[1:2] offset0:2 offset1:3
	s_waitcnt lgkmcnt(0)
	s_barrier
	ds_write2st64_b32 v15, v9, v9 offset1:4
	ds_write2st64_b32 v15, v9, v9 offset0:8 offset1:12
	ds_write_b32 v15, v9 offset:4096
	s_and_saveexec_b64 s[28:29], s[12:13]
	s_cbranch_execz .LBB61_16
; %bb.13:                               ;   in Loop: Header=BB61_2 Depth=1
	ds_write_b32 v15, v9 offset:5120
	s_and_b64 exec, exec, s[2:3]
	s_cbranch_execz .LBB61_16
; %bb.14:                               ;   in Loop: Header=BB61_2 Depth=1
	ds_write_b32 v15, v9 offset:6144
	s_and_b64 exec, exec, s[4:5]
; %bb.15:                               ;   in Loop: Header=BB61_2 Depth=1
	ds_write_b32 v15, v9 offset:7168
.LBB61_16:                              ;   in Loop: Header=BB61_2 Depth=1
	s_or_b64 exec, exec, s[28:29]
	ds_read_u16 v16, v13
	s_waitcnt lgkmcnt(0)
	v_add_u16_e32 v1, 1, v16
	ds_write_b16 v13, v1
	s_waitcnt lgkmcnt(0)
	s_barrier
	ds_read2_b64 v[5:8], v10 offset1:1
	ds_read2_b64 v[1:4], v10 offset0:2 offset1:3
	s_waitcnt lgkmcnt(1)
	v_add_u32_e32 v17, v6, v5
	v_add3_u32 v17, v17, v7, v8
	s_waitcnt lgkmcnt(0)
	v_add3_u32 v17, v17, v1, v2
	v_add3_u32 v4, v17, v3, v4
	s_nop 1
	v_mov_b32_dpp v17, v4 row_shr:1 row_mask:0xf bank_mask:0xf
	v_cndmask_b32_e64 v17, v17, 0, s[14:15]
	v_add_u32_e32 v4, v17, v4
	s_nop 1
	v_mov_b32_dpp v17, v4 row_shr:2 row_mask:0xf bank_mask:0xf
	v_cndmask_b32_e64 v17, 0, v17, s[16:17]
	v_add_u32_e32 v4, v4, v17
	;; [unrolled: 4-line block ×4, first 2 shown]
	s_nop 1
	v_mov_b32_dpp v17, v4 row_bcast:15 row_mask:0xf bank_mask:0xf
	v_cndmask_b32_e64 v17, v17, 0, s[22:23]
	v_add_u32_e32 v4, v4, v17
	s_nop 1
	v_mov_b32_dpp v17, v4 row_bcast:31 row_mask:0xf bank_mask:0xf
	v_cndmask_b32_e64 v17, 0, v17, s[6:7]
	v_add_u32_e32 v4, v4, v17
	s_and_saveexec_b64 s[28:29], s[8:9]
; %bb.17:                               ;   in Loop: Header=BB61_2 Depth=1
	ds_write_b32 v11, v4 offset:8192
; %bb.18:                               ;   in Loop: Header=BB61_2 Depth=1
	s_or_b64 exec, exec, s[28:29]
	s_waitcnt lgkmcnt(0)
	s_barrier
	s_and_saveexec_b64 s[28:29], vcc
	s_cbranch_execz .LBB61_20
; %bb.19:                               ;   in Loop: Header=BB61_2 Depth=1
	ds_read_b32 v17, v15 offset:8192
	s_waitcnt lgkmcnt(0)
	s_nop 0
	v_mov_b32_dpp v18, v17 row_shr:1 row_mask:0xf bank_mask:0xf
	v_cndmask_b32_e64 v18, v18, 0, s[24:25]
	v_add_u32_e32 v17, v18, v17
	s_nop 1
	v_mov_b32_dpp v18, v17 row_shr:2 row_mask:0xf bank_mask:0xf
	v_cndmask_b32_e64 v18, 0, v18, s[26:27]
	v_add_u32_e32 v17, v17, v18
	ds_write_b32 v15, v17 offset:8192
.LBB61_20:                              ;   in Loop: Header=BB61_2 Depth=1
	s_or_b64 exec, exec, s[28:29]
	v_mov_b32_e32 v17, 0
	s_waitcnt lgkmcnt(0)
	s_barrier
	s_and_saveexec_b64 s[28:29], s[0:1]
	s_cbranch_execz .LBB61_1
; %bb.21:                               ;   in Loop: Header=BB61_2 Depth=1
	ds_read_b32 v17, v11 offset:8188
	s_branch .LBB61_1
.LBB61_22:
	ds_read_u16 v1, v13
	s_lshl_b64 s[0:1], s[34:35], 2
	s_add_u32 s0, s30, s0
	s_addc_u32 s1, s31, s1
	v_lshlrev_b32_e32 v0, 2, v0
	s_waitcnt lgkmcnt(0)
	v_add_u32_sdwa v1, v1, v16 dst_sel:DWORD dst_unused:UNUSED_PAD src0_sel:DWORD src1_sel:WORD_0
	global_store_dword v0, v1, s[0:1]
	s_endpgm
	.section	.rodata,"a",@progbits
	.p2align	6, 0x0
	.amdhsa_kernel _Z11rank_kernelIhLj4ELb0EL18RadixRankAlgorithm1ELj256ELj1ELj10EEvPKT_Pi
		.amdhsa_group_segment_fixed_size 8208
		.amdhsa_private_segment_fixed_size 0
		.amdhsa_kernarg_size 16
		.amdhsa_user_sgpr_count 6
		.amdhsa_user_sgpr_private_segment_buffer 1
		.amdhsa_user_sgpr_dispatch_ptr 0
		.amdhsa_user_sgpr_queue_ptr 0
		.amdhsa_user_sgpr_kernarg_segment_ptr 1
		.amdhsa_user_sgpr_dispatch_id 0
		.amdhsa_user_sgpr_flat_scratch_init 0
		.amdhsa_user_sgpr_private_segment_size 0
		.amdhsa_uses_dynamic_stack 0
		.amdhsa_system_sgpr_private_segment_wavefront_offset 0
		.amdhsa_system_sgpr_workgroup_id_x 1
		.amdhsa_system_sgpr_workgroup_id_y 0
		.amdhsa_system_sgpr_workgroup_id_z 0
		.amdhsa_system_sgpr_workgroup_info 0
		.amdhsa_system_vgpr_workitem_id 0
		.amdhsa_next_free_vgpr 33
		.amdhsa_next_free_sgpr 77
		.amdhsa_reserve_vcc 1
		.amdhsa_reserve_flat_scratch 0
		.amdhsa_float_round_mode_32 0
		.amdhsa_float_round_mode_16_64 0
		.amdhsa_float_denorm_mode_32 3
		.amdhsa_float_denorm_mode_16_64 3
		.amdhsa_dx10_clamp 1
		.amdhsa_ieee_mode 1
		.amdhsa_fp16_overflow 0
		.amdhsa_exception_fp_ieee_invalid_op 0
		.amdhsa_exception_fp_denorm_src 0
		.amdhsa_exception_fp_ieee_div_zero 0
		.amdhsa_exception_fp_ieee_overflow 0
		.amdhsa_exception_fp_ieee_underflow 0
		.amdhsa_exception_fp_ieee_inexact 0
		.amdhsa_exception_int_div_zero 0
	.end_amdhsa_kernel
	.section	.text._Z11rank_kernelIhLj4ELb0EL18RadixRankAlgorithm1ELj256ELj1ELj10EEvPKT_Pi,"axG",@progbits,_Z11rank_kernelIhLj4ELb0EL18RadixRankAlgorithm1ELj256ELj1ELj10EEvPKT_Pi,comdat
.Lfunc_end61:
	.size	_Z11rank_kernelIhLj4ELb0EL18RadixRankAlgorithm1ELj256ELj1ELj10EEvPKT_Pi, .Lfunc_end61-_Z11rank_kernelIhLj4ELb0EL18RadixRankAlgorithm1ELj256ELj1ELj10EEvPKT_Pi
                                        ; -- End function
	.set _Z11rank_kernelIhLj4ELb0EL18RadixRankAlgorithm1ELj256ELj1ELj10EEvPKT_Pi.num_vgpr, 19
	.set _Z11rank_kernelIhLj4ELb0EL18RadixRankAlgorithm1ELj256ELj1ELj10EEvPKT_Pi.num_agpr, 0
	.set _Z11rank_kernelIhLj4ELb0EL18RadixRankAlgorithm1ELj256ELj1ELj10EEvPKT_Pi.numbered_sgpr, 36
	.set _Z11rank_kernelIhLj4ELb0EL18RadixRankAlgorithm1ELj256ELj1ELj10EEvPKT_Pi.num_named_barrier, 0
	.set _Z11rank_kernelIhLj4ELb0EL18RadixRankAlgorithm1ELj256ELj1ELj10EEvPKT_Pi.private_seg_size, 0
	.set _Z11rank_kernelIhLj4ELb0EL18RadixRankAlgorithm1ELj256ELj1ELj10EEvPKT_Pi.uses_vcc, 1
	.set _Z11rank_kernelIhLj4ELb0EL18RadixRankAlgorithm1ELj256ELj1ELj10EEvPKT_Pi.uses_flat_scratch, 0
	.set _Z11rank_kernelIhLj4ELb0EL18RadixRankAlgorithm1ELj256ELj1ELj10EEvPKT_Pi.has_dyn_sized_stack, 0
	.set _Z11rank_kernelIhLj4ELb0EL18RadixRankAlgorithm1ELj256ELj1ELj10EEvPKT_Pi.has_recursion, 0
	.set _Z11rank_kernelIhLj4ELb0EL18RadixRankAlgorithm1ELj256ELj1ELj10EEvPKT_Pi.has_indirect_call, 0
	.section	.AMDGPU.csdata,"",@progbits
; Kernel info:
; codeLenInByte = 1456
; TotalNumSgprs: 40
; NumVgprs: 19
; ScratchSize: 0
; MemoryBound: 0
; FloatMode: 240
; IeeeMode: 1
; LDSByteSize: 8208 bytes/workgroup (compile time only)
; SGPRBlocks: 10
; VGPRBlocks: 8
; NumSGPRsForWavesPerEU: 81
; NumVGPRsForWavesPerEU: 33
; Occupancy: 7
; WaveLimiterHint : 0
; COMPUTE_PGM_RSRC2:SCRATCH_EN: 0
; COMPUTE_PGM_RSRC2:USER_SGPR: 6
; COMPUTE_PGM_RSRC2:TRAP_HANDLER: 0
; COMPUTE_PGM_RSRC2:TGID_X_EN: 1
; COMPUTE_PGM_RSRC2:TGID_Y_EN: 0
; COMPUTE_PGM_RSRC2:TGID_Z_EN: 0
; COMPUTE_PGM_RSRC2:TIDIG_COMP_CNT: 0
	.section	.text._Z11rank_kernelIhLj4ELb0EL18RadixRankAlgorithm2ELj256ELj1ELj10EEvPKT_Pi,"axG",@progbits,_Z11rank_kernelIhLj4ELb0EL18RadixRankAlgorithm2ELj256ELj1ELj10EEvPKT_Pi,comdat
	.protected	_Z11rank_kernelIhLj4ELb0EL18RadixRankAlgorithm2ELj256ELj1ELj10EEvPKT_Pi ; -- Begin function _Z11rank_kernelIhLj4ELb0EL18RadixRankAlgorithm2ELj256ELj1ELj10EEvPKT_Pi
	.globl	_Z11rank_kernelIhLj4ELb0EL18RadixRankAlgorithm2ELj256ELj1ELj10EEvPKT_Pi
	.p2align	8
	.type	_Z11rank_kernelIhLj4ELb0EL18RadixRankAlgorithm2ELj256ELj1ELj10EEvPKT_Pi,@function
_Z11rank_kernelIhLj4ELb0EL18RadixRankAlgorithm2ELj256ELj1ELj10EEvPKT_Pi: ; @_Z11rank_kernelIhLj4ELb0EL18RadixRankAlgorithm2ELj256ELj1ELj10EEvPKT_Pi
; %bb.0:
	s_load_dwordx4 s[44:47], s[4:5], 0x0
	s_load_dword s20, s[4:5], 0x1c
	s_lshl_b32 s48, s6, 8
	v_mbcnt_lo_u32_b32 v4, -1, 0
	v_mbcnt_hi_u32_b32 v4, -1, v4
	s_waitcnt lgkmcnt(0)
	s_add_u32 s0, s44, s48
	s_addc_u32 s1, s45, 0
	global_load_ubyte v14, v0, s[0:1]
	s_lshr_b32 s21, s20, 16
	s_and_b32 s20, s20, 0xffff
	v_mad_u32_u24 v1, v2, s21, v1
	v_mad_u64_u32 v[1:2], s[20:21], v1, s20, v[0:1]
	v_subrev_co_u32_e64 v10, s[6:7], 1, v4
	v_and_b32_e32 v11, 64, v4
	v_or_b32_e32 v6, 63, v0
	v_lshrrev_b32_e32 v7, 4, v0
	v_and_b32_e32 v9, 16, v4
	v_cmp_lt_i32_e64 s[18:19], v10, v11
	v_lshrrev_b32_e32 v1, 4, v1
	v_and_b32_e32 v8, 15, v4
	v_cmp_lt_u32_e64 s[2:3], 31, v4
	v_cmp_eq_u32_e64 s[4:5], v0, v6
	v_and_b32_e32 v6, 12, v7
	v_and_b32_e32 v7, 3, v4
	v_cmp_eq_u32_e64 s[16:17], 0, v9
	v_cndmask_b32_e64 v4, v10, v4, s[18:19]
	v_and_b32_e32 v9, 0xffffffc, v1
	v_mov_b32_e32 v3, 0
	v_cmp_eq_u32_e64 s[8:9], 0, v8
	v_cmp_lt_u32_e64 s[10:11], 1, v8
	v_cmp_lt_u32_e64 s[12:13], 3, v8
	;; [unrolled: 1-line block ×3, first 2 shown]
	v_lshlrev_b32_e32 v8, 2, v4
	s_mov_b32 s49, 0
	s_mov_b32 s33, 10
	v_lshlrev_b32_e32 v5, 2, v0
	v_cmp_gt_u32_e32 vcc, 4, v0
	v_cmp_lt_u32_e64 s[0:1], 63, v0
	v_cmp_eq_u32_e64 s[18:19], 0, v7
	v_cmp_lt_u32_e64 s[20:21], 1, v7
	v_add_u32_e32 v7, -4, v6
	s_waitcnt vmcnt(0)
	v_and_b32_e32 v13, 1, v14
	v_lshrrev_b32_e32 v1, 4, v14
	v_add_co_u32_e64 v11, s[22:23], -1, v13
	v_lshlrev_b32_e32 v4, 30, v14
	v_addc_co_u32_e64 v12, s[22:23], 0, -1, s[22:23]
	v_and_b32_e32 v15, 1, v1
	v_and_b32_e32 v2, 15, v14
	v_cmp_eq_u32_e64 s[22:23], 1, v13
	v_cmp_gt_i64_e64 s[24:25], 0, v[3:4]
	v_not_b32_e32 v13, v4
	v_lshlrev_b32_e32 v4, 29, v14
	v_cmp_eq_u32_e64 s[28:29], 1, v15
	v_add_co_u32_e64 v15, s[30:31], -1, v15
	v_mul_u32_u24_e32 v2, 20, v2
	v_cmp_gt_i64_e64 s[26:27], 0, v[3:4]
	v_not_b32_e32 v17, v4
	v_lshlrev_b32_e32 v4, 28, v14
	v_addc_co_u32_e64 v16, s[30:31], 0, -1, s[30:31]
	v_add_u32_e32 v14, v9, v2
	v_cmp_gt_i64_e64 s[30:31], 0, v[3:4]
	v_not_b32_e32 v2, v4
	v_lshlrev_b32_e32 v4, 30, v1
	v_ashrrev_i32_e32 v19, 31, v2
	v_cmp_gt_i64_e64 s[34:35], 0, v[3:4]
	v_not_b32_e32 v2, v4
	v_lshlrev_b32_e32 v4, 29, v1
	v_ashrrev_i32_e32 v21, 31, v2
	v_cmp_gt_i64_e64 s[36:37], 0, v[3:4]
	v_not_b32_e32 v2, v4
	v_lshlrev_b32_e32 v4, 28, v1
	v_mul_u32_u24_e32 v10, 20, v1
	v_not_b32_e32 v1, v4
	v_ashrrev_i32_e32 v13, 31, v13
	v_ashrrev_i32_e32 v17, 31, v17
	;; [unrolled: 1-line block ×3, first 2 shown]
	v_cmp_gt_i64_e64 s[38:39], 0, v[3:4]
	v_ashrrev_i32_e32 v24, 31, v1
	v_mov_b32_e32 v18, v13
	v_mov_b32_e32 v20, v17
	;; [unrolled: 1-line block ×6, first 2 shown]
	s_branch .LBB62_2
.LBB62_1:                               ;   in Loop: Header=BB62_2 Depth=1
	s_or_b64 exec, exec, s[40:41]
	s_waitcnt lgkmcnt(0)
	v_add_u32_e32 v1, v2, v1
	ds_bpermute_b32 v1, v8, v1
	s_add_i32 s33, s33, -1
	s_cmp_eq_u32 s33, 0
	s_waitcnt lgkmcnt(0)
	v_cndmask_b32_e64 v1, v1, v2, s[6:7]
	ds_write_b32 v5, v1 offset:16
	s_waitcnt lgkmcnt(0)
	s_barrier
	s_cbranch_scc1 .LBB62_18
.LBB62_2:                               ; =>This Inner Loop Header: Depth=1
	v_cndmask_b32_e64 v1, 0, 1, s[22:23]
	v_cmp_ne_u32_e64 s[40:41], 0, v1
	v_cndmask_b32_e64 v27, 0, 1, s[24:25]
	v_xor_b32_e32 v1, s41, v12
	v_xor_b32_e32 v2, s40, v11
	v_cmp_ne_u32_e64 s[40:41], 0, v27
	v_and_b32_e32 v1, exec_hi, v1
	v_xor_b32_e32 v27, s41, v18
	v_and_b32_e32 v1, v1, v27
	v_cndmask_b32_e64 v27, 0, 1, s[26:27]
	v_and_b32_e32 v2, exec_lo, v2
	v_xor_b32_e32 v28, s40, v13
	v_cmp_ne_u32_e64 s[40:41], 0, v27
	v_and_b32_e32 v2, v2, v28
	v_xor_b32_e32 v27, s41, v20
	v_xor_b32_e32 v28, s40, v17
	v_and_b32_e32 v1, v1, v27
	v_and_b32_e32 v27, v2, v28
	v_cndmask_b32_e64 v2, 0, 1, s[30:31]
	v_cmp_ne_u32_e64 s[40:41], 0, v2
	v_xor_b32_e32 v2, s41, v22
	v_xor_b32_e32 v28, s40, v19
	v_and_b32_e32 v2, v1, v2
	v_and_b32_e32 v1, v27, v28
	v_mbcnt_lo_u32_b32 v27, v1, 0
	v_mbcnt_hi_u32_b32 v27, v2, v27
	v_cmp_ne_u64_e64 s[40:41], 0, v[1:2]
	v_cmp_eq_u32_e64 s[42:43], 0, v27
	s_and_b64 s[42:43], s[40:41], s[42:43]
	ds_write_b32 v5, v3 offset:16
	s_waitcnt lgkmcnt(0)
	s_barrier
	; wave barrier
	s_and_saveexec_b64 s[40:41], s[42:43]
; %bb.3:                                ;   in Loop: Header=BB62_2 Depth=1
	v_bcnt_u32_b32 v1, v1, 0
	v_bcnt_u32_b32 v1, v2, v1
	ds_write_b32 v14, v1 offset:16
; %bb.4:                                ;   in Loop: Header=BB62_2 Depth=1
	s_or_b64 exec, exec, s[40:41]
	; wave barrier
	s_waitcnt lgkmcnt(0)
	s_barrier
	ds_read_b32 v1, v5 offset:16
	s_waitcnt lgkmcnt(0)
	s_nop 0
	v_mov_b32_dpp v2, v1 row_shr:1 row_mask:0xf bank_mask:0xf
	v_cndmask_b32_e64 v2, v2, 0, s[8:9]
	v_add_u32_e32 v1, v2, v1
	s_nop 1
	v_mov_b32_dpp v2, v1 row_shr:2 row_mask:0xf bank_mask:0xf
	v_cndmask_b32_e64 v2, 0, v2, s[10:11]
	v_add_u32_e32 v1, v1, v2
	;; [unrolled: 4-line block ×4, first 2 shown]
	s_nop 1
	v_mov_b32_dpp v2, v1 row_bcast:15 row_mask:0xf bank_mask:0xf
	v_cndmask_b32_e64 v2, v2, 0, s[16:17]
	v_add_u32_e32 v1, v1, v2
	s_nop 1
	v_mov_b32_dpp v2, v1 row_bcast:31 row_mask:0xf bank_mask:0xf
	v_cndmask_b32_e64 v2, 0, v2, s[2:3]
	v_add_u32_e32 v1, v1, v2
	s_and_saveexec_b64 s[40:41], s[4:5]
; %bb.5:                                ;   in Loop: Header=BB62_2 Depth=1
	ds_write_b32 v6, v1
; %bb.6:                                ;   in Loop: Header=BB62_2 Depth=1
	s_or_b64 exec, exec, s[40:41]
	s_waitcnt lgkmcnt(0)
	s_barrier
	s_and_saveexec_b64 s[40:41], vcc
	s_cbranch_execz .LBB62_8
; %bb.7:                                ;   in Loop: Header=BB62_2 Depth=1
	ds_read_b32 v2, v5
	s_waitcnt lgkmcnt(0)
	s_nop 0
	v_mov_b32_dpp v27, v2 row_shr:1 row_mask:0xf bank_mask:0xf
	v_cndmask_b32_e64 v27, v27, 0, s[18:19]
	v_add_u32_e32 v2, v27, v2
	s_nop 1
	v_mov_b32_dpp v27, v2 row_shr:2 row_mask:0xf bank_mask:0xf
	v_cndmask_b32_e64 v27, 0, v27, s[20:21]
	v_add_u32_e32 v2, v2, v27
	ds_write_b32 v5, v2
.LBB62_8:                               ;   in Loop: Header=BB62_2 Depth=1
	s_or_b64 exec, exec, s[40:41]
	v_mov_b32_e32 v2, 0
	s_waitcnt lgkmcnt(0)
	s_barrier
	s_and_saveexec_b64 s[40:41], s[0:1]
; %bb.9:                                ;   in Loop: Header=BB62_2 Depth=1
	ds_read_b32 v2, v7
; %bb.10:                               ;   in Loop: Header=BB62_2 Depth=1
	s_or_b64 exec, exec, s[40:41]
	s_waitcnt lgkmcnt(0)
	v_add_u32_e32 v1, v2, v1
	ds_bpermute_b32 v1, v8, v1
	v_cndmask_b32_e64 v27, 0, 1, s[34:35]
	s_waitcnt lgkmcnt(0)
	v_cndmask_b32_e64 v1, v1, v2, s[6:7]
	ds_write_b32 v5, v1 offset:16
	v_cndmask_b32_e64 v1, 0, 1, s[28:29]
	v_cmp_ne_u32_e64 s[40:41], 0, v1
	v_xor_b32_e32 v1, s41, v16
	v_xor_b32_e32 v2, s40, v15
	v_cmp_ne_u32_e64 s[40:41], 0, v27
	v_and_b32_e32 v1, exec_hi, v1
	v_xor_b32_e32 v27, s41, v4
	v_and_b32_e32 v1, v1, v27
	v_cndmask_b32_e64 v27, 0, 1, s[36:37]
	v_and_b32_e32 v2, exec_lo, v2
	v_xor_b32_e32 v28, s40, v21
	v_cmp_ne_u32_e64 s[40:41], 0, v27
	v_and_b32_e32 v2, v2, v28
	v_xor_b32_e32 v27, s41, v25
	v_xor_b32_e32 v28, s40, v23
	v_and_b32_e32 v1, v1, v27
	v_and_b32_e32 v27, v2, v28
	v_cndmask_b32_e64 v2, 0, 1, s[38:39]
	v_cmp_ne_u32_e64 s[40:41], 0, v2
	v_xor_b32_e32 v2, s41, v26
	v_xor_b32_e32 v28, s40, v24
	v_and_b32_e32 v2, v1, v2
	v_and_b32_e32 v1, v27, v28
	v_mbcnt_lo_u32_b32 v27, v1, 0
	v_mbcnt_hi_u32_b32 v27, v2, v27
	v_cmp_ne_u64_e64 s[40:41], 0, v[1:2]
	v_cmp_eq_u32_e64 s[42:43], 0, v27
	s_and_b64 s[42:43], s[40:41], s[42:43]
	s_waitcnt lgkmcnt(0)
	s_barrier
	ds_write_b32 v5, v3 offset:16
	s_waitcnt lgkmcnt(0)
	s_barrier
	; wave barrier
	s_and_saveexec_b64 s[40:41], s[42:43]
; %bb.11:                               ;   in Loop: Header=BB62_2 Depth=1
	v_bcnt_u32_b32 v1, v1, 0
	v_bcnt_u32_b32 v1, v2, v1
	v_add_u32_e32 v2, v9, v10
	ds_write_b32 v2, v1 offset:16
; %bb.12:                               ;   in Loop: Header=BB62_2 Depth=1
	s_or_b64 exec, exec, s[40:41]
	; wave barrier
	s_waitcnt lgkmcnt(0)
	s_barrier
	ds_read_b32 v1, v5 offset:16
	s_waitcnt lgkmcnt(0)
	s_nop 0
	v_mov_b32_dpp v2, v1 row_shr:1 row_mask:0xf bank_mask:0xf
	v_cndmask_b32_e64 v2, v2, 0, s[8:9]
	v_add_u32_e32 v1, v2, v1
	s_nop 1
	v_mov_b32_dpp v2, v1 row_shr:2 row_mask:0xf bank_mask:0xf
	v_cndmask_b32_e64 v2, 0, v2, s[10:11]
	v_add_u32_e32 v1, v1, v2
	;; [unrolled: 4-line block ×4, first 2 shown]
	s_nop 1
	v_mov_b32_dpp v2, v1 row_bcast:15 row_mask:0xf bank_mask:0xf
	v_cndmask_b32_e64 v2, v2, 0, s[16:17]
	v_add_u32_e32 v1, v1, v2
	s_nop 1
	v_mov_b32_dpp v2, v1 row_bcast:31 row_mask:0xf bank_mask:0xf
	v_cndmask_b32_e64 v2, 0, v2, s[2:3]
	v_add_u32_e32 v1, v1, v2
	s_and_saveexec_b64 s[40:41], s[4:5]
; %bb.13:                               ;   in Loop: Header=BB62_2 Depth=1
	ds_write_b32 v6, v1
; %bb.14:                               ;   in Loop: Header=BB62_2 Depth=1
	s_or_b64 exec, exec, s[40:41]
	s_waitcnt lgkmcnt(0)
	s_barrier
	s_and_saveexec_b64 s[40:41], vcc
	s_cbranch_execz .LBB62_16
; %bb.15:                               ;   in Loop: Header=BB62_2 Depth=1
	ds_read_b32 v2, v5
	s_waitcnt lgkmcnt(0)
	s_nop 0
	v_mov_b32_dpp v28, v2 row_shr:1 row_mask:0xf bank_mask:0xf
	v_cndmask_b32_e64 v28, v28, 0, s[18:19]
	v_add_u32_e32 v2, v28, v2
	s_nop 1
	v_mov_b32_dpp v28, v2 row_shr:2 row_mask:0xf bank_mask:0xf
	v_cndmask_b32_e64 v28, 0, v28, s[20:21]
	v_add_u32_e32 v2, v2, v28
	ds_write_b32 v5, v2
.LBB62_16:                              ;   in Loop: Header=BB62_2 Depth=1
	s_or_b64 exec, exec, s[40:41]
	v_mov_b32_e32 v2, 0
	s_waitcnt lgkmcnt(0)
	s_barrier
	s_and_saveexec_b64 s[40:41], s[0:1]
	s_cbranch_execz .LBB62_1
; %bb.17:                               ;   in Loop: Header=BB62_2 Depth=1
	ds_read_b32 v2, v7
	s_branch .LBB62_1
.LBB62_18:
	v_add_u32_e32 v1, v9, v10
	ds_read_b32 v1, v1 offset:16
	s_lshl_b64 s[0:1], s[48:49], 2
	s_add_u32 s0, s46, s0
	s_addc_u32 s1, s47, s1
	v_lshlrev_b32_e32 v0, 2, v0
	s_waitcnt lgkmcnt(0)
	v_add_u32_e32 v1, v1, v27
	global_store_dword v0, v1, s[0:1]
	s_endpgm
	.section	.rodata,"a",@progbits
	.p2align	6, 0x0
	.amdhsa_kernel _Z11rank_kernelIhLj4ELb0EL18RadixRankAlgorithm2ELj256ELj1ELj10EEvPKT_Pi
		.amdhsa_group_segment_fixed_size 1040
		.amdhsa_private_segment_fixed_size 0
		.amdhsa_kernarg_size 272
		.amdhsa_user_sgpr_count 6
		.amdhsa_user_sgpr_private_segment_buffer 1
		.amdhsa_user_sgpr_dispatch_ptr 0
		.amdhsa_user_sgpr_queue_ptr 0
		.amdhsa_user_sgpr_kernarg_segment_ptr 1
		.amdhsa_user_sgpr_dispatch_id 0
		.amdhsa_user_sgpr_flat_scratch_init 0
		.amdhsa_user_sgpr_private_segment_size 0
		.amdhsa_uses_dynamic_stack 0
		.amdhsa_system_sgpr_private_segment_wavefront_offset 0
		.amdhsa_system_sgpr_workgroup_id_x 1
		.amdhsa_system_sgpr_workgroup_id_y 0
		.amdhsa_system_sgpr_workgroup_id_z 0
		.amdhsa_system_sgpr_workgroup_info 0
		.amdhsa_system_vgpr_workitem_id 2
		.amdhsa_next_free_vgpr 29
		.amdhsa_next_free_sgpr 50
		.amdhsa_reserve_vcc 1
		.amdhsa_reserve_flat_scratch 0
		.amdhsa_float_round_mode_32 0
		.amdhsa_float_round_mode_16_64 0
		.amdhsa_float_denorm_mode_32 3
		.amdhsa_float_denorm_mode_16_64 3
		.amdhsa_dx10_clamp 1
		.amdhsa_ieee_mode 1
		.amdhsa_fp16_overflow 0
		.amdhsa_exception_fp_ieee_invalid_op 0
		.amdhsa_exception_fp_denorm_src 0
		.amdhsa_exception_fp_ieee_div_zero 0
		.amdhsa_exception_fp_ieee_overflow 0
		.amdhsa_exception_fp_ieee_underflow 0
		.amdhsa_exception_fp_ieee_inexact 0
		.amdhsa_exception_int_div_zero 0
	.end_amdhsa_kernel
	.section	.text._Z11rank_kernelIhLj4ELb0EL18RadixRankAlgorithm2ELj256ELj1ELj10EEvPKT_Pi,"axG",@progbits,_Z11rank_kernelIhLj4ELb0EL18RadixRankAlgorithm2ELj256ELj1ELj10EEvPKT_Pi,comdat
.Lfunc_end62:
	.size	_Z11rank_kernelIhLj4ELb0EL18RadixRankAlgorithm2ELj256ELj1ELj10EEvPKT_Pi, .Lfunc_end62-_Z11rank_kernelIhLj4ELb0EL18RadixRankAlgorithm2ELj256ELj1ELj10EEvPKT_Pi
                                        ; -- End function
	.set _Z11rank_kernelIhLj4ELb0EL18RadixRankAlgorithm2ELj256ELj1ELj10EEvPKT_Pi.num_vgpr, 29
	.set _Z11rank_kernelIhLj4ELb0EL18RadixRankAlgorithm2ELj256ELj1ELj10EEvPKT_Pi.num_agpr, 0
	.set _Z11rank_kernelIhLj4ELb0EL18RadixRankAlgorithm2ELj256ELj1ELj10EEvPKT_Pi.numbered_sgpr, 50
	.set _Z11rank_kernelIhLj4ELb0EL18RadixRankAlgorithm2ELj256ELj1ELj10EEvPKT_Pi.num_named_barrier, 0
	.set _Z11rank_kernelIhLj4ELb0EL18RadixRankAlgorithm2ELj256ELj1ELj10EEvPKT_Pi.private_seg_size, 0
	.set _Z11rank_kernelIhLj4ELb0EL18RadixRankAlgorithm2ELj256ELj1ELj10EEvPKT_Pi.uses_vcc, 1
	.set _Z11rank_kernelIhLj4ELb0EL18RadixRankAlgorithm2ELj256ELj1ELj10EEvPKT_Pi.uses_flat_scratch, 0
	.set _Z11rank_kernelIhLj4ELb0EL18RadixRankAlgorithm2ELj256ELj1ELj10EEvPKT_Pi.has_dyn_sized_stack, 0
	.set _Z11rank_kernelIhLj4ELb0EL18RadixRankAlgorithm2ELj256ELj1ELj10EEvPKT_Pi.has_recursion, 0
	.set _Z11rank_kernelIhLj4ELb0EL18RadixRankAlgorithm2ELj256ELj1ELj10EEvPKT_Pi.has_indirect_call, 0
	.section	.AMDGPU.csdata,"",@progbits
; Kernel info:
; codeLenInByte = 1660
; TotalNumSgprs: 54
; NumVgprs: 29
; ScratchSize: 0
; MemoryBound: 0
; FloatMode: 240
; IeeeMode: 1
; LDSByteSize: 1040 bytes/workgroup (compile time only)
; SGPRBlocks: 6
; VGPRBlocks: 7
; NumSGPRsForWavesPerEU: 54
; NumVGPRsForWavesPerEU: 29
; Occupancy: 8
; WaveLimiterHint : 0
; COMPUTE_PGM_RSRC2:SCRATCH_EN: 0
; COMPUTE_PGM_RSRC2:USER_SGPR: 6
; COMPUTE_PGM_RSRC2:TRAP_HANDLER: 0
; COMPUTE_PGM_RSRC2:TGID_X_EN: 1
; COMPUTE_PGM_RSRC2:TGID_Y_EN: 0
; COMPUTE_PGM_RSRC2:TGID_Z_EN: 0
; COMPUTE_PGM_RSRC2:TIDIG_COMP_CNT: 2
	.section	.text._Z11rank_kernelIhLj4ELb0EL18RadixRankAlgorithm0ELj256ELj4ELj10EEvPKT_Pi,"axG",@progbits,_Z11rank_kernelIhLj4ELb0EL18RadixRankAlgorithm0ELj256ELj4ELj10EEvPKT_Pi,comdat
	.protected	_Z11rank_kernelIhLj4ELb0EL18RadixRankAlgorithm0ELj256ELj4ELj10EEvPKT_Pi ; -- Begin function _Z11rank_kernelIhLj4ELb0EL18RadixRankAlgorithm0ELj256ELj4ELj10EEvPKT_Pi
	.globl	_Z11rank_kernelIhLj4ELb0EL18RadixRankAlgorithm0ELj256ELj4ELj10EEvPKT_Pi
	.p2align	8
	.type	_Z11rank_kernelIhLj4ELb0EL18RadixRankAlgorithm0ELj256ELj4ELj10EEvPKT_Pi,@function
_Z11rank_kernelIhLj4ELb0EL18RadixRankAlgorithm0ELj256ELj4ELj10EEvPKT_Pi: ; @_Z11rank_kernelIhLj4ELb0EL18RadixRankAlgorithm0ELj256ELj4ELj10EEvPKT_Pi
; %bb.0:
	s_load_dwordx4 s[28:31], s[4:5], 0x0
	s_lshl_b32 s34, s6, 10
	v_lshlrev_b32_e32 v1, 2, v0
	v_mbcnt_lo_u32_b32 v4, -1, 0
	v_mbcnt_hi_u32_b32 v5, -1, v4
	s_waitcnt lgkmcnt(0)
	s_add_u32 s0, s28, s34
	s_addc_u32 s1, s29, 0
	global_load_dword v8, v1, s[0:1]
	v_or_b32_e32 v4, 63, v0
	v_lshrrev_b32_e32 v6, 4, v0
	v_subrev_co_u32_e64 v11, s[10:11], 1, v5
	v_and_b32_e32 v12, 64, v5
	s_movk_i32 s28, 0x700
	v_or_b32_e32 v7, 0x400, v0
	v_and_b32_e32 v9, 15, v5
	v_and_b32_e32 v10, 16, v5
	v_cmp_eq_u32_e64 s[8:9], v0, v4
	v_and_b32_e32 v4, 12, v6
	v_and_b32_e32 v6, 3, v5
	v_cmp_lt_i32_e64 s[24:25], v11, v12
	v_cmp_lt_u32_e64 s[6:7], 31, v5
	v_cmp_gt_u32_e64 s[12:13], s28, v7
	v_cmp_eq_u32_e64 s[14:15], 0, v9
	v_cmp_lt_u32_e64 s[16:17], 1, v9
	v_cmp_lt_u32_e64 s[18:19], 3, v9
	;; [unrolled: 1-line block ×3, first 2 shown]
	v_cmp_eq_u32_e64 s[22:23], 0, v10
	v_cndmask_b32_e64 v5, v11, v5, s[24:25]
	v_cmp_eq_u32_e64 s[24:25], 0, v6
	v_cmp_lt_u32_e64 s[26:27], 1, v6
	s_movk_i32 s2, 0x200
	s_movk_i32 s4, 0x100
	v_lshlrev_b32_e32 v3, 5, v0
	v_mul_i32_i24_e32 v13, 0xffffffe4, v0
	s_mov_b32 s33, 10
	s_mov_b32 s35, 0
	v_mov_b32_e32 v2, 0
	v_cmp_gt_u32_e32 vcc, 4, v0
	v_cmp_lt_u32_e64 s[0:1], 63, v0
	v_cmp_gt_u32_e64 s[2:3], s2, v0
	v_cmp_gt_u32_e64 s[4:5], s4, v0
	v_lshlrev_b32_e32 v5, 2, v5
	v_add_u32_e32 v13, v3, v13
	s_waitcnt vmcnt(0)
	v_lshrrev_b32_e32 v22, 20, v8
	v_lshrrev_b32_e32 v6, 16, v8
	;; [unrolled: 1-line block ×3, first 2 shown]
	v_lshlrev_b32_e32 v9, 4, v8
	v_lshrrev_b32_e32 v10, 6, v8
	v_lshlrev_b32_e32 v11, 8, v8
	v_lshrrev_b32_e32 v12, 2, v8
	v_lshrrev_b32_e32 v15, 10, v8
	;; [unrolled: 1-line block ×8, first 2 shown]
	v_and_or_b32 v22, v22, s28, v0
	v_and_or_b32 v14, v8, s28, v0
	;; [unrolled: 1-line block ×3, first 2 shown]
	v_and_b32_e32 v10, 2, v10
	v_and_or_b32 v11, v11, s28, v0
	v_and_b32_e32 v12, 2, v12
	v_and_b32_e32 v15, 2, v15
	v_and_or_b32 v7, v7, s28, v0
	v_and_b32_e32 v16, 2, v16
	v_and_or_b32 v6, v6, s28, v0
	v_and_b32_e32 v17, 2, v17
	v_and_or_b32 v18, v18, s28, v0
	v_and_b32_e32 v19, 2, v19
	v_and_or_b32 v20, v20, s28, v0
	v_and_b32_e32 v21, 2, v21
	v_alignbit_b32 v8, v22, v8, 30
	v_lshl_or_b32 v0, v9, 2, v10
	v_lshl_or_b32 v9, v11, 2, v12
	;; [unrolled: 1-line block ×7, first 2 shown]
	v_and_b32_e32 v8, 0x1ffe, v8
	s_branch .LBB63_2
.LBB63_1:                               ;   in Loop: Header=BB63_2 Depth=1
	s_or_b64 exec, exec, s[28:29]
	s_waitcnt lgkmcnt(0)
	v_add_u32_e32 v18, v19, v18
	ds_bpermute_b32 v18, v5, v18
	ds_read_b32 v26, v2 offset:8204
	ds_read2_b64 v[20:23], v3 offset1:1
	ds_read_b64 v[24:25], v3 offset:16
	ds_read_b32 v27, v3 offset:24
	s_add_i32 s33, s33, -1
	s_cmp_eq_u32 s33, 0
	s_waitcnt lgkmcnt(4)
	v_cndmask_b32_e64 v18, v18, v19, s[10:11]
	s_waitcnt lgkmcnt(3)
	v_lshl_add_u32 v18, v26, 16, v18
	s_waitcnt lgkmcnt(2)
	v_add_u32_e32 v19, v18, v20
	v_add_u32_e32 v20, v21, v19
	;; [unrolled: 1-line block ×3, first 2 shown]
	ds_write2_b64 v3, v[18:19], v[20:21] offset1:1
	v_add_u32_e32 v18, v23, v21
	s_waitcnt lgkmcnt(2)
	v_add_u32_e32 v19, v24, v18
	v_add_u32_e32 v20, v25, v19
	s_waitcnt lgkmcnt(1)
	v_add_u32_e32 v21, v27, v20
	ds_write2_b64 v3, v[18:19], v[20:21] offset0:2 offset1:3
	s_waitcnt lgkmcnt(0)
	s_barrier
	s_cbranch_scc1 .LBB63_22
.LBB63_2:                               ; =>This Inner Loop Header: Depth=1
	ds_write2st64_b32 v13, v2, v2 offset1:4
	ds_write2st64_b32 v13, v2, v2 offset0:8 offset1:12
	ds_write_b32 v13, v2 offset:4096
	s_and_saveexec_b64 s[28:29], s[12:13]
	s_cbranch_execz .LBB63_6
; %bb.3:                                ;   in Loop: Header=BB63_2 Depth=1
	ds_write_b32 v13, v2 offset:5120
	s_and_b64 exec, exec, s[2:3]
	s_cbranch_execz .LBB63_6
; %bb.4:                                ;   in Loop: Header=BB63_2 Depth=1
	ds_write_b32 v13, v2 offset:6144
	s_and_b64 exec, exec, s[4:5]
; %bb.5:                                ;   in Loop: Header=BB63_2 Depth=1
	ds_write_b32 v13, v2 offset:7168
.LBB63_6:                               ;   in Loop: Header=BB63_2 Depth=1
	s_or_b64 exec, exec, s[28:29]
	ds_read_u16 v14, v9
	s_waitcnt lgkmcnt(0)
	v_add_u16_e32 v14, 1, v14
	ds_write_b16 v9, v14
	ds_read_u16 v14, v10
	s_waitcnt lgkmcnt(0)
	v_add_u16_e32 v14, 1, v14
	ds_write_b16 v10, v14
	;; [unrolled: 4-line block ×4, first 2 shown]
	s_waitcnt lgkmcnt(0)
	s_barrier
	ds_read2_b64 v[14:17], v3 offset1:1
	ds_read2_b64 v[18:21], v3 offset0:2 offset1:3
	s_waitcnt lgkmcnt(1)
	v_add_u32_e32 v14, v15, v14
	v_add3_u32 v14, v14, v16, v17
	s_waitcnt lgkmcnt(0)
	v_add3_u32 v14, v14, v18, v19
	v_add3_u32 v14, v14, v20, v21
	s_nop 1
	v_mov_b32_dpp v15, v14 row_shr:1 row_mask:0xf bank_mask:0xf
	v_cndmask_b32_e64 v15, v15, 0, s[14:15]
	v_add_u32_e32 v14, v15, v14
	s_nop 1
	v_mov_b32_dpp v15, v14 row_shr:2 row_mask:0xf bank_mask:0xf
	v_cndmask_b32_e64 v15, 0, v15, s[16:17]
	v_add_u32_e32 v14, v14, v15
	;; [unrolled: 4-line block ×4, first 2 shown]
	s_nop 1
	v_mov_b32_dpp v15, v14 row_bcast:15 row_mask:0xf bank_mask:0xf
	v_cndmask_b32_e64 v15, v15, 0, s[22:23]
	v_add_u32_e32 v14, v14, v15
	s_nop 1
	v_mov_b32_dpp v15, v14 row_bcast:31 row_mask:0xf bank_mask:0xf
	v_cndmask_b32_e64 v15, 0, v15, s[6:7]
	v_add_u32_e32 v14, v14, v15
	s_and_saveexec_b64 s[28:29], s[8:9]
; %bb.7:                                ;   in Loop: Header=BB63_2 Depth=1
	ds_write_b32 v4, v14 offset:8192
; %bb.8:                                ;   in Loop: Header=BB63_2 Depth=1
	s_or_b64 exec, exec, s[28:29]
	s_waitcnt lgkmcnt(0)
	s_barrier
	s_and_saveexec_b64 s[28:29], vcc
	s_cbranch_execz .LBB63_10
; %bb.9:                                ;   in Loop: Header=BB63_2 Depth=1
	ds_read_b32 v15, v13 offset:8192
	s_waitcnt lgkmcnt(0)
	s_nop 0
	v_mov_b32_dpp v16, v15 row_shr:1 row_mask:0xf bank_mask:0xf
	v_cndmask_b32_e64 v16, v16, 0, s[24:25]
	v_add_u32_e32 v15, v16, v15
	s_nop 1
	v_mov_b32_dpp v16, v15 row_shr:2 row_mask:0xf bank_mask:0xf
	v_cndmask_b32_e64 v16, 0, v16, s[26:27]
	v_add_u32_e32 v15, v15, v16
	ds_write_b32 v13, v15 offset:8192
.LBB63_10:                              ;   in Loop: Header=BB63_2 Depth=1
	s_or_b64 exec, exec, s[28:29]
	v_mov_b32_e32 v15, 0
	s_waitcnt lgkmcnt(0)
	s_barrier
	s_and_saveexec_b64 s[28:29], s[0:1]
; %bb.11:                               ;   in Loop: Header=BB63_2 Depth=1
	ds_read_b32 v15, v4 offset:8188
; %bb.12:                               ;   in Loop: Header=BB63_2 Depth=1
	s_or_b64 exec, exec, s[28:29]
	s_waitcnt lgkmcnt(0)
	v_add_u32_e32 v14, v15, v14
	ds_bpermute_b32 v14, v5, v14
	ds_read_b32 v22, v2 offset:8204
	ds_read2_b64 v[16:19], v3 offset1:1
	ds_read_b64 v[20:21], v3 offset:16
	ds_read_b32 v23, v3 offset:24
	s_waitcnt lgkmcnt(4)
	v_cndmask_b32_e64 v14, v14, v15, s[10:11]
	s_waitcnt lgkmcnt(3)
	v_lshl_add_u32 v14, v22, 16, v14
	s_waitcnt lgkmcnt(2)
	v_add_u32_e32 v15, v14, v16
	v_add_u32_e32 v16, v17, v15
	;; [unrolled: 1-line block ×3, first 2 shown]
	ds_write2_b64 v3, v[14:15], v[16:17] offset1:1
	v_add_u32_e32 v14, v19, v17
	s_waitcnt lgkmcnt(2)
	v_add_u32_e32 v15, v20, v14
	v_add_u32_e32 v16, v21, v15
	s_waitcnt lgkmcnt(1)
	v_add_u32_e32 v17, v23, v16
	ds_write2_b64 v3, v[14:15], v[16:17] offset0:2 offset1:3
	s_waitcnt lgkmcnt(0)
	s_barrier
	ds_write2st64_b32 v13, v2, v2 offset1:4
	ds_write2st64_b32 v13, v2, v2 offset0:8 offset1:12
	ds_write_b32 v13, v2 offset:4096
	s_and_saveexec_b64 s[28:29], s[12:13]
	s_cbranch_execz .LBB63_16
; %bb.13:                               ;   in Loop: Header=BB63_2 Depth=1
	ds_write_b32 v13, v2 offset:5120
	s_and_b64 exec, exec, s[2:3]
	s_cbranch_execz .LBB63_16
; %bb.14:                               ;   in Loop: Header=BB63_2 Depth=1
	ds_write_b32 v13, v2 offset:6144
	s_and_b64 exec, exec, s[4:5]
; %bb.15:                               ;   in Loop: Header=BB63_2 Depth=1
	ds_write_b32 v13, v2 offset:7168
.LBB63_16:                              ;   in Loop: Header=BB63_2 Depth=1
	s_or_b64 exec, exec, s[28:29]
	ds_read_u16 v14, v0
	s_waitcnt lgkmcnt(0)
	v_add_u16_e32 v15, 1, v14
	ds_write_b16 v0, v15
	ds_read_u16 v15, v6
	s_waitcnt lgkmcnt(0)
	v_add_u16_e32 v16, 1, v15
	ds_write_b16 v6, v16
	;; [unrolled: 4-line block ×4, first 2 shown]
	s_waitcnt lgkmcnt(0)
	s_barrier
	ds_read2_b64 v[18:21], v3 offset1:1
	ds_read2_b64 v[22:25], v3 offset0:2 offset1:3
	s_waitcnt lgkmcnt(1)
	v_add_u32_e32 v18, v19, v18
	v_add3_u32 v18, v18, v20, v21
	s_waitcnt lgkmcnt(0)
	v_add3_u32 v18, v18, v22, v23
	v_add3_u32 v18, v18, v24, v25
	s_nop 1
	v_mov_b32_dpp v19, v18 row_shr:1 row_mask:0xf bank_mask:0xf
	v_cndmask_b32_e64 v19, v19, 0, s[14:15]
	v_add_u32_e32 v18, v19, v18
	s_nop 1
	v_mov_b32_dpp v19, v18 row_shr:2 row_mask:0xf bank_mask:0xf
	v_cndmask_b32_e64 v19, 0, v19, s[16:17]
	v_add_u32_e32 v18, v18, v19
	;; [unrolled: 4-line block ×4, first 2 shown]
	s_nop 1
	v_mov_b32_dpp v19, v18 row_bcast:15 row_mask:0xf bank_mask:0xf
	v_cndmask_b32_e64 v19, v19, 0, s[22:23]
	v_add_u32_e32 v18, v18, v19
	s_nop 1
	v_mov_b32_dpp v19, v18 row_bcast:31 row_mask:0xf bank_mask:0xf
	v_cndmask_b32_e64 v19, 0, v19, s[6:7]
	v_add_u32_e32 v18, v18, v19
	s_and_saveexec_b64 s[28:29], s[8:9]
; %bb.17:                               ;   in Loop: Header=BB63_2 Depth=1
	ds_write_b32 v4, v18 offset:8192
; %bb.18:                               ;   in Loop: Header=BB63_2 Depth=1
	s_or_b64 exec, exec, s[28:29]
	s_waitcnt lgkmcnt(0)
	s_barrier
	s_and_saveexec_b64 s[28:29], vcc
	s_cbranch_execz .LBB63_20
; %bb.19:                               ;   in Loop: Header=BB63_2 Depth=1
	ds_read_b32 v19, v13 offset:8192
	s_waitcnt lgkmcnt(0)
	s_nop 0
	v_mov_b32_dpp v20, v19 row_shr:1 row_mask:0xf bank_mask:0xf
	v_cndmask_b32_e64 v20, v20, 0, s[24:25]
	v_add_u32_e32 v19, v20, v19
	s_nop 1
	v_mov_b32_dpp v20, v19 row_shr:2 row_mask:0xf bank_mask:0xf
	v_cndmask_b32_e64 v20, 0, v20, s[26:27]
	v_add_u32_e32 v19, v19, v20
	ds_write_b32 v13, v19 offset:8192
.LBB63_20:                              ;   in Loop: Header=BB63_2 Depth=1
	s_or_b64 exec, exec, s[28:29]
	v_mov_b32_e32 v19, 0
	s_waitcnt lgkmcnt(0)
	s_barrier
	s_and_saveexec_b64 s[28:29], s[0:1]
	s_cbranch_execz .LBB63_1
; %bb.21:                               ;   in Loop: Header=BB63_2 Depth=1
	ds_read_b32 v19, v4 offset:8188
	s_branch .LBB63_1
.LBB63_22:
	ds_read_u16 v0, v0
	ds_read_u16 v3, v6
	;; [unrolled: 1-line block ×4, first 2 shown]
	s_lshl_b64 s[0:1], s[34:35], 2
	s_add_u32 s0, s30, s0
	s_waitcnt lgkmcnt(3)
	v_add_u32_sdwa v2, v0, v14 dst_sel:DWORD dst_unused:UNUSED_PAD src0_sel:DWORD src1_sel:WORD_0
	s_waitcnt lgkmcnt(2)
	v_add_u32_sdwa v3, v3, v15 dst_sel:DWORD dst_unused:UNUSED_PAD src0_sel:DWORD src1_sel:WORD_0
	;; [unrolled: 2-line block ×4, first 2 shown]
	s_addc_u32 s1, s31, s1
	v_lshlrev_b32_e32 v0, 2, v1
	global_store_dwordx4 v0, v[2:5], s[0:1]
	s_endpgm
	.section	.rodata,"a",@progbits
	.p2align	6, 0x0
	.amdhsa_kernel _Z11rank_kernelIhLj4ELb0EL18RadixRankAlgorithm0ELj256ELj4ELj10EEvPKT_Pi
		.amdhsa_group_segment_fixed_size 8208
		.amdhsa_private_segment_fixed_size 0
		.amdhsa_kernarg_size 16
		.amdhsa_user_sgpr_count 6
		.amdhsa_user_sgpr_private_segment_buffer 1
		.amdhsa_user_sgpr_dispatch_ptr 0
		.amdhsa_user_sgpr_queue_ptr 0
		.amdhsa_user_sgpr_kernarg_segment_ptr 1
		.amdhsa_user_sgpr_dispatch_id 0
		.amdhsa_user_sgpr_flat_scratch_init 0
		.amdhsa_user_sgpr_private_segment_size 0
		.amdhsa_uses_dynamic_stack 0
		.amdhsa_system_sgpr_private_segment_wavefront_offset 0
		.amdhsa_system_sgpr_workgroup_id_x 1
		.amdhsa_system_sgpr_workgroup_id_y 0
		.amdhsa_system_sgpr_workgroup_id_z 0
		.amdhsa_system_sgpr_workgroup_info 0
		.amdhsa_system_vgpr_workitem_id 0
		.amdhsa_next_free_vgpr 33
		.amdhsa_next_free_sgpr 77
		.amdhsa_reserve_vcc 1
		.amdhsa_reserve_flat_scratch 0
		.amdhsa_float_round_mode_32 0
		.amdhsa_float_round_mode_16_64 0
		.amdhsa_float_denorm_mode_32 3
		.amdhsa_float_denorm_mode_16_64 3
		.amdhsa_dx10_clamp 1
		.amdhsa_ieee_mode 1
		.amdhsa_fp16_overflow 0
		.amdhsa_exception_fp_ieee_invalid_op 0
		.amdhsa_exception_fp_denorm_src 0
		.amdhsa_exception_fp_ieee_div_zero 0
		.amdhsa_exception_fp_ieee_overflow 0
		.amdhsa_exception_fp_ieee_underflow 0
		.amdhsa_exception_fp_ieee_inexact 0
		.amdhsa_exception_int_div_zero 0
	.end_amdhsa_kernel
	.section	.text._Z11rank_kernelIhLj4ELb0EL18RadixRankAlgorithm0ELj256ELj4ELj10EEvPKT_Pi,"axG",@progbits,_Z11rank_kernelIhLj4ELb0EL18RadixRankAlgorithm0ELj256ELj4ELj10EEvPKT_Pi,comdat
.Lfunc_end63:
	.size	_Z11rank_kernelIhLj4ELb0EL18RadixRankAlgorithm0ELj256ELj4ELj10EEvPKT_Pi, .Lfunc_end63-_Z11rank_kernelIhLj4ELb0EL18RadixRankAlgorithm0ELj256ELj4ELj10EEvPKT_Pi
                                        ; -- End function
	.set _Z11rank_kernelIhLj4ELb0EL18RadixRankAlgorithm0ELj256ELj4ELj10EEvPKT_Pi.num_vgpr, 28
	.set _Z11rank_kernelIhLj4ELb0EL18RadixRankAlgorithm0ELj256ELj4ELj10EEvPKT_Pi.num_agpr, 0
	.set _Z11rank_kernelIhLj4ELb0EL18RadixRankAlgorithm0ELj256ELj4ELj10EEvPKT_Pi.numbered_sgpr, 36
	.set _Z11rank_kernelIhLj4ELb0EL18RadixRankAlgorithm0ELj256ELj4ELj10EEvPKT_Pi.num_named_barrier, 0
	.set _Z11rank_kernelIhLj4ELb0EL18RadixRankAlgorithm0ELj256ELj4ELj10EEvPKT_Pi.private_seg_size, 0
	.set _Z11rank_kernelIhLj4ELb0EL18RadixRankAlgorithm0ELj256ELj4ELj10EEvPKT_Pi.uses_vcc, 1
	.set _Z11rank_kernelIhLj4ELb0EL18RadixRankAlgorithm0ELj256ELj4ELj10EEvPKT_Pi.uses_flat_scratch, 0
	.set _Z11rank_kernelIhLj4ELb0EL18RadixRankAlgorithm0ELj256ELj4ELj10EEvPKT_Pi.has_dyn_sized_stack, 0
	.set _Z11rank_kernelIhLj4ELb0EL18RadixRankAlgorithm0ELj256ELj4ELj10EEvPKT_Pi.has_recursion, 0
	.set _Z11rank_kernelIhLj4ELb0EL18RadixRankAlgorithm0ELj256ELj4ELj10EEvPKT_Pi.has_indirect_call, 0
	.section	.AMDGPU.csdata,"",@progbits
; Kernel info:
; codeLenInByte = 1900
; TotalNumSgprs: 40
; NumVgprs: 28
; ScratchSize: 0
; MemoryBound: 0
; FloatMode: 240
; IeeeMode: 1
; LDSByteSize: 8208 bytes/workgroup (compile time only)
; SGPRBlocks: 10
; VGPRBlocks: 8
; NumSGPRsForWavesPerEU: 81
; NumVGPRsForWavesPerEU: 33
; Occupancy: 7
; WaveLimiterHint : 0
; COMPUTE_PGM_RSRC2:SCRATCH_EN: 0
; COMPUTE_PGM_RSRC2:USER_SGPR: 6
; COMPUTE_PGM_RSRC2:TRAP_HANDLER: 0
; COMPUTE_PGM_RSRC2:TGID_X_EN: 1
; COMPUTE_PGM_RSRC2:TGID_Y_EN: 0
; COMPUTE_PGM_RSRC2:TGID_Z_EN: 0
; COMPUTE_PGM_RSRC2:TIDIG_COMP_CNT: 0
	.section	.text._Z11rank_kernelIhLj4ELb0EL18RadixRankAlgorithm1ELj256ELj4ELj10EEvPKT_Pi,"axG",@progbits,_Z11rank_kernelIhLj4ELb0EL18RadixRankAlgorithm1ELj256ELj4ELj10EEvPKT_Pi,comdat
	.protected	_Z11rank_kernelIhLj4ELb0EL18RadixRankAlgorithm1ELj256ELj4ELj10EEvPKT_Pi ; -- Begin function _Z11rank_kernelIhLj4ELb0EL18RadixRankAlgorithm1ELj256ELj4ELj10EEvPKT_Pi
	.globl	_Z11rank_kernelIhLj4ELb0EL18RadixRankAlgorithm1ELj256ELj4ELj10EEvPKT_Pi
	.p2align	8
	.type	_Z11rank_kernelIhLj4ELb0EL18RadixRankAlgorithm1ELj256ELj4ELj10EEvPKT_Pi,@function
_Z11rank_kernelIhLj4ELb0EL18RadixRankAlgorithm1ELj256ELj4ELj10EEvPKT_Pi: ; @_Z11rank_kernelIhLj4ELb0EL18RadixRankAlgorithm1ELj256ELj4ELj10EEvPKT_Pi
; %bb.0:
	s_load_dwordx4 s[28:31], s[4:5], 0x0
	s_lshl_b32 s34, s6, 10
	v_lshlrev_b32_e32 v8, 2, v0
	v_mbcnt_lo_u32_b32 v2, -1, 0
	v_mbcnt_hi_u32_b32 v2, -1, v2
	s_waitcnt lgkmcnt(0)
	s_add_u32 s0, s28, s34
	s_addc_u32 s1, s29, 0
	global_load_dword v1, v8, s[0:1]
	v_or_b32_e32 v3, 63, v0
	v_cmp_eq_u32_e64 s[8:9], v0, v3
	v_subrev_co_u32_e64 v3, s[10:11], 1, v2
	v_and_b32_e32 v13, 64, v2
	v_lshrrev_b32_e32 v4, 4, v0
	v_cmp_lt_i32_e64 s[24:25], v3, v13
	v_and_b32_e32 v7, 15, v2
	v_and_b32_e32 v12, 16, v2
	v_cmp_lt_u32_e64 s[6:7], 31, v2
	v_and_b32_e32 v11, 12, v4
	v_and_b32_e32 v4, 3, v2
	v_cndmask_b32_e64 v2, v3, v2, s[24:25]
	s_movk_i32 s28, 0x700
	s_movk_i32 s2, 0x200
	s_movk_i32 s4, 0x100
	v_or_b32_e32 v6, 0x400, v0
	v_cmp_eq_u32_e64 s[14:15], 0, v7
	v_cmp_lt_u32_e64 s[16:17], 1, v7
	v_cmp_lt_u32_e64 s[18:19], 3, v7
	;; [unrolled: 1-line block ×3, first 2 shown]
	v_cmp_eq_u32_e64 s[22:23], 0, v12
	v_cmp_eq_u32_e64 s[24:25], 0, v4
	v_cmp_lt_u32_e64 s[26:27], 1, v4
	v_lshlrev_b32_e32 v12, 2, v2
	v_lshlrev_b32_e32 v10, 5, v0
	v_cmp_gt_u32_e32 vcc, 4, v0
	v_cmp_lt_u32_e64 s[0:1], 63, v0
	v_mul_i32_i24_e32 v5, 0xffffffe4, v0
	v_cmp_gt_u32_e64 s[2:3], s2, v0
	v_cmp_gt_u32_e64 s[4:5], s4, v0
	;; [unrolled: 1-line block ×3, first 2 shown]
	s_mov_b32 s33, 10
	s_mov_b32 s35, 0
	v_mov_b32_e32 v9, 0
	s_waitcnt vmcnt(0)
	v_lshrrev_b32_e32 v2, 16, v1
	v_lshrrev_b32_e32 v3, 8, v1
	v_lshlrev_b32_e32 v4, 4, v1
	v_lshlrev_b32_e32 v7, 8, v1
	v_lshrrev_b32_e32 v18, 4, v1
	v_lshrrev_b32_e32 v20, 12, v1
	;; [unrolled: 1-line block ×5, first 2 shown]
	v_and_or_b32 v14, v1, s28, v0
	v_lshrrev_b32_e32 v15, 10, v1
	v_lshrrev_b32_e32 v16, 18, v1
	v_lshrrev_b32_e32 v17, 26, v1
	v_lshrrev_b32_e32 v19, 14, v1
	v_lshrrev_b32_e32 v21, 22, v1
	v_and_or_b32 v4, v4, s28, v0
	v_and_or_b32 v7, v7, s28, v0
	v_and_or_b32 v3, v3, s28, v0
	v_and_or_b32 v2, v2, s28, v0
	v_and_or_b32 v25, v18, s28, v0
	v_and_or_b32 v27, v20, s28, v0
	v_and_or_b32 v0, v22, s28, v0
	v_and_b32_e32 v6, 2, v6
	v_and_b32_e32 v23, 2, v13
	;; [unrolled: 1-line block ×7, first 2 shown]
	v_alignbit_b32 v0, v0, v1, 30
	v_lshl_or_b32 v13, v4, 2, v6
	v_lshl_or_b32 v17, v7, 2, v23
	;; [unrolled: 1-line block ×7, first 2 shown]
	v_and_b32_e32 v16, 0x1ffe, v0
	v_add_u32_e32 v21, v10, v5
	s_branch .LBB64_2
.LBB64_1:                               ;   in Loop: Header=BB64_2 Depth=1
	s_or_b64 exec, exec, s[28:29]
	s_waitcnt lgkmcnt(0)
	v_add_u32_e32 v3, v26, v3
	ds_bpermute_b32 v3, v12, v3
	ds_read_b32 v27, v9 offset:8204
	s_add_i32 s33, s33, -1
	s_cmp_eq_u32 s33, 0
	s_waitcnt lgkmcnt(1)
	v_cndmask_b32_e64 v3, v3, v26, s[10:11]
	s_waitcnt lgkmcnt(0)
	v_lshl_add_u32 v3, v27, 16, v3
	v_add_u32_e32 v4, v3, v4
	v_add_u32_e32 v5, v4, v5
	;; [unrolled: 1-line block ×7, first 2 shown]
	ds_write2_b64 v10, v[3:4], v[5:6] offset1:1
	ds_write2_b64 v10, v[26:27], v[0:1] offset0:2 offset1:3
	s_waitcnt lgkmcnt(0)
	s_barrier
	s_cbranch_scc1 .LBB64_22
.LBB64_2:                               ; =>This Inner Loop Header: Depth=1
	ds_write2st64_b32 v21, v9, v9 offset1:4
	ds_write2st64_b32 v21, v9, v9 offset0:8 offset1:12
	ds_write_b32 v21, v9 offset:4096
	s_and_saveexec_b64 s[28:29], s[12:13]
	s_cbranch_execz .LBB64_6
; %bb.3:                                ;   in Loop: Header=BB64_2 Depth=1
	ds_write_b32 v21, v9 offset:5120
	s_and_b64 exec, exec, s[2:3]
	s_cbranch_execz .LBB64_6
; %bb.4:                                ;   in Loop: Header=BB64_2 Depth=1
	ds_write_b32 v21, v9 offset:6144
	s_and_b64 exec, exec, s[4:5]
; %bb.5:                                ;   in Loop: Header=BB64_2 Depth=1
	ds_write_b32 v21, v9 offset:7168
.LBB64_6:                               ;   in Loop: Header=BB64_2 Depth=1
	s_or_b64 exec, exec, s[28:29]
	ds_read_u16 v0, v17
	s_waitcnt lgkmcnt(0)
	v_add_u16_e32 v0, 1, v0
	ds_write_b16 v17, v0
	ds_read_u16 v0, v18
	s_waitcnt lgkmcnt(0)
	v_add_u16_e32 v0, 1, v0
	ds_write_b16 v18, v0
	;; [unrolled: 4-line block ×4, first 2 shown]
	s_waitcnt lgkmcnt(0)
	s_barrier
	ds_read2_b64 v[4:7], v10 offset1:1
	ds_read2_b64 v[0:3], v10 offset0:2 offset1:3
	s_waitcnt lgkmcnt(1)
	v_add_u32_e32 v22, v5, v4
	v_add3_u32 v22, v22, v6, v7
	s_waitcnt lgkmcnt(0)
	v_add3_u32 v22, v22, v0, v1
	v_add3_u32 v3, v22, v2, v3
	s_nop 1
	v_mov_b32_dpp v22, v3 row_shr:1 row_mask:0xf bank_mask:0xf
	v_cndmask_b32_e64 v22, v22, 0, s[14:15]
	v_add_u32_e32 v3, v22, v3
	s_nop 1
	v_mov_b32_dpp v22, v3 row_shr:2 row_mask:0xf bank_mask:0xf
	v_cndmask_b32_e64 v22, 0, v22, s[16:17]
	v_add_u32_e32 v3, v3, v22
	;; [unrolled: 4-line block ×4, first 2 shown]
	s_nop 1
	v_mov_b32_dpp v22, v3 row_bcast:15 row_mask:0xf bank_mask:0xf
	v_cndmask_b32_e64 v22, v22, 0, s[22:23]
	v_add_u32_e32 v3, v3, v22
	s_nop 1
	v_mov_b32_dpp v22, v3 row_bcast:31 row_mask:0xf bank_mask:0xf
	v_cndmask_b32_e64 v22, 0, v22, s[6:7]
	v_add_u32_e32 v3, v3, v22
	s_and_saveexec_b64 s[28:29], s[8:9]
; %bb.7:                                ;   in Loop: Header=BB64_2 Depth=1
	ds_write_b32 v11, v3 offset:8192
; %bb.8:                                ;   in Loop: Header=BB64_2 Depth=1
	s_or_b64 exec, exec, s[28:29]
	s_waitcnt lgkmcnt(0)
	s_barrier
	s_and_saveexec_b64 s[28:29], vcc
	s_cbranch_execz .LBB64_10
; %bb.9:                                ;   in Loop: Header=BB64_2 Depth=1
	ds_read_b32 v22, v21 offset:8192
	s_waitcnt lgkmcnt(0)
	s_nop 0
	v_mov_b32_dpp v23, v22 row_shr:1 row_mask:0xf bank_mask:0xf
	v_cndmask_b32_e64 v23, v23, 0, s[24:25]
	v_add_u32_e32 v22, v23, v22
	s_nop 1
	v_mov_b32_dpp v23, v22 row_shr:2 row_mask:0xf bank_mask:0xf
	v_cndmask_b32_e64 v23, 0, v23, s[26:27]
	v_add_u32_e32 v22, v22, v23
	ds_write_b32 v21, v22 offset:8192
.LBB64_10:                              ;   in Loop: Header=BB64_2 Depth=1
	s_or_b64 exec, exec, s[28:29]
	v_mov_b32_e32 v22, 0
	s_waitcnt lgkmcnt(0)
	s_barrier
	s_and_saveexec_b64 s[28:29], s[0:1]
; %bb.11:                               ;   in Loop: Header=BB64_2 Depth=1
	ds_read_b32 v22, v11 offset:8188
; %bb.12:                               ;   in Loop: Header=BB64_2 Depth=1
	s_or_b64 exec, exec, s[28:29]
	s_waitcnt lgkmcnt(0)
	v_add_u32_e32 v3, v22, v3
	ds_bpermute_b32 v3, v12, v3
	ds_read_b32 v23, v9 offset:8204
	s_waitcnt lgkmcnt(1)
	v_cndmask_b32_e64 v3, v3, v22, s[10:11]
	s_waitcnt lgkmcnt(0)
	v_lshl_add_u32 v3, v23, 16, v3
	v_add_u32_e32 v4, v3, v4
	v_add_u32_e32 v5, v4, v5
	;; [unrolled: 1-line block ×7, first 2 shown]
	ds_write2_b64 v10, v[3:4], v[5:6] offset1:1
	ds_write2_b64 v10, v[22:23], v[0:1] offset0:2 offset1:3
	s_waitcnt lgkmcnt(0)
	s_barrier
	ds_write2st64_b32 v21, v9, v9 offset1:4
	ds_write2st64_b32 v21, v9, v9 offset0:8 offset1:12
	ds_write_b32 v21, v9 offset:4096
	s_and_saveexec_b64 s[28:29], s[12:13]
	s_cbranch_execz .LBB64_16
; %bb.13:                               ;   in Loop: Header=BB64_2 Depth=1
	ds_write_b32 v21, v9 offset:5120
	s_and_b64 exec, exec, s[2:3]
	s_cbranch_execz .LBB64_16
; %bb.14:                               ;   in Loop: Header=BB64_2 Depth=1
	ds_write_b32 v21, v9 offset:6144
	s_and_b64 exec, exec, s[4:5]
; %bb.15:                               ;   in Loop: Header=BB64_2 Depth=1
	ds_write_b32 v21, v9 offset:7168
.LBB64_16:                              ;   in Loop: Header=BB64_2 Depth=1
	s_or_b64 exec, exec, s[28:29]
	ds_read_u16 v22, v13
	s_waitcnt lgkmcnt(0)
	v_add_u16_e32 v0, 1, v22
	ds_write_b16 v13, v0
	ds_read_u16 v23, v14
	s_waitcnt lgkmcnt(0)
	v_add_u16_e32 v0, 1, v23
	ds_write_b16 v14, v0
	;; [unrolled: 4-line block ×4, first 2 shown]
	s_waitcnt lgkmcnt(0)
	s_barrier
	ds_read2_b64 v[4:7], v10 offset1:1
	ds_read2_b64 v[0:3], v10 offset0:2 offset1:3
	s_waitcnt lgkmcnt(1)
	v_add_u32_e32 v26, v5, v4
	v_add3_u32 v26, v26, v6, v7
	s_waitcnt lgkmcnt(0)
	v_add3_u32 v26, v26, v0, v1
	v_add3_u32 v3, v26, v2, v3
	s_nop 1
	v_mov_b32_dpp v26, v3 row_shr:1 row_mask:0xf bank_mask:0xf
	v_cndmask_b32_e64 v26, v26, 0, s[14:15]
	v_add_u32_e32 v3, v26, v3
	s_nop 1
	v_mov_b32_dpp v26, v3 row_shr:2 row_mask:0xf bank_mask:0xf
	v_cndmask_b32_e64 v26, 0, v26, s[16:17]
	v_add_u32_e32 v3, v3, v26
	;; [unrolled: 4-line block ×4, first 2 shown]
	s_nop 1
	v_mov_b32_dpp v26, v3 row_bcast:15 row_mask:0xf bank_mask:0xf
	v_cndmask_b32_e64 v26, v26, 0, s[22:23]
	v_add_u32_e32 v3, v3, v26
	s_nop 1
	v_mov_b32_dpp v26, v3 row_bcast:31 row_mask:0xf bank_mask:0xf
	v_cndmask_b32_e64 v26, 0, v26, s[6:7]
	v_add_u32_e32 v3, v3, v26
	s_and_saveexec_b64 s[28:29], s[8:9]
; %bb.17:                               ;   in Loop: Header=BB64_2 Depth=1
	ds_write_b32 v11, v3 offset:8192
; %bb.18:                               ;   in Loop: Header=BB64_2 Depth=1
	s_or_b64 exec, exec, s[28:29]
	s_waitcnt lgkmcnt(0)
	s_barrier
	s_and_saveexec_b64 s[28:29], vcc
	s_cbranch_execz .LBB64_20
; %bb.19:                               ;   in Loop: Header=BB64_2 Depth=1
	ds_read_b32 v26, v21 offset:8192
	s_waitcnt lgkmcnt(0)
	s_nop 0
	v_mov_b32_dpp v27, v26 row_shr:1 row_mask:0xf bank_mask:0xf
	v_cndmask_b32_e64 v27, v27, 0, s[24:25]
	v_add_u32_e32 v26, v27, v26
	s_nop 1
	v_mov_b32_dpp v27, v26 row_shr:2 row_mask:0xf bank_mask:0xf
	v_cndmask_b32_e64 v27, 0, v27, s[26:27]
	v_add_u32_e32 v26, v26, v27
	ds_write_b32 v21, v26 offset:8192
.LBB64_20:                              ;   in Loop: Header=BB64_2 Depth=1
	s_or_b64 exec, exec, s[28:29]
	v_mov_b32_e32 v26, 0
	s_waitcnt lgkmcnt(0)
	s_barrier
	s_and_saveexec_b64 s[28:29], s[0:1]
	s_cbranch_execz .LBB64_1
; %bb.21:                               ;   in Loop: Header=BB64_2 Depth=1
	ds_read_b32 v26, v11 offset:8188
	s_branch .LBB64_1
.LBB64_22:
	ds_read_u16 v0, v13
	ds_read_u16 v1, v14
	ds_read_u16 v2, v15
	ds_read_u16 v3, v16
	s_lshl_b64 s[0:1], s[34:35], 2
	s_add_u32 s0, s30, s0
	s_waitcnt lgkmcnt(3)
	v_add_u32_sdwa v0, v0, v22 dst_sel:DWORD dst_unused:UNUSED_PAD src0_sel:DWORD src1_sel:WORD_0
	s_waitcnt lgkmcnt(2)
	v_add_u32_sdwa v1, v1, v23 dst_sel:DWORD dst_unused:UNUSED_PAD src0_sel:DWORD src1_sel:WORD_0
	;; [unrolled: 2-line block ×4, first 2 shown]
	s_addc_u32 s1, s31, s1
	v_lshlrev_b32_e32 v4, 2, v8
	global_store_dwordx4 v4, v[0:3], s[0:1]
	s_endpgm
	.section	.rodata,"a",@progbits
	.p2align	6, 0x0
	.amdhsa_kernel _Z11rank_kernelIhLj4ELb0EL18RadixRankAlgorithm1ELj256ELj4ELj10EEvPKT_Pi
		.amdhsa_group_segment_fixed_size 8208
		.amdhsa_private_segment_fixed_size 0
		.amdhsa_kernarg_size 16
		.amdhsa_user_sgpr_count 6
		.amdhsa_user_sgpr_private_segment_buffer 1
		.amdhsa_user_sgpr_dispatch_ptr 0
		.amdhsa_user_sgpr_queue_ptr 0
		.amdhsa_user_sgpr_kernarg_segment_ptr 1
		.amdhsa_user_sgpr_dispatch_id 0
		.amdhsa_user_sgpr_flat_scratch_init 0
		.amdhsa_user_sgpr_private_segment_size 0
		.amdhsa_uses_dynamic_stack 0
		.amdhsa_system_sgpr_private_segment_wavefront_offset 0
		.amdhsa_system_sgpr_workgroup_id_x 1
		.amdhsa_system_sgpr_workgroup_id_y 0
		.amdhsa_system_sgpr_workgroup_id_z 0
		.amdhsa_system_sgpr_workgroup_info 0
		.amdhsa_system_vgpr_workitem_id 0
		.amdhsa_next_free_vgpr 33
		.amdhsa_next_free_sgpr 77
		.amdhsa_reserve_vcc 1
		.amdhsa_reserve_flat_scratch 0
		.amdhsa_float_round_mode_32 0
		.amdhsa_float_round_mode_16_64 0
		.amdhsa_float_denorm_mode_32 3
		.amdhsa_float_denorm_mode_16_64 3
		.amdhsa_dx10_clamp 1
		.amdhsa_ieee_mode 1
		.amdhsa_fp16_overflow 0
		.amdhsa_exception_fp_ieee_invalid_op 0
		.amdhsa_exception_fp_denorm_src 0
		.amdhsa_exception_fp_ieee_div_zero 0
		.amdhsa_exception_fp_ieee_overflow 0
		.amdhsa_exception_fp_ieee_underflow 0
		.amdhsa_exception_fp_ieee_inexact 0
		.amdhsa_exception_int_div_zero 0
	.end_amdhsa_kernel
	.section	.text._Z11rank_kernelIhLj4ELb0EL18RadixRankAlgorithm1ELj256ELj4ELj10EEvPKT_Pi,"axG",@progbits,_Z11rank_kernelIhLj4ELb0EL18RadixRankAlgorithm1ELj256ELj4ELj10EEvPKT_Pi,comdat
.Lfunc_end64:
	.size	_Z11rank_kernelIhLj4ELb0EL18RadixRankAlgorithm1ELj256ELj4ELj10EEvPKT_Pi, .Lfunc_end64-_Z11rank_kernelIhLj4ELb0EL18RadixRankAlgorithm1ELj256ELj4ELj10EEvPKT_Pi
                                        ; -- End function
	.set _Z11rank_kernelIhLj4ELb0EL18RadixRankAlgorithm1ELj256ELj4ELj10EEvPKT_Pi.num_vgpr, 28
	.set _Z11rank_kernelIhLj4ELb0EL18RadixRankAlgorithm1ELj256ELj4ELj10EEvPKT_Pi.num_agpr, 0
	.set _Z11rank_kernelIhLj4ELb0EL18RadixRankAlgorithm1ELj256ELj4ELj10EEvPKT_Pi.numbered_sgpr, 36
	.set _Z11rank_kernelIhLj4ELb0EL18RadixRankAlgorithm1ELj256ELj4ELj10EEvPKT_Pi.num_named_barrier, 0
	.set _Z11rank_kernelIhLj4ELb0EL18RadixRankAlgorithm1ELj256ELj4ELj10EEvPKT_Pi.private_seg_size, 0
	.set _Z11rank_kernelIhLj4ELb0EL18RadixRankAlgorithm1ELj256ELj4ELj10EEvPKT_Pi.uses_vcc, 1
	.set _Z11rank_kernelIhLj4ELb0EL18RadixRankAlgorithm1ELj256ELj4ELj10EEvPKT_Pi.uses_flat_scratch, 0
	.set _Z11rank_kernelIhLj4ELb0EL18RadixRankAlgorithm1ELj256ELj4ELj10EEvPKT_Pi.has_dyn_sized_stack, 0
	.set _Z11rank_kernelIhLj4ELb0EL18RadixRankAlgorithm1ELj256ELj4ELj10EEvPKT_Pi.has_recursion, 0
	.set _Z11rank_kernelIhLj4ELb0EL18RadixRankAlgorithm1ELj256ELj4ELj10EEvPKT_Pi.has_indirect_call, 0
	.section	.AMDGPU.csdata,"",@progbits
; Kernel info:
; codeLenInByte = 1828
; TotalNumSgprs: 40
; NumVgprs: 28
; ScratchSize: 0
; MemoryBound: 0
; FloatMode: 240
; IeeeMode: 1
; LDSByteSize: 8208 bytes/workgroup (compile time only)
; SGPRBlocks: 10
; VGPRBlocks: 8
; NumSGPRsForWavesPerEU: 81
; NumVGPRsForWavesPerEU: 33
; Occupancy: 7
; WaveLimiterHint : 0
; COMPUTE_PGM_RSRC2:SCRATCH_EN: 0
; COMPUTE_PGM_RSRC2:USER_SGPR: 6
; COMPUTE_PGM_RSRC2:TRAP_HANDLER: 0
; COMPUTE_PGM_RSRC2:TGID_X_EN: 1
; COMPUTE_PGM_RSRC2:TGID_Y_EN: 0
; COMPUTE_PGM_RSRC2:TGID_Z_EN: 0
; COMPUTE_PGM_RSRC2:TIDIG_COMP_CNT: 0
	.section	.text._Z11rank_kernelIhLj4ELb0EL18RadixRankAlgorithm2ELj256ELj4ELj10EEvPKT_Pi,"axG",@progbits,_Z11rank_kernelIhLj4ELb0EL18RadixRankAlgorithm2ELj256ELj4ELj10EEvPKT_Pi,comdat
	.protected	_Z11rank_kernelIhLj4ELb0EL18RadixRankAlgorithm2ELj256ELj4ELj10EEvPKT_Pi ; -- Begin function _Z11rank_kernelIhLj4ELb0EL18RadixRankAlgorithm2ELj256ELj4ELj10EEvPKT_Pi
	.globl	_Z11rank_kernelIhLj4ELb0EL18RadixRankAlgorithm2ELj256ELj4ELj10EEvPKT_Pi
	.p2align	8
	.type	_Z11rank_kernelIhLj4ELb0EL18RadixRankAlgorithm2ELj256ELj4ELj10EEvPKT_Pi,@function
_Z11rank_kernelIhLj4ELb0EL18RadixRankAlgorithm2ELj256ELj4ELj10EEvPKT_Pi: ; @_Z11rank_kernelIhLj4ELb0EL18RadixRankAlgorithm2ELj256ELj4ELj10EEvPKT_Pi
; %bb.0:
	s_load_dwordx4 s[0:3], s[4:5], 0x0
	s_load_dword s7, s[4:5], 0x1c
	s_lshl_b32 s92, s6, 10
	v_lshlrev_b32_e32 v4, 2, v0
	v_or_b32_e32 v6, 63, v0
	s_waitcnt lgkmcnt(0)
	s_add_u32 s0, s0, s92
	s_addc_u32 s1, s1, 0
	global_load_dword v26, v4, s[0:1]
	s_lshr_b32 s4, s7, 16
	s_and_b32 s5, s7, 0xffff
	v_mad_u32_u24 v1, v2, s4, v1
	s_mov_b64 s[94:95], s[2:3]
	v_cmp_gt_u32_e32 vcc, 4, v0
	v_cmp_lt_u32_e64 s[0:1], 63, v0
	v_lshrrev_b32_e32 v29, 4, v0
	v_cmp_eq_u32_e64 s[2:3], v0, v6
	v_mad_u64_u32 v[0:1], s[4:5], v1, s5, v[0:1]
	v_mov_b32_e32 v3, 0
	v_mbcnt_lo_u32_b32 v5, -1, 0
	v_mov_b32_e32 v28, 28
	v_mov_b32_e32 v7, v3
	;; [unrolled: 1-line block ×3, first 2 shown]
	v_mbcnt_hi_u32_b32 v69, -1, v5
	v_mov_b32_e32 v5, v3
	v_mov_b32_e32 v22, v3
	v_lshrrev_b32_e32 v32, 4, v0
	v_mov_b32_e32 v0, v3
	v_mov_b32_e32 v18, v3
	;; [unrolled: 1-line block ×7, first 2 shown]
	v_subrev_co_u32_e64 v30, s[4:5], 1, v69
	v_and_b32_e32 v31, 64, v69
	v_mov_b32_e32 v9, v3
	v_mov_b32_e32 v15, v3
	v_cmp_lt_i32_e64 s[64:65], v30, v31
	v_mov_b32_e32 v13, v3
	v_mov_b32_e32 v11, v3
	v_and_b32_e32 v65, 16, v69
	v_and_b32_e32 v81, 3, v69
	s_mov_b32 s33, 10
	s_mov_b32 s93, 0
	v_cmp_lt_u32_e64 s[86:87], 1, v81
	s_waitcnt vmcnt(0)
	v_lshlrev_b32_e32 v8, 29, v26
	v_lshrrev_b32_e32 v34, 16, v26
	v_lshlrev_b32_e32 v6, 30, v26
	v_lshrrev_b32_e32 v33, 8, v26
	v_and_b32_e32 v2, 1, v26
	v_cmp_gt_i64_e64 s[8:9], 0, v[7:8]
	v_not_b32_e32 v36, v8
	v_lshlrev_b32_e32 v23, 29, v34
	v_lshlrev_b32_sdwa v1, v28, v26 dst_sel:DWORD dst_unused:UNUSED_PAD src0_sel:DWORD src1_sel:BYTE_3
	v_lshrrev_b32_e32 v8, 4, v26
	v_lshlrev_b32_sdwa v19, v14, v26 dst_sel:DWORD dst_unused:UNUSED_PAD src0_sel:DWORD src1_sel:BYTE_3
	v_cmp_gt_i64_e64 s[6:7], 0, v[5:6]
	v_lshlrev_b32_e32 v21, 30, v34
	v_lshlrev_b32_e32 v25, 28, v34
	v_cmp_ne_u64_e64 s[16:17], 0, v[2:3]
	v_add_co_u32_e64 v5, s[68:69], -1, v2
	v_and_b32_e32 v2, 1, v33
	v_cmp_gt_i64_e64 s[26:27], 0, v[22:23]
	v_cmp_gt_i64_e64 s[36:37], 0, v[0:1]
	v_not_b32_e32 v22, v1
	v_lshlrev_b32_e32 v1, 30, v8
	v_not_b32_e32 v35, v6
	v_cmp_gt_i64_e64 s[14:15], 0, v[18:19]
	v_not_b32_e32 v39, v19
	v_cmp_gt_i64_e64 s[24:25], 0, v[20:21]
	;; [unrolled: 2-line block ×3, first 2 shown]
	v_not_b32_e32 v21, v25
	v_cmp_ne_u64_e64 s[30:31], 0, v[2:3]
	v_add_co_u32_e64 v6, s[72:73], -1, v2
	v_and_b32_e32 v2, 1, v34
	v_cmp_gt_i64_e64 s[38:39], 0, v[0:1]
	v_not_b32_e32 v25, v1
	v_lshlrev_b32_e32 v1, 29, v8
	v_cmp_ne_u64_e64 s[34:35], 0, v[2:3]
	v_add_co_u32_e64 v7, s[74:75], -1, v2
	v_and_b32_sdwa v2, v26, v27 dst_sel:DWORD dst_unused:UNUSED_PAD src0_sel:BYTE_3 src1_sel:DWORD
	v_cmp_gt_i64_e64 s[40:41], 0, v[0:1]
	v_not_b32_e32 v27, v1
	v_lshlrev_b32_e32 v1, 28, v8
	v_lshrrev_b32_e32 v8, 4, v33
	v_cmp_gt_i64_e64 s[42:43], 0, v[0:1]
	v_not_b32_e32 v28, v1
	v_lshlrev_b32_e32 v1, 30, v8
	v_cmp_gt_i64_e64 s[44:45], 0, v[0:1]
	v_not_b32_e32 v40, v1
	v_lshlrev_b32_e32 v1, 29, v8
	;; [unrolled: 3-line block ×3, first 2 shown]
	v_lshrrev_b32_e32 v8, 4, v34
	v_lshlrev_b32_sdwa v17, v12, v26 dst_sel:DWORD dst_unused:UNUSED_PAD src0_sel:DWORD src1_sel:BYTE_3
	v_lshlrev_b32_e32 v14, 29, v33
	v_cmp_gt_i64_e64 s[48:49], 0, v[0:1]
	v_not_b32_e32 v42, v1
	v_lshlrev_b32_e32 v1, 30, v8
	v_lshlrev_b32_e32 v10, 28, v26
	v_cmp_gt_i64_e64 s[12:13], 0, v[16:17]
	v_lshlrev_b32_e32 v16, 28, v33
	v_not_b32_e32 v18, v14
	v_not_b32_e32 v20, v23
	v_cmp_gt_i64_e64 s[50:51], 0, v[0:1]
	v_not_b32_e32 v43, v1
	v_lshlrev_b32_e32 v1, 29, v8
	v_cmp_gt_i64_e64 s[10:11], 0, v[9:10]
	v_not_b32_e32 v37, v10
	v_cmp_gt_i64_e64 s[22:23], 0, v[15:16]
	v_cmp_gt_i64_e64 s[52:53], 0, v[0:1]
	v_not_b32_e32 v44, v1
	v_lshlrev_b32_e32 v1, 28, v8
	v_cndmask_b32_e64 v8, v30, v69, s[64:65]
	v_and_b32_e32 v10, 12, v29
	v_ashrrev_i32_e32 v15, 31, v18
	v_ashrrev_i32_e32 v18, 31, v20
	v_mov_b32_e32 v20, 15
	v_cmp_ne_u64_e64 s[64:65], 0, v[2:3]
	v_add_co_u32_e64 v24, s[76:77], -1, v2
	v_bfe_u32 v2, v26, 4, 1
	v_bfe_u32 v29, v33, 4, 4
	v_cmp_gt_i64_e64 s[20:21], 0, v[13:14]
	v_lshrrev_b32_e32 v46, 28, v26
	v_and_b32_e32 v14, 15, v26
	v_and_b32_sdwa v20, v26, v20 dst_sel:DWORD dst_unused:UNUSED_PAD src0_sel:BYTE_3 src1_sel:DWORD
	v_ashrrev_i32_e32 v23, 31, v22
	v_bfe_u32 v22, v26, 4, 4
	v_cmp_ne_u64_e64 s[66:67], 0, v[2:3]
	v_ashrrev_i32_e32 v26, 31, v27
	v_ashrrev_i32_e32 v27, 31, v28
	v_add_co_u32_e64 v28, s[78:79], -1, v2
	v_bfe_u32 v2, v33, 4, 1
	v_mul_u32_u24_e32 v53, 20, v29
	v_addc_co_u32_e64 v29, s[68:69], 0, -1, s[68:69]
	v_not_b32_e32 v38, v17
	v_lshlrev_b32_e32 v12, 30, v33
	v_cmp_gt_i64_e64 s[54:55], 0, v[0:1]
	v_not_b32_e32 v45, v1
	v_lshlrev_b32_e32 v1, 30, v46
	v_mul_u32_u24_e32 v49, 20, v14
	v_and_b32_e32 v14, 15, v33
	v_cmp_ne_u64_e64 s[68:69], 0, v[2:3]
	v_add_co_u32_e64 v33, s[80:81], -1, v2
	v_bfe_u32 v2, v34, 4, 1
	v_cmp_gt_i64_e64 s[56:57], 0, v[0:1]
	v_not_b32_e32 v47, v1
	v_lshlrev_b32_e32 v1, 29, v46
	v_mul_u32_u24_e32 v52, 20, v20
	v_ashrrev_i32_e32 v20, 31, v38
	v_add_co_u32_e64 v38, s[82:83], -1, v2
	v_not_b32_e32 v17, v12
	v_cmp_gt_i64_e64 s[58:59], 0, v[0:1]
	v_not_b32_e32 v48, v1
	v_lshlrev_b32_e32 v1, 28, v46
	v_cmp_ne_u64_e64 s[70:71], 0, v[2:3]
	v_and_b32_e32 v2, 1, v46
	v_addc_co_u32_e64 v72, s[82:83], 0, -1, s[82:83]
	v_not_b32_e32 v16, v16
	v_cmp_gt_i64_e64 s[60:61], 0, v[0:1]
	v_not_b32_e32 v0, v1
	v_lshlrev_b32_e32 v9, 2, v8
	v_and_b32_e32 v8, 0xffffffc, v32
	v_mul_u32_u24_e32 v50, 20, v14
	v_ashrrev_i32_e32 v14, 31, v17
	v_and_b32_e32 v17, 15, v34
	v_bfe_u32 v34, v34, 4, 4
	v_add_co_u32_e64 v73, s[82:83], -1, v2
	v_cmp_gt_i64_e64 s[18:19], 0, v[11:12]
	v_and_b32_e32 v1, 15, v69
	v_ashrrev_i32_e32 v11, 31, v35
	v_ashrrev_i32_e32 v12, 31, v36
	;; [unrolled: 1-line block ×4, first 2 shown]
	v_mul_u32_u24_e32 v51, 20, v17
	v_ashrrev_i32_e32 v17, 31, v19
	v_ashrrev_i32_e32 v19, 31, v21
	v_ashrrev_i32_e32 v21, 31, v39
	v_ashrrev_i32_e32 v25, 31, v25
	v_ashrrev_i32_e32 v30, 31, v40
	v_ashrrev_i32_e32 v31, 31, v41
	v_ashrrev_i32_e32 v32, 31, v42
	v_mul_u32_u24_e32 v54, 20, v34
	v_ashrrev_i32_e32 v34, 31, v43
	v_ashrrev_i32_e32 v35, 31, v44
	;; [unrolled: 1-line block ×3, first 2 shown]
	v_mul_u32_u24_e32 v44, 20, v46
	v_ashrrev_i32_e32 v39, 31, v47
	v_ashrrev_i32_e32 v40, 31, v48
	;; [unrolled: 1-line block ×3, first 2 shown]
	v_add_u32_e32 v48, v8, v52
	v_addc_co_u32_e64 v52, s[72:73], 0, -1, s[72:73]
	v_addc_co_u32_e64 v56, s[74:75], 0, -1, s[74:75]
	;; [unrolled: 1-line block ×6, first 2 shown]
	v_cmp_ne_u64_e64 s[84:85], 0, v[2:3]
	v_cmp_eq_u32_e64 s[62:63], 0, v1
	v_mul_u32_u24_e32 v22, 20, v22
	v_add_u32_e32 v37, -4, v10
	v_add_u32_e32 v45, v8, v49
	v_add_u32_e32 v46, v8, v50
	;; [unrolled: 1-line block ×6, first 2 shown]
	v_mov_b32_e32 v49, v11
	v_mov_b32_e32 v50, v12
	v_mov_b32_e32 v51, v13
	v_cmp_lt_u32_e64 s[72:73], 1, v1
	v_mov_b32_e32 v53, v14
	v_mov_b32_e32 v54, v15
	v_mov_b32_e32 v55, v16
	v_cmp_lt_u32_e64 s[74:75], 3, v1
	;; [unrolled: 4-line block ×3, first 2 shown]
	v_mov_b32_e32 v61, v20
	v_mov_b32_e32 v62, v21
	;; [unrolled: 1-line block ×3, first 2 shown]
	v_cmp_eq_u32_e64 s[78:79], 0, v65
	v_mov_b32_e32 v65, v25
	v_mov_b32_e32 v66, v26
	;; [unrolled: 1-line block ×3, first 2 shown]
	v_cmp_lt_u32_e64 s[80:81], 31, v69
	v_mov_b32_e32 v69, v30
	v_mov_b32_e32 v70, v31
	;; [unrolled: 1-line block ×3, first 2 shown]
	v_cmp_eq_u32_e64 s[82:83], 0, v81
	v_mov_b32_e32 v75, v34
	v_mov_b32_e32 v76, v35
	;; [unrolled: 1-line block ×6, first 2 shown]
	s_branch .LBB65_2
.LBB65_1:                               ;   in Loop: Header=BB65_2 Depth=1
	s_or_b64 exec, exec, s[88:89]
	s_waitcnt lgkmcnt(0)
	v_add_u32_e32 v0, v1, v0
	ds_bpermute_b32 v0, v9, v0
	s_add_i32 s33, s33, -1
	s_cmp_eq_u32 s33, 0
	s_waitcnt lgkmcnt(0)
	v_cndmask_b32_e64 v0, v0, v1, s[4:5]
	ds_write_b32 v4, v0 offset:16
	s_waitcnt lgkmcnt(0)
	s_barrier
	s_cbranch_scc1 .LBB65_30
.LBB65_2:                               ; =>This Inner Loop Header: Depth=1
	v_cndmask_b32_e64 v0, 0, 1, s[16:17]
	v_cmp_ne_u32_e64 s[88:89], 0, v0
	v_cndmask_b32_e64 v2, 0, 1, s[6:7]
	v_xor_b32_e32 v0, s89, v29
	v_xor_b32_e32 v1, s88, v5
	v_cmp_ne_u32_e64 s[88:89], 0, v2
	v_and_b32_e32 v0, exec_hi, v0
	v_xor_b32_e32 v2, s89, v49
	v_and_b32_e32 v0, v0, v2
	v_cndmask_b32_e64 v2, 0, 1, s[8:9]
	v_and_b32_e32 v1, exec_lo, v1
	v_xor_b32_e32 v81, s88, v11
	v_cmp_ne_u32_e64 s[88:89], 0, v2
	v_and_b32_e32 v1, v1, v81
	v_xor_b32_e32 v2, s89, v50
	v_xor_b32_e32 v81, s88, v12
	v_and_b32_e32 v0, v0, v2
	v_and_b32_e32 v2, v1, v81
	v_cndmask_b32_e64 v1, 0, 1, s[10:11]
	v_cmp_ne_u32_e64 s[88:89], 0, v1
	v_xor_b32_e32 v1, s89, v51
	v_xor_b32_e32 v81, s88, v13
	v_and_b32_e32 v1, v0, v1
	v_and_b32_e32 v0, v2, v81
	v_mbcnt_lo_u32_b32 v2, v0, 0
	v_mbcnt_hi_u32_b32 v2, v1, v2
	v_cmp_ne_u64_e64 s[88:89], 0, v[0:1]
	v_cmp_eq_u32_e64 s[90:91], 0, v2
	s_and_b64 s[90:91], s[88:89], s[90:91]
	ds_write_b32 v4, v3 offset:16
	s_waitcnt lgkmcnt(0)
	s_barrier
	; wave barrier
	s_and_saveexec_b64 s[88:89], s[90:91]
; %bb.3:                                ;   in Loop: Header=BB65_2 Depth=1
	v_bcnt_u32_b32 v0, v0, 0
	v_bcnt_u32_b32 v0, v1, v0
	ds_write_b32 v45, v0 offset:16
; %bb.4:                                ;   in Loop: Header=BB65_2 Depth=1
	s_or_b64 exec, exec, s[88:89]
	v_cndmask_b32_e64 v0, 0, 1, s[30:31]
	v_cmp_ne_u32_e64 s[88:89], 0, v0
	v_cndmask_b32_e64 v81, 0, 1, s[18:19]
	v_xor_b32_e32 v0, s89, v52
	v_xor_b32_e32 v1, s88, v6
	v_cmp_ne_u32_e64 s[88:89], 0, v81
	v_and_b32_e32 v0, exec_hi, v0
	v_xor_b32_e32 v81, s89, v53
	v_and_b32_e32 v0, v0, v81
	v_cndmask_b32_e64 v81, 0, 1, s[20:21]
	v_and_b32_e32 v1, exec_lo, v1
	v_xor_b32_e32 v82, s88, v14
	v_cmp_ne_u32_e64 s[88:89], 0, v81
	v_and_b32_e32 v1, v1, v82
	v_xor_b32_e32 v81, s89, v54
	v_xor_b32_e32 v82, s88, v15
	v_and_b32_e32 v0, v0, v81
	v_and_b32_e32 v81, v1, v82
	v_cndmask_b32_e64 v1, 0, 1, s[22:23]
	v_cmp_ne_u32_e64 s[88:89], 0, v1
	v_xor_b32_e32 v1, s89, v55
	v_xor_b32_e32 v82, s88, v16
	; wave barrier
	ds_read_b32 v2, v46 offset:16
	v_and_b32_e32 v1, v0, v1
	v_and_b32_e32 v0, v81, v82
	v_mbcnt_lo_u32_b32 v81, v0, 0
	v_mbcnt_hi_u32_b32 v81, v1, v81
	v_cmp_ne_u64_e64 s[88:89], 0, v[0:1]
	v_cmp_eq_u32_e64 s[90:91], 0, v81
	s_and_b64 s[90:91], s[88:89], s[90:91]
	; wave barrier
	s_and_saveexec_b64 s[88:89], s[90:91]
	s_cbranch_execz .LBB65_6
; %bb.5:                                ;   in Loop: Header=BB65_2 Depth=1
	v_bcnt_u32_b32 v0, v0, 0
	v_bcnt_u32_b32 v0, v1, v0
	s_waitcnt lgkmcnt(0)
	v_add_u32_e32 v0, v2, v0
	ds_write_b32 v46, v0 offset:16
.LBB65_6:                               ;   in Loop: Header=BB65_2 Depth=1
	s_or_b64 exec, exec, s[88:89]
	v_cndmask_b32_e64 v0, 0, 1, s[34:35]
	v_cmp_ne_u32_e64 s[88:89], 0, v0
	v_cndmask_b32_e64 v81, 0, 1, s[24:25]
	v_xor_b32_e32 v0, s89, v56
	v_xor_b32_e32 v1, s88, v7
	v_cmp_ne_u32_e64 s[88:89], 0, v81
	v_and_b32_e32 v0, exec_hi, v0
	v_xor_b32_e32 v81, s89, v57
	v_and_b32_e32 v0, v0, v81
	v_cndmask_b32_e64 v81, 0, 1, s[26:27]
	v_and_b32_e32 v1, exec_lo, v1
	v_xor_b32_e32 v82, s88, v17
	v_cmp_ne_u32_e64 s[88:89], 0, v81
	v_and_b32_e32 v1, v1, v82
	v_xor_b32_e32 v81, s89, v58
	v_xor_b32_e32 v82, s88, v18
	v_and_b32_e32 v0, v0, v81
	v_and_b32_e32 v81, v1, v82
	v_cndmask_b32_e64 v1, 0, 1, s[28:29]
	v_cmp_ne_u32_e64 s[88:89], 0, v1
	v_xor_b32_e32 v1, s89, v59
	v_xor_b32_e32 v82, s88, v19
	; wave barrier
	s_waitcnt lgkmcnt(0)
	ds_read_b32 v2, v47 offset:16
	v_and_b32_e32 v1, v0, v1
	v_and_b32_e32 v0, v81, v82
	v_mbcnt_lo_u32_b32 v81, v0, 0
	v_mbcnt_hi_u32_b32 v81, v1, v81
	v_cmp_ne_u64_e64 s[88:89], 0, v[0:1]
	v_cmp_eq_u32_e64 s[90:91], 0, v81
	s_and_b64 s[90:91], s[88:89], s[90:91]
	; wave barrier
	s_and_saveexec_b64 s[88:89], s[90:91]
	s_cbranch_execz .LBB65_8
; %bb.7:                                ;   in Loop: Header=BB65_2 Depth=1
	v_bcnt_u32_b32 v0, v0, 0
	v_bcnt_u32_b32 v0, v1, v0
	s_waitcnt lgkmcnt(0)
	v_add_u32_e32 v0, v2, v0
	ds_write_b32 v47, v0 offset:16
.LBB65_8:                               ;   in Loop: Header=BB65_2 Depth=1
	s_or_b64 exec, exec, s[88:89]
	v_cndmask_b32_e64 v0, 0, 1, s[64:65]
	v_cmp_ne_u32_e64 s[88:89], 0, v0
	v_cndmask_b32_e64 v81, 0, 1, s[12:13]
	v_xor_b32_e32 v0, s89, v60
	v_xor_b32_e32 v1, s88, v24
	v_cmp_ne_u32_e64 s[88:89], 0, v81
	v_and_b32_e32 v0, exec_hi, v0
	v_xor_b32_e32 v81, s89, v61
	v_and_b32_e32 v0, v0, v81
	v_cndmask_b32_e64 v81, 0, 1, s[14:15]
	v_and_b32_e32 v1, exec_lo, v1
	v_xor_b32_e32 v82, s88, v20
	v_cmp_ne_u32_e64 s[88:89], 0, v81
	v_and_b32_e32 v1, v1, v82
	v_xor_b32_e32 v81, s89, v62
	v_xor_b32_e32 v82, s88, v21
	v_and_b32_e32 v0, v0, v81
	v_and_b32_e32 v81, v1, v82
	v_cndmask_b32_e64 v1, 0, 1, s[36:37]
	v_cmp_ne_u32_e64 s[88:89], 0, v1
	v_xor_b32_e32 v1, s89, v63
	v_xor_b32_e32 v82, s88, v23
	; wave barrier
	s_waitcnt lgkmcnt(0)
	ds_read_b32 v2, v48 offset:16
	v_and_b32_e32 v1, v0, v1
	v_and_b32_e32 v0, v81, v82
	v_mbcnt_lo_u32_b32 v81, v0, 0
	v_mbcnt_hi_u32_b32 v81, v1, v81
	v_cmp_ne_u64_e64 s[88:89], 0, v[0:1]
	v_cmp_eq_u32_e64 s[90:91], 0, v81
	s_and_b64 s[90:91], s[88:89], s[90:91]
	; wave barrier
	s_and_saveexec_b64 s[88:89], s[90:91]
	s_cbranch_execz .LBB65_10
; %bb.9:                                ;   in Loop: Header=BB65_2 Depth=1
	v_bcnt_u32_b32 v0, v0, 0
	v_bcnt_u32_b32 v0, v1, v0
	s_waitcnt lgkmcnt(0)
	v_add_u32_e32 v0, v2, v0
	ds_write_b32 v48, v0 offset:16
.LBB65_10:                              ;   in Loop: Header=BB65_2 Depth=1
	s_or_b64 exec, exec, s[88:89]
	; wave barrier
	s_waitcnt lgkmcnt(0)
	s_barrier
	ds_read_b32 v0, v4 offset:16
	s_waitcnt lgkmcnt(0)
	s_nop 0
	v_mov_b32_dpp v1, v0 row_shr:1 row_mask:0xf bank_mask:0xf
	v_cndmask_b32_e64 v1, v1, 0, s[62:63]
	v_add_u32_e32 v0, v1, v0
	s_nop 1
	v_mov_b32_dpp v1, v0 row_shr:2 row_mask:0xf bank_mask:0xf
	v_cndmask_b32_e64 v1, 0, v1, s[72:73]
	v_add_u32_e32 v0, v0, v1
	;; [unrolled: 4-line block ×4, first 2 shown]
	s_nop 1
	v_mov_b32_dpp v1, v0 row_bcast:15 row_mask:0xf bank_mask:0xf
	v_cndmask_b32_e64 v1, v1, 0, s[78:79]
	v_add_u32_e32 v0, v0, v1
	s_nop 1
	v_mov_b32_dpp v1, v0 row_bcast:31 row_mask:0xf bank_mask:0xf
	v_cndmask_b32_e64 v1, 0, v1, s[80:81]
	v_add_u32_e32 v0, v0, v1
	s_and_saveexec_b64 s[88:89], s[2:3]
; %bb.11:                               ;   in Loop: Header=BB65_2 Depth=1
	ds_write_b32 v10, v0
; %bb.12:                               ;   in Loop: Header=BB65_2 Depth=1
	s_or_b64 exec, exec, s[88:89]
	s_waitcnt lgkmcnt(0)
	s_barrier
	s_and_saveexec_b64 s[88:89], vcc
	s_cbranch_execz .LBB65_14
; %bb.13:                               ;   in Loop: Header=BB65_2 Depth=1
	ds_read_b32 v1, v4
	s_waitcnt lgkmcnt(0)
	s_nop 0
	v_mov_b32_dpp v2, v1 row_shr:1 row_mask:0xf bank_mask:0xf
	v_cndmask_b32_e64 v2, v2, 0, s[82:83]
	v_add_u32_e32 v1, v2, v1
	s_nop 1
	v_mov_b32_dpp v2, v1 row_shr:2 row_mask:0xf bank_mask:0xf
	v_cndmask_b32_e64 v2, 0, v2, s[86:87]
	v_add_u32_e32 v1, v1, v2
	ds_write_b32 v4, v1
.LBB65_14:                              ;   in Loop: Header=BB65_2 Depth=1
	s_or_b64 exec, exec, s[88:89]
	v_mov_b32_e32 v1, 0
	s_waitcnt lgkmcnt(0)
	s_barrier
	s_and_saveexec_b64 s[88:89], s[0:1]
; %bb.15:                               ;   in Loop: Header=BB65_2 Depth=1
	ds_read_b32 v1, v37
; %bb.16:                               ;   in Loop: Header=BB65_2 Depth=1
	s_or_b64 exec, exec, s[88:89]
	s_waitcnt lgkmcnt(0)
	v_add_u32_e32 v0, v1, v0
	ds_bpermute_b32 v0, v9, v0
	v_cndmask_b32_e64 v2, 0, 1, s[38:39]
	s_waitcnt lgkmcnt(0)
	v_cndmask_b32_e64 v0, v0, v1, s[4:5]
	ds_write_b32 v4, v0 offset:16
	v_cndmask_b32_e64 v0, 0, 1, s[66:67]
	v_cmp_ne_u32_e64 s[88:89], 0, v0
	v_xor_b32_e32 v0, s89, v64
	v_xor_b32_e32 v1, s88, v28
	v_cmp_ne_u32_e64 s[88:89], 0, v2
	v_and_b32_e32 v0, exec_hi, v0
	v_xor_b32_e32 v2, s89, v65
	v_and_b32_e32 v0, v0, v2
	v_cndmask_b32_e64 v2, 0, 1, s[40:41]
	v_and_b32_e32 v1, exec_lo, v1
	v_xor_b32_e32 v81, s88, v25
	v_cmp_ne_u32_e64 s[88:89], 0, v2
	v_and_b32_e32 v1, v1, v81
	v_xor_b32_e32 v2, s89, v66
	v_xor_b32_e32 v81, s88, v26
	v_and_b32_e32 v0, v0, v2
	v_and_b32_e32 v2, v1, v81
	v_cndmask_b32_e64 v1, 0, 1, s[42:43]
	v_cmp_ne_u32_e64 s[88:89], 0, v1
	v_xor_b32_e32 v1, s89, v67
	v_xor_b32_e32 v81, s88, v27
	v_and_b32_e32 v1, v0, v1
	v_and_b32_e32 v0, v2, v81
	v_mbcnt_lo_u32_b32 v2, v0, 0
	v_mbcnt_hi_u32_b32 v2, v1, v2
	v_cmp_ne_u64_e64 s[88:89], 0, v[0:1]
	v_cmp_eq_u32_e64 s[90:91], 0, v2
	s_and_b64 s[90:91], s[88:89], s[90:91]
	s_waitcnt lgkmcnt(0)
	s_barrier
	ds_write_b32 v4, v3 offset:16
	s_waitcnt lgkmcnt(0)
	s_barrier
	; wave barrier
	s_and_saveexec_b64 s[88:89], s[90:91]
; %bb.17:                               ;   in Loop: Header=BB65_2 Depth=1
	v_bcnt_u32_b32 v0, v0, 0
	v_bcnt_u32_b32 v0, v1, v0
	v_add_u32_e32 v1, v8, v22
	ds_write_b32 v1, v0 offset:16
; %bb.18:                               ;   in Loop: Header=BB65_2 Depth=1
	s_or_b64 exec, exec, s[88:89]
	v_cndmask_b32_e64 v0, 0, 1, s[68:69]
	v_cmp_ne_u32_e64 s[88:89], 0, v0
	v_cndmask_b32_e64 v82, 0, 1, s[44:45]
	v_xor_b32_e32 v0, s89, v68
	v_xor_b32_e32 v1, s88, v33
	v_cmp_ne_u32_e64 s[88:89], 0, v82
	v_and_b32_e32 v0, exec_hi, v0
	v_xor_b32_e32 v82, s89, v69
	v_and_b32_e32 v0, v0, v82
	v_cndmask_b32_e64 v82, 0, 1, s[46:47]
	v_and_b32_e32 v1, exec_lo, v1
	v_xor_b32_e32 v83, s88, v30
	v_cmp_ne_u32_e64 s[88:89], 0, v82
	v_and_b32_e32 v1, v1, v83
	v_xor_b32_e32 v82, s89, v70
	v_xor_b32_e32 v83, s88, v31
	v_and_b32_e32 v0, v0, v82
	v_and_b32_e32 v82, v1, v83
	v_cndmask_b32_e64 v1, 0, 1, s[48:49]
	v_cmp_ne_u32_e64 s[88:89], 0, v1
	v_xor_b32_e32 v1, s89, v71
	v_xor_b32_e32 v83, s88, v32
	; wave barrier
	ds_read_b32 v81, v42 offset:16
	v_and_b32_e32 v1, v0, v1
	v_and_b32_e32 v0, v82, v83
	v_mbcnt_lo_u32_b32 v82, v0, 0
	v_mbcnt_hi_u32_b32 v82, v1, v82
	v_cmp_ne_u64_e64 s[88:89], 0, v[0:1]
	v_cmp_eq_u32_e64 s[90:91], 0, v82
	s_and_b64 s[90:91], s[88:89], s[90:91]
	; wave barrier
	s_and_saveexec_b64 s[88:89], s[90:91]
	s_cbranch_execz .LBB65_20
; %bb.19:                               ;   in Loop: Header=BB65_2 Depth=1
	v_bcnt_u32_b32 v0, v0, 0
	v_bcnt_u32_b32 v0, v1, v0
	s_waitcnt lgkmcnt(0)
	v_add_u32_e32 v0, v81, v0
	ds_write_b32 v42, v0 offset:16
.LBB65_20:                              ;   in Loop: Header=BB65_2 Depth=1
	s_or_b64 exec, exec, s[88:89]
	v_cndmask_b32_e64 v0, 0, 1, s[70:71]
	v_cmp_ne_u32_e64 s[88:89], 0, v0
	v_cndmask_b32_e64 v84, 0, 1, s[50:51]
	v_xor_b32_e32 v0, s89, v72
	v_xor_b32_e32 v1, s88, v38
	v_cmp_ne_u32_e64 s[88:89], 0, v84
	v_and_b32_e32 v0, exec_hi, v0
	v_xor_b32_e32 v84, s89, v75
	v_and_b32_e32 v0, v0, v84
	v_cndmask_b32_e64 v84, 0, 1, s[52:53]
	v_and_b32_e32 v1, exec_lo, v1
	v_xor_b32_e32 v85, s88, v34
	v_cmp_ne_u32_e64 s[88:89], 0, v84
	v_and_b32_e32 v1, v1, v85
	v_xor_b32_e32 v84, s89, v76
	v_xor_b32_e32 v85, s88, v35
	v_and_b32_e32 v0, v0, v84
	v_and_b32_e32 v84, v1, v85
	v_cndmask_b32_e64 v1, 0, 1, s[54:55]
	v_cmp_ne_u32_e64 s[88:89], 0, v1
	v_xor_b32_e32 v1, s89, v77
	v_xor_b32_e32 v85, s88, v36
	; wave barrier
	ds_read_b32 v83, v43 offset:16
	v_and_b32_e32 v1, v0, v1
	v_and_b32_e32 v0, v84, v85
	v_mbcnt_lo_u32_b32 v84, v0, 0
	v_mbcnt_hi_u32_b32 v84, v1, v84
	v_cmp_ne_u64_e64 s[88:89], 0, v[0:1]
	v_cmp_eq_u32_e64 s[90:91], 0, v84
	s_and_b64 s[90:91], s[88:89], s[90:91]
	; wave barrier
	s_and_saveexec_b64 s[88:89], s[90:91]
	s_cbranch_execz .LBB65_22
; %bb.21:                               ;   in Loop: Header=BB65_2 Depth=1
	v_bcnt_u32_b32 v0, v0, 0
	v_bcnt_u32_b32 v0, v1, v0
	s_waitcnt lgkmcnt(0)
	v_add_u32_e32 v0, v83, v0
	ds_write_b32 v43, v0 offset:16
.LBB65_22:                              ;   in Loop: Header=BB65_2 Depth=1
	;; [unrolled: 42-line block ×3, first 2 shown]
	s_or_b64 exec, exec, s[88:89]
	; wave barrier
	s_waitcnt lgkmcnt(0)
	s_barrier
	ds_read_b32 v0, v4 offset:16
	s_waitcnt lgkmcnt(0)
	s_nop 0
	v_mov_b32_dpp v1, v0 row_shr:1 row_mask:0xf bank_mask:0xf
	v_cndmask_b32_e64 v1, v1, 0, s[62:63]
	v_add_u32_e32 v0, v1, v0
	s_nop 1
	v_mov_b32_dpp v1, v0 row_shr:2 row_mask:0xf bank_mask:0xf
	v_cndmask_b32_e64 v1, 0, v1, s[72:73]
	v_add_u32_e32 v0, v0, v1
	;; [unrolled: 4-line block ×4, first 2 shown]
	s_nop 1
	v_mov_b32_dpp v1, v0 row_bcast:15 row_mask:0xf bank_mask:0xf
	v_cndmask_b32_e64 v1, v1, 0, s[78:79]
	v_add_u32_e32 v0, v0, v1
	s_nop 1
	v_mov_b32_dpp v1, v0 row_bcast:31 row_mask:0xf bank_mask:0xf
	v_cndmask_b32_e64 v1, 0, v1, s[80:81]
	v_add_u32_e32 v0, v0, v1
	s_and_saveexec_b64 s[88:89], s[2:3]
; %bb.25:                               ;   in Loop: Header=BB65_2 Depth=1
	ds_write_b32 v10, v0
; %bb.26:                               ;   in Loop: Header=BB65_2 Depth=1
	s_or_b64 exec, exec, s[88:89]
	s_waitcnt lgkmcnt(0)
	s_barrier
	s_and_saveexec_b64 s[88:89], vcc
	s_cbranch_execz .LBB65_28
; %bb.27:                               ;   in Loop: Header=BB65_2 Depth=1
	ds_read_b32 v1, v4
	s_waitcnt lgkmcnt(0)
	s_nop 0
	v_mov_b32_dpp v87, v1 row_shr:1 row_mask:0xf bank_mask:0xf
	v_cndmask_b32_e64 v87, v87, 0, s[82:83]
	v_add_u32_e32 v1, v87, v1
	s_nop 1
	v_mov_b32_dpp v87, v1 row_shr:2 row_mask:0xf bank_mask:0xf
	v_cndmask_b32_e64 v87, 0, v87, s[86:87]
	v_add_u32_e32 v1, v1, v87
	ds_write_b32 v4, v1
.LBB65_28:                              ;   in Loop: Header=BB65_2 Depth=1
	s_or_b64 exec, exec, s[88:89]
	v_mov_b32_e32 v1, 0
	s_waitcnt lgkmcnt(0)
	s_barrier
	s_and_saveexec_b64 s[88:89], s[0:1]
	s_cbranch_execz .LBB65_1
; %bb.29:                               ;   in Loop: Header=BB65_2 Depth=1
	ds_read_b32 v1, v37
	s_branch .LBB65_1
.LBB65_30:
	v_add_u32_e32 v0, v8, v22
	ds_read_b32 v0, v0 offset:16
	ds_read_b32 v1, v42 offset:16
	;; [unrolled: 1-line block ×4, first 2 shown]
	s_lshl_b64 s[0:1], s[92:93], 2
	s_add_u32 s0, s94, s0
	s_waitcnt lgkmcnt(3)
	v_add_u32_e32 v0, v0, v2
	s_waitcnt lgkmcnt(2)
	v_add3_u32 v1, v82, v81, v1
	s_waitcnt lgkmcnt(1)
	v_add3_u32 v2, v84, v83, v3
	;; [unrolled: 2-line block ×3, first 2 shown]
	s_addc_u32 s1, s95, s1
	v_lshlrev_b32_e32 v4, 2, v4
	global_store_dwordx4 v4, v[0:3], s[0:1]
	s_endpgm
	.section	.rodata,"a",@progbits
	.p2align	6, 0x0
	.amdhsa_kernel _Z11rank_kernelIhLj4ELb0EL18RadixRankAlgorithm2ELj256ELj4ELj10EEvPKT_Pi
		.amdhsa_group_segment_fixed_size 1040
		.amdhsa_private_segment_fixed_size 0
		.amdhsa_kernarg_size 272
		.amdhsa_user_sgpr_count 6
		.amdhsa_user_sgpr_private_segment_buffer 1
		.amdhsa_user_sgpr_dispatch_ptr 0
		.amdhsa_user_sgpr_queue_ptr 0
		.amdhsa_user_sgpr_kernarg_segment_ptr 1
		.amdhsa_user_sgpr_dispatch_id 0
		.amdhsa_user_sgpr_flat_scratch_init 0
		.amdhsa_user_sgpr_private_segment_size 0
		.amdhsa_uses_dynamic_stack 0
		.amdhsa_system_sgpr_private_segment_wavefront_offset 0
		.amdhsa_system_sgpr_workgroup_id_x 1
		.amdhsa_system_sgpr_workgroup_id_y 0
		.amdhsa_system_sgpr_workgroup_id_z 0
		.amdhsa_system_sgpr_workgroup_info 0
		.amdhsa_system_vgpr_workitem_id 2
		.amdhsa_next_free_vgpr 88
		.amdhsa_next_free_sgpr 96
		.amdhsa_reserve_vcc 1
		.amdhsa_reserve_flat_scratch 0
		.amdhsa_float_round_mode_32 0
		.amdhsa_float_round_mode_16_64 0
		.amdhsa_float_denorm_mode_32 3
		.amdhsa_float_denorm_mode_16_64 3
		.amdhsa_dx10_clamp 1
		.amdhsa_ieee_mode 1
		.amdhsa_fp16_overflow 0
		.amdhsa_exception_fp_ieee_invalid_op 0
		.amdhsa_exception_fp_denorm_src 0
		.amdhsa_exception_fp_ieee_div_zero 0
		.amdhsa_exception_fp_ieee_overflow 0
		.amdhsa_exception_fp_ieee_underflow 0
		.amdhsa_exception_fp_ieee_inexact 0
		.amdhsa_exception_int_div_zero 0
	.end_amdhsa_kernel
	.section	.text._Z11rank_kernelIhLj4ELb0EL18RadixRankAlgorithm2ELj256ELj4ELj10EEvPKT_Pi,"axG",@progbits,_Z11rank_kernelIhLj4ELb0EL18RadixRankAlgorithm2ELj256ELj4ELj10EEvPKT_Pi,comdat
.Lfunc_end65:
	.size	_Z11rank_kernelIhLj4ELb0EL18RadixRankAlgorithm2ELj256ELj4ELj10EEvPKT_Pi, .Lfunc_end65-_Z11rank_kernelIhLj4ELb0EL18RadixRankAlgorithm2ELj256ELj4ELj10EEvPKT_Pi
                                        ; -- End function
	.set _Z11rank_kernelIhLj4ELb0EL18RadixRankAlgorithm2ELj256ELj4ELj10EEvPKT_Pi.num_vgpr, 88
	.set _Z11rank_kernelIhLj4ELb0EL18RadixRankAlgorithm2ELj256ELj4ELj10EEvPKT_Pi.num_agpr, 0
	.set _Z11rank_kernelIhLj4ELb0EL18RadixRankAlgorithm2ELj256ELj4ELj10EEvPKT_Pi.numbered_sgpr, 96
	.set _Z11rank_kernelIhLj4ELb0EL18RadixRankAlgorithm2ELj256ELj4ELj10EEvPKT_Pi.num_named_barrier, 0
	.set _Z11rank_kernelIhLj4ELb0EL18RadixRankAlgorithm2ELj256ELj4ELj10EEvPKT_Pi.private_seg_size, 0
	.set _Z11rank_kernelIhLj4ELb0EL18RadixRankAlgorithm2ELj256ELj4ELj10EEvPKT_Pi.uses_vcc, 1
	.set _Z11rank_kernelIhLj4ELb0EL18RadixRankAlgorithm2ELj256ELj4ELj10EEvPKT_Pi.uses_flat_scratch, 0
	.set _Z11rank_kernelIhLj4ELb0EL18RadixRankAlgorithm2ELj256ELj4ELj10EEvPKT_Pi.has_dyn_sized_stack, 0
	.set _Z11rank_kernelIhLj4ELb0EL18RadixRankAlgorithm2ELj256ELj4ELj10EEvPKT_Pi.has_recursion, 0
	.set _Z11rank_kernelIhLj4ELb0EL18RadixRankAlgorithm2ELj256ELj4ELj10EEvPKT_Pi.has_indirect_call, 0
	.section	.AMDGPU.csdata,"",@progbits
; Kernel info:
; codeLenInByte = 3832
; TotalNumSgprs: 100
; NumVgprs: 88
; ScratchSize: 0
; MemoryBound: 0
; FloatMode: 240
; IeeeMode: 1
; LDSByteSize: 1040 bytes/workgroup (compile time only)
; SGPRBlocks: 12
; VGPRBlocks: 21
; NumSGPRsForWavesPerEU: 100
; NumVGPRsForWavesPerEU: 88
; Occupancy: 2
; WaveLimiterHint : 0
; COMPUTE_PGM_RSRC2:SCRATCH_EN: 0
; COMPUTE_PGM_RSRC2:USER_SGPR: 6
; COMPUTE_PGM_RSRC2:TRAP_HANDLER: 0
; COMPUTE_PGM_RSRC2:TGID_X_EN: 1
; COMPUTE_PGM_RSRC2:TGID_Y_EN: 0
; COMPUTE_PGM_RSRC2:TGID_Z_EN: 0
; COMPUTE_PGM_RSRC2:TIDIG_COMP_CNT: 2
	.section	.text._Z11rank_kernelIhLj4ELb0EL18RadixRankAlgorithm0ELj256ELj8ELj10EEvPKT_Pi,"axG",@progbits,_Z11rank_kernelIhLj4ELb0EL18RadixRankAlgorithm0ELj256ELj8ELj10EEvPKT_Pi,comdat
	.protected	_Z11rank_kernelIhLj4ELb0EL18RadixRankAlgorithm0ELj256ELj8ELj10EEvPKT_Pi ; -- Begin function _Z11rank_kernelIhLj4ELb0EL18RadixRankAlgorithm0ELj256ELj8ELj10EEvPKT_Pi
	.globl	_Z11rank_kernelIhLj4ELb0EL18RadixRankAlgorithm0ELj256ELj8ELj10EEvPKT_Pi
	.p2align	8
	.type	_Z11rank_kernelIhLj4ELb0EL18RadixRankAlgorithm0ELj256ELj8ELj10EEvPKT_Pi,@function
_Z11rank_kernelIhLj4ELb0EL18RadixRankAlgorithm0ELj256ELj8ELj10EEvPKT_Pi: ; @_Z11rank_kernelIhLj4ELb0EL18RadixRankAlgorithm0ELj256ELj8ELj10EEvPKT_Pi
; %bb.0:
	s_load_dwordx4 s[28:31], s[4:5], 0x0
	s_lshl_b32 s34, s6, 11
	v_lshlrev_b32_e32 v1, 3, v0
	v_mbcnt_lo_u32_b32 v4, -1, 0
	v_mbcnt_hi_u32_b32 v5, -1, v4
	s_waitcnt lgkmcnt(0)
	s_add_u32 s0, s28, s34
	s_addc_u32 s1, s29, 0
	global_load_dwordx2 v[20:21], v1, s[0:1]
	v_or_b32_e32 v4, 63, v0
	v_lshrrev_b32_e32 v6, 4, v0
	v_subrev_co_u32_e64 v9, s[6:7], 1, v5
	v_and_b32_e32 v10, 64, v5
	v_cmp_eq_u32_e64 s[4:5], v0, v4
	v_and_b32_e32 v4, 12, v6
	v_and_b32_e32 v6, 3, v5
	v_cmp_lt_i32_e64 s[18:19], v9, v10
	s_movk_i32 s22, 0x700
	v_and_b32_e32 v7, 15, v5
	v_and_b32_e32 v8, 16, v5
	v_cmp_lt_u32_e64 s[2:3], 31, v5
	v_cndmask_b32_e64 v5, v9, v5, s[18:19]
	v_cmp_eq_u32_e64 s[18:19], 0, v6
	v_cmp_lt_u32_e64 s[20:21], 1, v6
	v_cmp_eq_u32_e64 s[8:9], 0, v7
	v_cmp_lt_u32_e64 s[10:11], 1, v7
	v_cmp_lt_u32_e64 s[12:13], 3, v7
	;; [unrolled: 1-line block ×3, first 2 shown]
	v_cmp_eq_u32_e64 s[16:17], 0, v8
	v_lshlrev_b32_e32 v3, 5, v0
	v_mul_i32_i24_e32 v23, 0xffffffe4, v0
	s_movk_i32 s24, 0x200
	s_movk_i32 s26, 0x100
	s_mov_b32 s35, 0
	v_mov_b32_e32 v2, 0
	s_mov_b32 s33, 10
	v_cmp_gt_u32_e32 vcc, 4, v0
	v_cmp_lt_u32_e64 s[0:1], 63, v0
	v_lshlrev_b32_e32 v5, 2, v5
	v_cmp_gt_u32_e64 s[24:25], s24, v0
	v_cmp_gt_u32_e64 s[26:27], s26, v0
	s_waitcnt vmcnt(0)
	v_lshrrev_b32_e32 v6, 8, v20
	v_lshlrev_b32_e32 v10, 4, v20
	v_lshrrev_b32_e32 v11, 6, v20
	v_lshrrev_b32_e32 v16, 18, v20
	v_and_or_b32 v10, v10, s22, v0
	v_and_b32_e32 v11, 2, v11
	v_and_or_b32 v31, v6, s22, v0
	v_and_b32_e32 v16, 2, v16
	v_lshl_or_b32 v6, v10, 2, v11
	v_lshl_or_b32 v10, v31, 2, v16
	v_lshrrev_b32_e32 v16, 20, v20
	v_lshlrev_b32_e32 v12, 8, v20
	v_lshrrev_b32_e32 v13, 2, v20
	v_lshlrev_b32_e32 v18, 8, v21
	v_lshrrev_b32_e32 v19, 2, v21
	v_and_or_b32 v16, v16, s22, v0
	v_lshrrev_b32_e32 v7, 16, v20
	v_and_or_b32 v12, v12, s22, v0
	v_and_b32_e32 v13, 2, v13
	v_and_or_b32 v18, v18, s22, v0
	v_and_b32_e32 v19, 2, v19
	v_alignbit_b32 v16, v16, v20, 30
	v_and_or_b32 v32, v7, s22, v0
	v_lshl_or_b32 v7, v12, 2, v13
	v_lshl_or_b32 v13, v18, 2, v19
	v_and_b32_e32 v18, 0x1ffe, v16
	v_lshlrev_b32_e32 v16, 4, v21
	v_lshrrev_b32_e32 v19, 6, v21
	v_and_or_b32 v16, v16, s22, v0
	v_and_b32_e32 v19, 2, v19
	v_and_or_b32 v14, v20, s22, v0
	v_lshrrev_b32_e32 v15, 10, v20
	v_lshrrev_b32_e32 v17, 26, v20
	;; [unrolled: 1-line block ×7, first 2 shown]
	v_lshl_or_b32 v16, v16, 2, v19
	v_lshrrev_b32_e32 v19, 4, v21
	v_lshrrev_b32_e32 v20, 14, v21
	;; [unrolled: 1-line block ×3, first 2 shown]
	v_and_or_b32 v22, v21, s22, v0
	v_and_b32_e32 v15, 2, v15
	v_and_b32_e32 v24, 2, v24
	v_and_or_b32 v19, v19, s22, v0
	v_and_b32_e32 v20, 2, v20
	v_and_or_b32 v33, v9, s22, v0
	v_lshl_or_b32 v9, v14, 2, v15
	v_lshl_or_b32 v14, v22, 2, v24
	;; [unrolled: 1-line block ×3, first 2 shown]
	v_lshrrev_b32_e32 v20, 12, v21
	v_lshrrev_b32_e32 v22, 22, v21
	v_and_or_b32 v20, v20, s22, v0
	v_and_b32_e32 v22, 2, v22
	v_lshl_or_b32 v20, v20, 2, v22
	v_lshrrev_b32_e32 v22, 20, v21
	v_lshrrev_b32_e32 v8, 8, v21
	;; [unrolled: 1-line block ×4, first 2 shown]
	v_and_or_b32 v22, v22, s22, v0
	v_and_b32_e32 v17, 2, v17
	v_and_or_b32 v8, v8, s22, v0
	v_and_b32_e32 v25, 2, v25
	v_and_b32_e32 v26, 2, v26
	v_and_or_b32 v27, v27, s22, v0
	v_and_b32_e32 v28, 2, v28
	v_and_or_b32 v29, v29, s22, v0
	v_and_b32_e32 v12, 2, v30
	v_alignbit_b32 v21, v22, v21, 30
	v_or_b32_e32 v24, 0x400, v0
	v_lshl_or_b32 v11, v32, 2, v17
	v_lshl_or_b32 v15, v8, 2, v25
	;; [unrolled: 1-line block ×5, first 2 shown]
	v_and_b32_e32 v21, 0x1ffe, v21
	v_lshlrev_b32_e32 v22, 2, v0
	v_cmp_gt_u32_e64 s[22:23], s22, v24
	v_add_u32_e32 v0, v3, v23
	s_branch .LBB66_2
.LBB66_1:                               ;   in Loop: Header=BB66_2 Depth=1
	s_or_b64 exec, exec, s[28:29]
	s_waitcnt lgkmcnt(0)
	v_add_u32_e32 v31, v32, v31
	ds_bpermute_b32 v31, v5, v31
	s_add_i32 s33, s33, -1
	s_cmp_eq_u32 s33, 0
	s_waitcnt lgkmcnt(0)
	v_cndmask_b32_e64 v31, v31, v32, s[6:7]
	ds_read_b32 v32, v2 offset:8204
	s_waitcnt lgkmcnt(0)
	v_lshl_add_u32 v35, v32, 16, v31
	ds_read2_b64 v[31:34], v3 offset1:1
	s_waitcnt lgkmcnt(0)
	v_add_u32_e32 v36, v35, v31
	v_add_u32_e32 v31, v32, v36
	;; [unrolled: 1-line block ×3, first 2 shown]
	ds_write2_b64 v3, v[35:36], v[31:32] offset1:1
	v_add_u32_e32 v31, v34, v32
	ds_read_b64 v[32:33], v3 offset:16
	ds_read_b32 v34, v3 offset:24
	s_waitcnt lgkmcnt(1)
	v_add_u32_e32 v32, v32, v31
	v_add_u32_e32 v33, v33, v32
	s_waitcnt lgkmcnt(0)
	v_add_u32_e32 v34, v34, v33
	ds_write2_b64 v3, v[31:32], v[33:34] offset0:2 offset1:3
	s_waitcnt lgkmcnt(0)
	s_barrier
	s_cbranch_scc1 .LBB66_22
.LBB66_2:                               ; =>This Inner Loop Header: Depth=1
	ds_write2st64_b32 v22, v2, v2 offset1:4
	ds_write2st64_b32 v22, v2, v2 offset0:8 offset1:12
	ds_write_b32 v22, v2 offset:4096
	s_and_saveexec_b64 s[28:29], s[22:23]
	s_cbranch_execz .LBB66_6
; %bb.3:                                ;   in Loop: Header=BB66_2 Depth=1
	ds_write_b32 v22, v2 offset:5120
	s_and_b64 exec, exec, s[24:25]
	s_cbranch_execz .LBB66_6
; %bb.4:                                ;   in Loop: Header=BB66_2 Depth=1
	ds_write_b32 v22, v2 offset:6144
	s_and_b64 exec, exec, s[26:27]
; %bb.5:                                ;   in Loop: Header=BB66_2 Depth=1
	ds_write_b32 v22, v2 offset:7168
.LBB66_6:                               ;   in Loop: Header=BB66_2 Depth=1
	s_or_b64 exec, exec, s[28:29]
	ds_read_u16 v23, v7
	s_waitcnt lgkmcnt(0)
	v_add_u16_e32 v23, 1, v23
	ds_write_b16 v7, v23
	ds_read_u16 v23, v9
	s_waitcnt lgkmcnt(0)
	v_add_u16_e32 v23, 1, v23
	ds_write_b16 v9, v23
	;; [unrolled: 4-line block ×8, first 2 shown]
	s_waitcnt lgkmcnt(0)
	s_barrier
	ds_read2_b64 v[23:26], v3 offset1:1
	ds_read2_b64 v[27:30], v3 offset0:2 offset1:3
	s_waitcnt lgkmcnt(1)
	v_add_u32_e32 v23, v24, v23
	v_add3_u32 v23, v23, v25, v26
	s_waitcnt lgkmcnt(0)
	v_add3_u32 v23, v23, v27, v28
	v_add3_u32 v23, v23, v29, v30
	s_nop 1
	v_mov_b32_dpp v24, v23 row_shr:1 row_mask:0xf bank_mask:0xf
	v_cndmask_b32_e64 v24, v24, 0, s[8:9]
	v_add_u32_e32 v23, v24, v23
	s_nop 1
	v_mov_b32_dpp v24, v23 row_shr:2 row_mask:0xf bank_mask:0xf
	v_cndmask_b32_e64 v24, 0, v24, s[10:11]
	v_add_u32_e32 v23, v23, v24
	;; [unrolled: 4-line block ×4, first 2 shown]
	s_nop 1
	v_mov_b32_dpp v24, v23 row_bcast:15 row_mask:0xf bank_mask:0xf
	v_cndmask_b32_e64 v24, v24, 0, s[16:17]
	v_add_u32_e32 v23, v23, v24
	s_nop 1
	v_mov_b32_dpp v24, v23 row_bcast:31 row_mask:0xf bank_mask:0xf
	v_cndmask_b32_e64 v24, 0, v24, s[2:3]
	v_add_u32_e32 v23, v23, v24
	s_and_saveexec_b64 s[28:29], s[4:5]
; %bb.7:                                ;   in Loop: Header=BB66_2 Depth=1
	ds_write_b32 v4, v23 offset:8192
; %bb.8:                                ;   in Loop: Header=BB66_2 Depth=1
	s_or_b64 exec, exec, s[28:29]
	s_waitcnt lgkmcnt(0)
	s_barrier
	s_and_saveexec_b64 s[28:29], vcc
	s_cbranch_execz .LBB66_10
; %bb.9:                                ;   in Loop: Header=BB66_2 Depth=1
	ds_read_b32 v24, v0 offset:8192
	s_waitcnt lgkmcnt(0)
	s_nop 0
	v_mov_b32_dpp v25, v24 row_shr:1 row_mask:0xf bank_mask:0xf
	v_cndmask_b32_e64 v25, v25, 0, s[18:19]
	v_add_u32_e32 v24, v25, v24
	s_nop 1
	v_mov_b32_dpp v25, v24 row_shr:2 row_mask:0xf bank_mask:0xf
	v_cndmask_b32_e64 v25, 0, v25, s[20:21]
	v_add_u32_e32 v24, v24, v25
	ds_write_b32 v0, v24 offset:8192
.LBB66_10:                              ;   in Loop: Header=BB66_2 Depth=1
	s_or_b64 exec, exec, s[28:29]
	v_mov_b32_e32 v24, 0
	s_waitcnt lgkmcnt(0)
	s_barrier
	s_and_saveexec_b64 s[28:29], s[0:1]
; %bb.11:                               ;   in Loop: Header=BB66_2 Depth=1
	ds_read_b32 v24, v4 offset:8188
; %bb.12:                               ;   in Loop: Header=BB66_2 Depth=1
	s_or_b64 exec, exec, s[28:29]
	s_waitcnt lgkmcnt(0)
	v_add_u32_e32 v23, v24, v23
	ds_bpermute_b32 v23, v5, v23
	ds_read_b32 v31, v2 offset:8204
	ds_read2_b64 v[25:28], v3 offset1:1
	ds_read_b64 v[29:30], v3 offset:16
	ds_read_b32 v32, v3 offset:24
	s_waitcnt lgkmcnt(4)
	v_cndmask_b32_e64 v23, v23, v24, s[6:7]
	s_waitcnt lgkmcnt(3)
	v_lshl_add_u32 v23, v31, 16, v23
	s_waitcnt lgkmcnt(2)
	v_add_u32_e32 v24, v23, v25
	v_add_u32_e32 v25, v26, v24
	;; [unrolled: 1-line block ×3, first 2 shown]
	ds_write2_b64 v3, v[23:24], v[25:26] offset1:1
	v_add_u32_e32 v23, v28, v26
	s_waitcnt lgkmcnt(2)
	v_add_u32_e32 v24, v29, v23
	v_add_u32_e32 v25, v30, v24
	s_waitcnt lgkmcnt(1)
	v_add_u32_e32 v26, v32, v25
	ds_write2_b64 v3, v[23:24], v[25:26] offset0:2 offset1:3
	s_waitcnt lgkmcnt(0)
	s_barrier
	ds_write2st64_b32 v22, v2, v2 offset1:4
	ds_write2st64_b32 v22, v2, v2 offset0:8 offset1:12
	ds_write_b32 v22, v2 offset:4096
	s_and_saveexec_b64 s[28:29], s[22:23]
	s_cbranch_execz .LBB66_16
; %bb.13:                               ;   in Loop: Header=BB66_2 Depth=1
	ds_write_b32 v22, v2 offset:5120
	s_and_b64 exec, exec, s[24:25]
	s_cbranch_execz .LBB66_16
; %bb.14:                               ;   in Loop: Header=BB66_2 Depth=1
	ds_write_b32 v22, v2 offset:6144
	s_and_b64 exec, exec, s[26:27]
; %bb.15:                               ;   in Loop: Header=BB66_2 Depth=1
	ds_write_b32 v22, v2 offset:7168
.LBB66_16:                              ;   in Loop: Header=BB66_2 Depth=1
	s_or_b64 exec, exec, s[28:29]
	ds_read_u16 v23, v6
	s_waitcnt lgkmcnt(0)
	v_add_u16_e32 v24, 1, v23
	ds_write_b16 v6, v24
	ds_read_u16 v24, v8
	s_waitcnt lgkmcnt(0)
	v_add_u16_e32 v25, 1, v24
	ds_write_b16 v8, v25
	;; [unrolled: 4-line block ×8, first 2 shown]
	s_waitcnt lgkmcnt(0)
	s_barrier
	ds_read2_b64 v[31:34], v3 offset1:1
	ds_read2_b64 v[35:38], v3 offset0:2 offset1:3
	s_waitcnt lgkmcnt(1)
	v_add_u32_e32 v31, v32, v31
	v_add3_u32 v31, v31, v33, v34
	s_waitcnt lgkmcnt(0)
	v_add3_u32 v31, v31, v35, v36
	v_add3_u32 v31, v31, v37, v38
	s_nop 1
	v_mov_b32_dpp v32, v31 row_shr:1 row_mask:0xf bank_mask:0xf
	v_cndmask_b32_e64 v32, v32, 0, s[8:9]
	v_add_u32_e32 v31, v32, v31
	s_nop 1
	v_mov_b32_dpp v32, v31 row_shr:2 row_mask:0xf bank_mask:0xf
	v_cndmask_b32_e64 v32, 0, v32, s[10:11]
	v_add_u32_e32 v31, v31, v32
	;; [unrolled: 4-line block ×4, first 2 shown]
	s_nop 1
	v_mov_b32_dpp v32, v31 row_bcast:15 row_mask:0xf bank_mask:0xf
	v_cndmask_b32_e64 v32, v32, 0, s[16:17]
	v_add_u32_e32 v31, v31, v32
	s_nop 1
	v_mov_b32_dpp v32, v31 row_bcast:31 row_mask:0xf bank_mask:0xf
	v_cndmask_b32_e64 v32, 0, v32, s[2:3]
	v_add_u32_e32 v31, v31, v32
	s_and_saveexec_b64 s[28:29], s[4:5]
; %bb.17:                               ;   in Loop: Header=BB66_2 Depth=1
	ds_write_b32 v4, v31 offset:8192
; %bb.18:                               ;   in Loop: Header=BB66_2 Depth=1
	s_or_b64 exec, exec, s[28:29]
	s_waitcnt lgkmcnt(0)
	s_barrier
	s_and_saveexec_b64 s[28:29], vcc
	s_cbranch_execz .LBB66_20
; %bb.19:                               ;   in Loop: Header=BB66_2 Depth=1
	ds_read_b32 v32, v0 offset:8192
	s_waitcnt lgkmcnt(0)
	s_nop 0
	v_mov_b32_dpp v33, v32 row_shr:1 row_mask:0xf bank_mask:0xf
	v_cndmask_b32_e64 v33, v33, 0, s[18:19]
	v_add_u32_e32 v32, v33, v32
	s_nop 1
	v_mov_b32_dpp v33, v32 row_shr:2 row_mask:0xf bank_mask:0xf
	v_cndmask_b32_e64 v33, 0, v33, s[20:21]
	v_add_u32_e32 v32, v32, v33
	ds_write_b32 v0, v32 offset:8192
.LBB66_20:                              ;   in Loop: Header=BB66_2 Depth=1
	s_or_b64 exec, exec, s[28:29]
	v_mov_b32_e32 v32, 0
	s_waitcnt lgkmcnt(0)
	s_barrier
	s_and_saveexec_b64 s[28:29], s[0:1]
	s_cbranch_execz .LBB66_1
; %bb.21:                               ;   in Loop: Header=BB66_2 Depth=1
	ds_read_b32 v32, v4 offset:8188
	s_branch .LBB66_1
.LBB66_22:
	ds_read_u16 v0, v18
	ds_read_u16 v4, v12
	;; [unrolled: 1-line block ×8, first 2 shown]
	s_lshl_b64 s[0:1], s[34:35], 2
	s_add_u32 s0, s30, s0
	s_waitcnt lgkmcnt(4)
	v_add_u32_sdwa v2, v2, v23 dst_sel:DWORD dst_unused:UNUSED_PAD src0_sel:DWORD src1_sel:WORD_0
	v_add_u32_sdwa v3, v3, v24 dst_sel:DWORD dst_unused:UNUSED_PAD src0_sel:DWORD src1_sel:WORD_0
	;; [unrolled: 1-line block ×4, first 2 shown]
	s_addc_u32 s1, s31, s1
	v_lshlrev_b32_e32 v0, 2, v1
	s_waitcnt lgkmcnt(0)
	v_add_u32_sdwa v6, v6, v27 dst_sel:DWORD dst_unused:UNUSED_PAD src0_sel:DWORD src1_sel:WORD_0
	v_add_u32_sdwa v7, v7, v28 dst_sel:DWORD dst_unused:UNUSED_PAD src0_sel:DWORD src1_sel:WORD_0
	;; [unrolled: 1-line block ×4, first 2 shown]
	global_store_dwordx4 v0, v[2:5], s[0:1]
	global_store_dwordx4 v0, v[6:9], s[0:1] offset:16
	s_endpgm
	.section	.rodata,"a",@progbits
	.p2align	6, 0x0
	.amdhsa_kernel _Z11rank_kernelIhLj4ELb0EL18RadixRankAlgorithm0ELj256ELj8ELj10EEvPKT_Pi
		.amdhsa_group_segment_fixed_size 8208
		.amdhsa_private_segment_fixed_size 0
		.amdhsa_kernarg_size 16
		.amdhsa_user_sgpr_count 6
		.amdhsa_user_sgpr_private_segment_buffer 1
		.amdhsa_user_sgpr_dispatch_ptr 0
		.amdhsa_user_sgpr_queue_ptr 0
		.amdhsa_user_sgpr_kernarg_segment_ptr 1
		.amdhsa_user_sgpr_dispatch_id 0
		.amdhsa_user_sgpr_flat_scratch_init 0
		.amdhsa_user_sgpr_private_segment_size 0
		.amdhsa_uses_dynamic_stack 0
		.amdhsa_system_sgpr_private_segment_wavefront_offset 0
		.amdhsa_system_sgpr_workgroup_id_x 1
		.amdhsa_system_sgpr_workgroup_id_y 0
		.amdhsa_system_sgpr_workgroup_id_z 0
		.amdhsa_system_sgpr_workgroup_info 0
		.amdhsa_system_vgpr_workitem_id 0
		.amdhsa_next_free_vgpr 39
		.amdhsa_next_free_sgpr 77
		.amdhsa_reserve_vcc 1
		.amdhsa_reserve_flat_scratch 0
		.amdhsa_float_round_mode_32 0
		.amdhsa_float_round_mode_16_64 0
		.amdhsa_float_denorm_mode_32 3
		.amdhsa_float_denorm_mode_16_64 3
		.amdhsa_dx10_clamp 1
		.amdhsa_ieee_mode 1
		.amdhsa_fp16_overflow 0
		.amdhsa_exception_fp_ieee_invalid_op 0
		.amdhsa_exception_fp_denorm_src 0
		.amdhsa_exception_fp_ieee_div_zero 0
		.amdhsa_exception_fp_ieee_overflow 0
		.amdhsa_exception_fp_ieee_underflow 0
		.amdhsa_exception_fp_ieee_inexact 0
		.amdhsa_exception_int_div_zero 0
	.end_amdhsa_kernel
	.section	.text._Z11rank_kernelIhLj4ELb0EL18RadixRankAlgorithm0ELj256ELj8ELj10EEvPKT_Pi,"axG",@progbits,_Z11rank_kernelIhLj4ELb0EL18RadixRankAlgorithm0ELj256ELj8ELj10EEvPKT_Pi,comdat
.Lfunc_end66:
	.size	_Z11rank_kernelIhLj4ELb0EL18RadixRankAlgorithm0ELj256ELj8ELj10EEvPKT_Pi, .Lfunc_end66-_Z11rank_kernelIhLj4ELb0EL18RadixRankAlgorithm0ELj256ELj8ELj10EEvPKT_Pi
                                        ; -- End function
	.set _Z11rank_kernelIhLj4ELb0EL18RadixRankAlgorithm0ELj256ELj8ELj10EEvPKT_Pi.num_vgpr, 39
	.set _Z11rank_kernelIhLj4ELb0EL18RadixRankAlgorithm0ELj256ELj8ELj10EEvPKT_Pi.num_agpr, 0
	.set _Z11rank_kernelIhLj4ELb0EL18RadixRankAlgorithm0ELj256ELj8ELj10EEvPKT_Pi.numbered_sgpr, 36
	.set _Z11rank_kernelIhLj4ELb0EL18RadixRankAlgorithm0ELj256ELj8ELj10EEvPKT_Pi.num_named_barrier, 0
	.set _Z11rank_kernelIhLj4ELb0EL18RadixRankAlgorithm0ELj256ELj8ELj10EEvPKT_Pi.private_seg_size, 0
	.set _Z11rank_kernelIhLj4ELb0EL18RadixRankAlgorithm0ELj256ELj8ELj10EEvPKT_Pi.uses_vcc, 1
	.set _Z11rank_kernelIhLj4ELb0EL18RadixRankAlgorithm0ELj256ELj8ELj10EEvPKT_Pi.uses_flat_scratch, 0
	.set _Z11rank_kernelIhLj4ELb0EL18RadixRankAlgorithm0ELj256ELj8ELj10EEvPKT_Pi.has_dyn_sized_stack, 0
	.set _Z11rank_kernelIhLj4ELb0EL18RadixRankAlgorithm0ELj256ELj8ELj10EEvPKT_Pi.has_recursion, 0
	.set _Z11rank_kernelIhLj4ELb0EL18RadixRankAlgorithm0ELj256ELj8ELj10EEvPKT_Pi.has_indirect_call, 0
	.section	.AMDGPU.csdata,"",@progbits
; Kernel info:
; codeLenInByte = 2380
; TotalNumSgprs: 40
; NumVgprs: 39
; ScratchSize: 0
; MemoryBound: 0
; FloatMode: 240
; IeeeMode: 1
; LDSByteSize: 8208 bytes/workgroup (compile time only)
; SGPRBlocks: 10
; VGPRBlocks: 9
; NumSGPRsForWavesPerEU: 81
; NumVGPRsForWavesPerEU: 39
; Occupancy: 6
; WaveLimiterHint : 0
; COMPUTE_PGM_RSRC2:SCRATCH_EN: 0
; COMPUTE_PGM_RSRC2:USER_SGPR: 6
; COMPUTE_PGM_RSRC2:TRAP_HANDLER: 0
; COMPUTE_PGM_RSRC2:TGID_X_EN: 1
; COMPUTE_PGM_RSRC2:TGID_Y_EN: 0
; COMPUTE_PGM_RSRC2:TGID_Z_EN: 0
; COMPUTE_PGM_RSRC2:TIDIG_COMP_CNT: 0
	.section	.text._Z11rank_kernelIhLj4ELb0EL18RadixRankAlgorithm1ELj256ELj8ELj10EEvPKT_Pi,"axG",@progbits,_Z11rank_kernelIhLj4ELb0EL18RadixRankAlgorithm1ELj256ELj8ELj10EEvPKT_Pi,comdat
	.protected	_Z11rank_kernelIhLj4ELb0EL18RadixRankAlgorithm1ELj256ELj8ELj10EEvPKT_Pi ; -- Begin function _Z11rank_kernelIhLj4ELb0EL18RadixRankAlgorithm1ELj256ELj8ELj10EEvPKT_Pi
	.globl	_Z11rank_kernelIhLj4ELb0EL18RadixRankAlgorithm1ELj256ELj8ELj10EEvPKT_Pi
	.p2align	8
	.type	_Z11rank_kernelIhLj4ELb0EL18RadixRankAlgorithm1ELj256ELj8ELj10EEvPKT_Pi,@function
_Z11rank_kernelIhLj4ELb0EL18RadixRankAlgorithm1ELj256ELj8ELj10EEvPKT_Pi: ; @_Z11rank_kernelIhLj4ELb0EL18RadixRankAlgorithm1ELj256ELj8ELj10EEvPKT_Pi
; %bb.0:
	s_load_dwordx4 s[28:31], s[4:5], 0x0
	s_lshl_b32 s34, s6, 11
	v_lshlrev_b32_e32 v8, 3, v0
	v_mbcnt_lo_u32_b32 v3, -1, 0
	v_mbcnt_hi_u32_b32 v3, -1, v3
	s_waitcnt lgkmcnt(0)
	s_add_u32 s0, s28, s34
	s_addc_u32 s1, s29, 0
	global_load_dwordx2 v[1:2], v8, s[0:1]
	v_or_b32_e32 v4, 63, v0
	v_cmp_eq_u32_e64 s[4:5], v0, v4
	v_subrev_co_u32_e64 v4, s[6:7], 1, v3
	v_and_b32_e32 v13, 64, v3
	v_lshrrev_b32_e32 v5, 4, v0
	v_cmp_lt_i32_e64 s[18:19], v4, v13
	v_and_b32_e32 v7, 15, v3
	v_and_b32_e32 v12, 16, v3
	v_cmp_lt_u32_e64 s[2:3], 31, v3
	v_and_b32_e32 v11, 12, v5
	v_and_b32_e32 v5, 3, v3
	v_cndmask_b32_e64 v3, v4, v3, s[18:19]
	s_movk_i32 s22, 0x700
	v_cmp_eq_u32_e64 s[16:17], 0, v12
	v_lshlrev_b32_e32 v12, 2, v3
	v_cmp_eq_u32_e64 s[18:19], 0, v5
	v_cmp_lt_u32_e64 s[20:21], 1, v5
	v_cmp_eq_u32_e64 s[8:9], 0, v7
	v_cmp_lt_u32_e64 s[10:11], 1, v7
	v_cmp_lt_u32_e64 s[12:13], 3, v7
	;; [unrolled: 1-line block ×3, first 2 shown]
	v_lshlrev_b32_e32 v10, 5, v0
	v_mul_i32_i24_e32 v6, 0xffffffe4, v0
	s_movk_i32 s24, 0x200
	s_movk_i32 s26, 0x100
	s_mov_b32 s35, 0
	v_mov_b32_e32 v9, 0
	s_mov_b32 s33, 10
	v_cmp_gt_u32_e32 vcc, 4, v0
	v_cmp_lt_u32_e64 s[0:1], 63, v0
	v_cmp_gt_u32_e64 s[24:25], s24, v0
	v_cmp_gt_u32_e64 s[26:27], s26, v0
	s_waitcnt vmcnt(0)
	v_lshrrev_b32_e32 v3, 8, v1
	v_lshlrev_b32_e32 v13, 4, v1
	v_lshrrev_b32_e32 v14, 6, v1
	v_lshlrev_b32_e32 v15, 8, v1
	v_lshrrev_b32_e32 v16, 2, v1
	v_lshrrev_b32_e32 v18, 10, v1
	;; [unrolled: 1-line block ×3, first 2 shown]
	v_and_or_b32 v17, v1, s22, v0
	v_lshrrev_b32_e32 v29, 12, v1
	v_lshrrev_b32_e32 v30, 22, v1
	v_and_or_b32 v13, v13, s22, v0
	v_and_b32_e32 v14, 2, v14
	v_and_or_b32 v15, v15, s22, v0
	v_and_b32_e32 v16, 2, v16
	v_and_b32_e32 v18, 2, v18
	v_and_or_b32 v3, v3, s22, v0
	v_and_b32_e32 v19, 2, v19
	v_and_or_b32 v29, v29, s22, v0
	v_lshl_or_b32 v13, v13, 2, v14
	v_lshl_or_b32 v14, v15, 2, v16
	;; [unrolled: 1-line block ×4, first 2 shown]
	v_and_b32_e32 v3, 2, v30
	v_lshl_or_b32 v19, v29, 2, v3
	v_lshrrev_b32_e32 v3, 20, v1
	v_lshrrev_b32_e32 v4, 16, v1
	;; [unrolled: 1-line block ×4, first 2 shown]
	v_lshlrev_b32_e32 v21, 8, v2
	v_lshrrev_b32_e32 v22, 2, v2
	v_lshrrev_b32_e32 v25, 18, v2
	v_and_or_b32 v3, v3, s22, v0
	v_lshrrev_b32_e32 v27, 4, v1
	v_lshrrev_b32_e32 v28, 14, v1
	v_and_or_b32 v4, v4, s22, v0
	v_and_b32_e32 v20, 2, v20
	v_and_or_b32 v21, v21, s22, v0
	v_and_b32_e32 v22, 2, v22
	;; [unrolled: 2-line block ×3, first 2 shown]
	v_alignbit_b32 v1, v3, v1, 30
	v_lshrrev_b32_e32 v24, 10, v2
	v_lshl_or_b32 v18, v4, 2, v20
	v_lshl_or_b32 v20, v21, 2, v22
	;; [unrolled: 1-line block ×3, first 2 shown]
	v_and_b32_e32 v25, 0x1ffe, v1
	v_lshlrev_b32_e32 v1, 4, v2
	v_lshrrev_b32_e32 v3, 6, v2
	v_and_or_b32 v23, v2, s22, v0
	v_and_b32_e32 v24, 2, v24
	v_and_or_b32 v1, v1, s22, v0
	v_and_b32_e32 v3, 2, v3
	v_lshrrev_b32_e32 v7, 16, v2
	v_lshrrev_b32_e32 v26, 26, v2
	v_lshl_or_b32 v21, v23, 2, v24
	v_lshl_or_b32 v23, v1, 2, v3
	v_lshrrev_b32_e32 v1, 4, v2
	v_lshrrev_b32_e32 v3, 14, v2
	v_and_or_b32 v7, v7, s22, v0
	v_and_b32_e32 v26, 2, v26
	v_and_or_b32 v1, v1, s22, v0
	v_and_b32_e32 v3, 2, v3
	v_lshl_or_b32 v24, v7, 2, v26
	v_lshl_or_b32 v26, v1, 2, v3
	v_lshrrev_b32_e32 v1, 12, v2
	v_lshrrev_b32_e32 v3, 22, v2
	v_and_or_b32 v27, v27, s22, v0
	v_and_b32_e32 v28, 2, v28
	v_and_or_b32 v1, v1, s22, v0
	v_and_b32_e32 v3, 2, v3
	v_lshl_or_b32 v15, v27, 2, v28
	v_lshl_or_b32 v27, v1, 2, v3
	v_lshrrev_b32_e32 v1, 20, v2
	v_and_or_b32 v1, v1, s22, v0
	v_alignbit_b32 v1, v1, v2, 30
	v_and_b32_e32 v28, 0x1ffe, v1
	v_or_b32_e32 v1, 0x400, v0
	v_lshlrev_b32_e32 v29, 2, v0
	v_cmp_gt_u32_e64 s[22:23], s22, v1
	v_add_u32_e32 v30, v10, v6
	s_branch .LBB67_2
.LBB67_1:                               ;   in Loop: Header=BB67_2 Depth=1
	s_or_b64 exec, exec, s[28:29]
	s_waitcnt lgkmcnt(0)
	v_add_u32_e32 v3, v39, v3
	ds_bpermute_b32 v3, v12, v3
	ds_read_b32 v40, v9 offset:8204
	s_add_i32 s33, s33, -1
	s_cmp_eq_u32 s33, 0
	s_waitcnt lgkmcnt(1)
	v_cndmask_b32_e64 v3, v3, v39, s[6:7]
	s_waitcnt lgkmcnt(0)
	v_lshl_add_u32 v3, v40, 16, v3
	v_add_u32_e32 v4, v3, v4
	v_add_u32_e32 v5, v4, v5
	;; [unrolled: 1-line block ×7, first 2 shown]
	ds_write2_b64 v10, v[3:4], v[5:6] offset1:1
	ds_write2_b64 v10, v[39:40], v[0:1] offset0:2 offset1:3
	s_waitcnt lgkmcnt(0)
	s_barrier
	s_cbranch_scc1 .LBB67_22
.LBB67_2:                               ; =>This Inner Loop Header: Depth=1
	ds_write2st64_b32 v29, v9, v9 offset1:4
	ds_write2st64_b32 v29, v9, v9 offset0:8 offset1:12
	ds_write_b32 v29, v9 offset:4096
	s_and_saveexec_b64 s[28:29], s[22:23]
	s_cbranch_execz .LBB67_6
; %bb.3:                                ;   in Loop: Header=BB67_2 Depth=1
	ds_write_b32 v29, v9 offset:5120
	s_and_b64 exec, exec, s[24:25]
	s_cbranch_execz .LBB67_6
; %bb.4:                                ;   in Loop: Header=BB67_2 Depth=1
	ds_write_b32 v29, v9 offset:6144
	s_and_b64 exec, exec, s[26:27]
; %bb.5:                                ;   in Loop: Header=BB67_2 Depth=1
	ds_write_b32 v29, v9 offset:7168
.LBB67_6:                               ;   in Loop: Header=BB67_2 Depth=1
	s_or_b64 exec, exec, s[28:29]
	ds_read_u16 v0, v14
	s_waitcnt lgkmcnt(0)
	v_add_u16_e32 v0, 1, v0
	ds_write_b16 v14, v0
	ds_read_u16 v0, v16
	s_waitcnt lgkmcnt(0)
	v_add_u16_e32 v0, 1, v0
	ds_write_b16 v16, v0
	;; [unrolled: 4-line block ×8, first 2 shown]
	s_waitcnt lgkmcnt(0)
	s_barrier
	ds_read2_b64 v[4:7], v10 offset1:1
	ds_read2_b64 v[0:3], v10 offset0:2 offset1:3
	s_waitcnt lgkmcnt(1)
	v_add_u32_e32 v31, v5, v4
	v_add3_u32 v31, v31, v6, v7
	s_waitcnt lgkmcnt(0)
	v_add3_u32 v31, v31, v0, v1
	v_add3_u32 v3, v31, v2, v3
	s_nop 1
	v_mov_b32_dpp v31, v3 row_shr:1 row_mask:0xf bank_mask:0xf
	v_cndmask_b32_e64 v31, v31, 0, s[8:9]
	v_add_u32_e32 v3, v31, v3
	s_nop 1
	v_mov_b32_dpp v31, v3 row_shr:2 row_mask:0xf bank_mask:0xf
	v_cndmask_b32_e64 v31, 0, v31, s[10:11]
	v_add_u32_e32 v3, v3, v31
	;; [unrolled: 4-line block ×4, first 2 shown]
	s_nop 1
	v_mov_b32_dpp v31, v3 row_bcast:15 row_mask:0xf bank_mask:0xf
	v_cndmask_b32_e64 v31, v31, 0, s[16:17]
	v_add_u32_e32 v3, v3, v31
	s_nop 1
	v_mov_b32_dpp v31, v3 row_bcast:31 row_mask:0xf bank_mask:0xf
	v_cndmask_b32_e64 v31, 0, v31, s[2:3]
	v_add_u32_e32 v3, v3, v31
	s_and_saveexec_b64 s[28:29], s[4:5]
; %bb.7:                                ;   in Loop: Header=BB67_2 Depth=1
	ds_write_b32 v11, v3 offset:8192
; %bb.8:                                ;   in Loop: Header=BB67_2 Depth=1
	s_or_b64 exec, exec, s[28:29]
	s_waitcnt lgkmcnt(0)
	s_barrier
	s_and_saveexec_b64 s[28:29], vcc
	s_cbranch_execz .LBB67_10
; %bb.9:                                ;   in Loop: Header=BB67_2 Depth=1
	ds_read_b32 v31, v30 offset:8192
	s_waitcnt lgkmcnt(0)
	s_nop 0
	v_mov_b32_dpp v32, v31 row_shr:1 row_mask:0xf bank_mask:0xf
	v_cndmask_b32_e64 v32, v32, 0, s[18:19]
	v_add_u32_e32 v31, v32, v31
	s_nop 1
	v_mov_b32_dpp v32, v31 row_shr:2 row_mask:0xf bank_mask:0xf
	v_cndmask_b32_e64 v32, 0, v32, s[20:21]
	v_add_u32_e32 v31, v31, v32
	ds_write_b32 v30, v31 offset:8192
.LBB67_10:                              ;   in Loop: Header=BB67_2 Depth=1
	s_or_b64 exec, exec, s[28:29]
	v_mov_b32_e32 v31, 0
	s_waitcnt lgkmcnt(0)
	s_barrier
	s_and_saveexec_b64 s[28:29], s[0:1]
; %bb.11:                               ;   in Loop: Header=BB67_2 Depth=1
	ds_read_b32 v31, v11 offset:8188
; %bb.12:                               ;   in Loop: Header=BB67_2 Depth=1
	s_or_b64 exec, exec, s[28:29]
	s_waitcnt lgkmcnt(0)
	v_add_u32_e32 v3, v31, v3
	ds_bpermute_b32 v3, v12, v3
	ds_read_b32 v32, v9 offset:8204
	s_waitcnt lgkmcnt(1)
	v_cndmask_b32_e64 v3, v3, v31, s[6:7]
	s_waitcnt lgkmcnt(0)
	v_lshl_add_u32 v3, v32, 16, v3
	v_add_u32_e32 v4, v3, v4
	v_add_u32_e32 v5, v4, v5
	;; [unrolled: 1-line block ×7, first 2 shown]
	ds_write2_b64 v10, v[3:4], v[5:6] offset1:1
	ds_write2_b64 v10, v[31:32], v[0:1] offset0:2 offset1:3
	s_waitcnt lgkmcnt(0)
	s_barrier
	ds_write2st64_b32 v29, v9, v9 offset1:4
	ds_write2st64_b32 v29, v9, v9 offset0:8 offset1:12
	ds_write_b32 v29, v9 offset:4096
	s_and_saveexec_b64 s[28:29], s[22:23]
	s_cbranch_execz .LBB67_16
; %bb.13:                               ;   in Loop: Header=BB67_2 Depth=1
	ds_write_b32 v29, v9 offset:5120
	s_and_b64 exec, exec, s[24:25]
	s_cbranch_execz .LBB67_16
; %bb.14:                               ;   in Loop: Header=BB67_2 Depth=1
	ds_write_b32 v29, v9 offset:6144
	s_and_b64 exec, exec, s[26:27]
; %bb.15:                               ;   in Loop: Header=BB67_2 Depth=1
	ds_write_b32 v29, v9 offset:7168
.LBB67_16:                              ;   in Loop: Header=BB67_2 Depth=1
	s_or_b64 exec, exec, s[28:29]
	ds_read_u16 v31, v13
	s_waitcnt lgkmcnt(0)
	v_add_u16_e32 v0, 1, v31
	ds_write_b16 v13, v0
	ds_read_u16 v32, v15
	s_waitcnt lgkmcnt(0)
	v_add_u16_e32 v0, 1, v32
	ds_write_b16 v15, v0
	;; [unrolled: 4-line block ×8, first 2 shown]
	s_waitcnt lgkmcnt(0)
	s_barrier
	ds_read2_b64 v[4:7], v10 offset1:1
	ds_read2_b64 v[0:3], v10 offset0:2 offset1:3
	s_waitcnt lgkmcnt(1)
	v_add_u32_e32 v39, v5, v4
	v_add3_u32 v39, v39, v6, v7
	s_waitcnt lgkmcnt(0)
	v_add3_u32 v39, v39, v0, v1
	v_add3_u32 v3, v39, v2, v3
	s_nop 1
	v_mov_b32_dpp v39, v3 row_shr:1 row_mask:0xf bank_mask:0xf
	v_cndmask_b32_e64 v39, v39, 0, s[8:9]
	v_add_u32_e32 v3, v39, v3
	s_nop 1
	v_mov_b32_dpp v39, v3 row_shr:2 row_mask:0xf bank_mask:0xf
	v_cndmask_b32_e64 v39, 0, v39, s[10:11]
	v_add_u32_e32 v3, v3, v39
	;; [unrolled: 4-line block ×4, first 2 shown]
	s_nop 1
	v_mov_b32_dpp v39, v3 row_bcast:15 row_mask:0xf bank_mask:0xf
	v_cndmask_b32_e64 v39, v39, 0, s[16:17]
	v_add_u32_e32 v3, v3, v39
	s_nop 1
	v_mov_b32_dpp v39, v3 row_bcast:31 row_mask:0xf bank_mask:0xf
	v_cndmask_b32_e64 v39, 0, v39, s[2:3]
	v_add_u32_e32 v3, v3, v39
	s_and_saveexec_b64 s[28:29], s[4:5]
; %bb.17:                               ;   in Loop: Header=BB67_2 Depth=1
	ds_write_b32 v11, v3 offset:8192
; %bb.18:                               ;   in Loop: Header=BB67_2 Depth=1
	s_or_b64 exec, exec, s[28:29]
	s_waitcnt lgkmcnt(0)
	s_barrier
	s_and_saveexec_b64 s[28:29], vcc
	s_cbranch_execz .LBB67_20
; %bb.19:                               ;   in Loop: Header=BB67_2 Depth=1
	ds_read_b32 v39, v30 offset:8192
	s_waitcnt lgkmcnt(0)
	s_nop 0
	v_mov_b32_dpp v40, v39 row_shr:1 row_mask:0xf bank_mask:0xf
	v_cndmask_b32_e64 v40, v40, 0, s[18:19]
	v_add_u32_e32 v39, v40, v39
	s_nop 1
	v_mov_b32_dpp v40, v39 row_shr:2 row_mask:0xf bank_mask:0xf
	v_cndmask_b32_e64 v40, 0, v40, s[20:21]
	v_add_u32_e32 v39, v39, v40
	ds_write_b32 v30, v39 offset:8192
.LBB67_20:                              ;   in Loop: Header=BB67_2 Depth=1
	s_or_b64 exec, exec, s[28:29]
	v_mov_b32_e32 v39, 0
	s_waitcnt lgkmcnt(0)
	s_barrier
	s_and_saveexec_b64 s[28:29], s[0:1]
	s_cbranch_execz .LBB67_1
; %bb.21:                               ;   in Loop: Header=BB67_2 Depth=1
	ds_read_b32 v39, v11 offset:8188
	s_branch .LBB67_1
.LBB67_22:
	ds_read_u16 v3, v25
	ds_read_u16 v2, v19
	;; [unrolled: 1-line block ×8, first 2 shown]
	s_lshl_b64 s[0:1], s[34:35], 2
	s_add_u32 s0, s30, s0
	s_waitcnt lgkmcnt(4)
	v_add_u32_sdwa v0, v0, v31 dst_sel:DWORD dst_unused:UNUSED_PAD src0_sel:DWORD src1_sel:WORD_0
	v_add_u32_sdwa v1, v1, v32 dst_sel:DWORD dst_unused:UNUSED_PAD src0_sel:DWORD src1_sel:WORD_0
	;; [unrolled: 1-line block ×4, first 2 shown]
	s_addc_u32 s1, s31, s1
	v_lshlrev_b32_e32 v8, 2, v8
	s_waitcnt lgkmcnt(0)
	v_add_u32_sdwa v4, v4, v35 dst_sel:DWORD dst_unused:UNUSED_PAD src0_sel:DWORD src1_sel:WORD_0
	v_add_u32_sdwa v5, v5, v36 dst_sel:DWORD dst_unused:UNUSED_PAD src0_sel:DWORD src1_sel:WORD_0
	;; [unrolled: 1-line block ×4, first 2 shown]
	global_store_dwordx4 v8, v[0:3], s[0:1]
	global_store_dwordx4 v8, v[4:7], s[0:1] offset:16
	s_endpgm
	.section	.rodata,"a",@progbits
	.p2align	6, 0x0
	.amdhsa_kernel _Z11rank_kernelIhLj4ELb0EL18RadixRankAlgorithm1ELj256ELj8ELj10EEvPKT_Pi
		.amdhsa_group_segment_fixed_size 8208
		.amdhsa_private_segment_fixed_size 0
		.amdhsa_kernarg_size 16
		.amdhsa_user_sgpr_count 6
		.amdhsa_user_sgpr_private_segment_buffer 1
		.amdhsa_user_sgpr_dispatch_ptr 0
		.amdhsa_user_sgpr_queue_ptr 0
		.amdhsa_user_sgpr_kernarg_segment_ptr 1
		.amdhsa_user_sgpr_dispatch_id 0
		.amdhsa_user_sgpr_flat_scratch_init 0
		.amdhsa_user_sgpr_private_segment_size 0
		.amdhsa_uses_dynamic_stack 0
		.amdhsa_system_sgpr_private_segment_wavefront_offset 0
		.amdhsa_system_sgpr_workgroup_id_x 1
		.amdhsa_system_sgpr_workgroup_id_y 0
		.amdhsa_system_sgpr_workgroup_id_z 0
		.amdhsa_system_sgpr_workgroup_info 0
		.amdhsa_system_vgpr_workitem_id 0
		.amdhsa_next_free_vgpr 41
		.amdhsa_next_free_sgpr 77
		.amdhsa_reserve_vcc 1
		.amdhsa_reserve_flat_scratch 0
		.amdhsa_float_round_mode_32 0
		.amdhsa_float_round_mode_16_64 0
		.amdhsa_float_denorm_mode_32 3
		.amdhsa_float_denorm_mode_16_64 3
		.amdhsa_dx10_clamp 1
		.amdhsa_ieee_mode 1
		.amdhsa_fp16_overflow 0
		.amdhsa_exception_fp_ieee_invalid_op 0
		.amdhsa_exception_fp_denorm_src 0
		.amdhsa_exception_fp_ieee_div_zero 0
		.amdhsa_exception_fp_ieee_overflow 0
		.amdhsa_exception_fp_ieee_underflow 0
		.amdhsa_exception_fp_ieee_inexact 0
		.amdhsa_exception_int_div_zero 0
	.end_amdhsa_kernel
	.section	.text._Z11rank_kernelIhLj4ELb0EL18RadixRankAlgorithm1ELj256ELj8ELj10EEvPKT_Pi,"axG",@progbits,_Z11rank_kernelIhLj4ELb0EL18RadixRankAlgorithm1ELj256ELj8ELj10EEvPKT_Pi,comdat
.Lfunc_end67:
	.size	_Z11rank_kernelIhLj4ELb0EL18RadixRankAlgorithm1ELj256ELj8ELj10EEvPKT_Pi, .Lfunc_end67-_Z11rank_kernelIhLj4ELb0EL18RadixRankAlgorithm1ELj256ELj8ELj10EEvPKT_Pi
                                        ; -- End function
	.set _Z11rank_kernelIhLj4ELb0EL18RadixRankAlgorithm1ELj256ELj8ELj10EEvPKT_Pi.num_vgpr, 41
	.set _Z11rank_kernelIhLj4ELb0EL18RadixRankAlgorithm1ELj256ELj8ELj10EEvPKT_Pi.num_agpr, 0
	.set _Z11rank_kernelIhLj4ELb0EL18RadixRankAlgorithm1ELj256ELj8ELj10EEvPKT_Pi.numbered_sgpr, 36
	.set _Z11rank_kernelIhLj4ELb0EL18RadixRankAlgorithm1ELj256ELj8ELj10EEvPKT_Pi.num_named_barrier, 0
	.set _Z11rank_kernelIhLj4ELb0EL18RadixRankAlgorithm1ELj256ELj8ELj10EEvPKT_Pi.private_seg_size, 0
	.set _Z11rank_kernelIhLj4ELb0EL18RadixRankAlgorithm1ELj256ELj8ELj10EEvPKT_Pi.uses_vcc, 1
	.set _Z11rank_kernelIhLj4ELb0EL18RadixRankAlgorithm1ELj256ELj8ELj10EEvPKT_Pi.uses_flat_scratch, 0
	.set _Z11rank_kernelIhLj4ELb0EL18RadixRankAlgorithm1ELj256ELj8ELj10EEvPKT_Pi.has_dyn_sized_stack, 0
	.set _Z11rank_kernelIhLj4ELb0EL18RadixRankAlgorithm1ELj256ELj8ELj10EEvPKT_Pi.has_recursion, 0
	.set _Z11rank_kernelIhLj4ELb0EL18RadixRankAlgorithm1ELj256ELj8ELj10EEvPKT_Pi.has_indirect_call, 0
	.section	.AMDGPU.csdata,"",@progbits
; Kernel info:
; codeLenInByte = 2308
; TotalNumSgprs: 40
; NumVgprs: 41
; ScratchSize: 0
; MemoryBound: 0
; FloatMode: 240
; IeeeMode: 1
; LDSByteSize: 8208 bytes/workgroup (compile time only)
; SGPRBlocks: 10
; VGPRBlocks: 10
; NumSGPRsForWavesPerEU: 81
; NumVGPRsForWavesPerEU: 41
; Occupancy: 5
; WaveLimiterHint : 0
; COMPUTE_PGM_RSRC2:SCRATCH_EN: 0
; COMPUTE_PGM_RSRC2:USER_SGPR: 6
; COMPUTE_PGM_RSRC2:TRAP_HANDLER: 0
; COMPUTE_PGM_RSRC2:TGID_X_EN: 1
; COMPUTE_PGM_RSRC2:TGID_Y_EN: 0
; COMPUTE_PGM_RSRC2:TGID_Z_EN: 0
; COMPUTE_PGM_RSRC2:TIDIG_COMP_CNT: 0
	.section	.text._Z11rank_kernelIhLj4ELb0EL18RadixRankAlgorithm2ELj256ELj8ELj10EEvPKT_Pi,"axG",@progbits,_Z11rank_kernelIhLj4ELb0EL18RadixRankAlgorithm2ELj256ELj8ELj10EEvPKT_Pi,comdat
	.protected	_Z11rank_kernelIhLj4ELb0EL18RadixRankAlgorithm2ELj256ELj8ELj10EEvPKT_Pi ; -- Begin function _Z11rank_kernelIhLj4ELb0EL18RadixRankAlgorithm2ELj256ELj8ELj10EEvPKT_Pi
	.globl	_Z11rank_kernelIhLj4ELb0EL18RadixRankAlgorithm2ELj256ELj8ELj10EEvPKT_Pi
	.p2align	8
	.type	_Z11rank_kernelIhLj4ELb0EL18RadixRankAlgorithm2ELj256ELj8ELj10EEvPKT_Pi,@function
_Z11rank_kernelIhLj4ELb0EL18RadixRankAlgorithm2ELj256ELj8ELj10EEvPKT_Pi: ; @_Z11rank_kernelIhLj4ELb0EL18RadixRankAlgorithm2ELj256ELj8ELj10EEvPKT_Pi
; %bb.0:
	s_load_dwordx4 s[8:11], s[4:5], 0x0
	s_load_dword s2, s[4:5], 0x1c
	s_lshl_b32 s0, s6, 11
	s_mov_b32 s1, 0
                                        ; implicit-def: $vgpr170 : SGPR spill to VGPR lane
	v_lshlrev_b32_e32 v7, 3, v0
	v_writelane_b32 v170, s0, 0
	v_writelane_b32 v170, s1, 1
	s_waitcnt lgkmcnt(0)
	s_add_u32 s0, s8, s0
	s_addc_u32 s1, s9, 0
	s_mov_b64 s[6:7], s[10:11]
	v_writelane_b32 v170, s4, 2
	global_load_dwordx2 v[5:6], v7, s[0:1]
	s_lshr_b32 s0, s2, 16
	v_mbcnt_lo_u32_b32 v4, -1, 0
	v_writelane_b32 v170, s5, 3
	s_and_b32 s1, s2, 0xffff
	v_mad_u32_u24 v1, v2, s0, v1
	v_mbcnt_hi_u32_b32 v4, -1, v4
	v_writelane_b32 v170, s6, 4
	v_mad_u64_u32 v[1:2], s[0:1], v1, s1, v[0:1]
	v_and_b32_e32 v8, 15, v4
	v_writelane_b32 v170, s7, 5
	v_cmp_eq_u32_e64 s[70:71], 0, v8
	v_cmp_lt_u32_e64 s[0:1], 1, v8
	v_cmp_lt_u32_e64 s[2:3], 3, v8
	;; [unrolled: 1-line block ×3, first 2 shown]
	v_and_b32_e32 v8, 16, v4
	v_cmp_eq_u32_e64 s[6:7], 0, v8
	v_or_b32_e32 v8, 63, v0
	v_lshlrev_b32_e32 v2, 2, v0
	v_cmp_eq_u32_e64 s[10:11], v0, v8
	v_cmp_gt_u32_e64 s[12:13], 4, v0
	v_cmp_lt_u32_e64 s[14:15], 63, v0
	v_subrev_co_u32_e64 v8, s[16:17], 1, v4
	v_and_b32_e32 v9, 64, v4
	v_lshrrev_b32_e32 v0, 4, v0
	v_cmp_lt_i32_e32 vcc, v8, v9
	v_and_b32_e32 v9, 12, v0
	v_and_b32_e32 v0, 3, v4
	v_cmp_eq_u32_e64 s[18:19], 0, v0
	v_writelane_b32 v170, s18, 6
	v_writelane_b32 v170, s19, 7
	v_cmp_lt_u32_e64 s[18:19], 1, v0
	v_lshrrev_b32_e32 v0, 4, v1
	v_cndmask_b32_e32 v8, v8, v4, vcc
	v_writelane_b32 v170, s18, 8
	v_writelane_b32 v170, s19, 9
	v_mov_b32_e32 v3, 0
	v_cmp_lt_u32_e64 s[8:9], 31, v4
	v_mov_b32_e32 v70, 30
	v_mov_b32_e32 v72, 29
	;; [unrolled: 1-line block ×5, first 2 shown]
                                        ; implicit-def: $vgpr169 : SGPR spill to VGPR lane
	v_and_b32_e32 v10, 0xffffffc, v0
	v_lshlrev_b32_e32 v8, 2, v8
	v_add_u32_e32 v11, -4, v9
	s_mov_b32 s33, 10
	s_waitcnt vmcnt(0)
	v_and_b32_e32 v1, 1, v5
	v_add_co_u32_e32 v12, vcc, -1, v1
	v_addc_co_u32_e64 v13, s[18:19], 0, -1, vcc
	v_cmp_eq_u32_e64 s[18:19], 1, v1
	v_writelane_b32 v170, s18, 10
	v_lshlrev_b32_e32 v4, 30, v5
	v_writelane_b32 v170, s19, 11
	v_cmp_gt_i64_e64 s[18:19], 0, v[3:4]
	v_not_b32_e32 v1, v4
	v_writelane_b32 v170, s18, 12
	v_lshlrev_b32_e32 v4, 29, v5
	v_writelane_b32 v170, s19, 13
	v_cmp_gt_i64_e64 s[18:19], 0, v[3:4]
	v_ashrrev_i32_e32 v14, 31, v1
	v_writelane_b32 v170, s18, 14
	v_not_b32_e32 v1, v4
	v_lshlrev_b32_e32 v4, 28, v5
	v_writelane_b32 v170, s19, 15
	v_cmp_gt_i64_e64 s[18:19], 0, v[3:4]
	v_ashrrev_i32_e32 v16, 31, v1
	v_not_b32_e32 v1, v4
	v_bfe_u32 v4, v5, 8, 1
	v_writelane_b32 v170, s18, 16
	v_add_co_u32_e32 v20, vcc, -1, v4
	v_writelane_b32 v170, s19, 17
	v_addc_co_u32_e64 v21, s[18:19], 0, -1, vcc
	v_and_b32_e32 v4, 0x100, v5
	v_lshrrev_b32_e32 v26, 8, v5
	v_cmp_ne_u32_e64 s[18:19], 0, v4
	v_writelane_b32 v170, s18, 18
	v_lshlrev_b32_e32 v4, 30, v26
	v_writelane_b32 v170, s19, 19
	v_cmp_gt_i64_e64 s[18:19], 0, v[3:4]
	v_not_b32_e32 v4, v4
	v_writelane_b32 v170, s18, 20
	v_ashrrev_i32_e32 v22, 31, v4
	v_lshlrev_b32_e32 v4, 29, v26
	v_writelane_b32 v170, s19, 21
	v_cmp_gt_i64_e64 s[18:19], 0, v[3:4]
	v_not_b32_e32 v4, v4
	v_writelane_b32 v170, s18, 22
	v_ashrrev_i32_e32 v24, 31, v4
	v_lshlrev_b32_e32 v4, 28, v26
	v_writelane_b32 v170, s19, 23
	v_cmp_gt_i64_e64 s[18:19], 0, v[3:4]
	v_not_b32_e32 v4, v4
	v_ashrrev_i32_e32 v26, 31, v4
	v_bfe_u32 v4, v5, 16, 4
	v_mul_u32_u24_e32 v132, 20, v4
	v_bfe_u32 v4, v5, 16, 1
	v_writelane_b32 v170, s18, 24
	v_add_co_u32_e32 v28, vcc, -1, v4
	v_writelane_b32 v170, s19, 25
	v_addc_co_u32_e64 v29, s[18:19], 0, -1, vcc
	v_and_b32_e32 v4, 0x10000, v5
	v_cmp_ne_u32_e64 s[18:19], 0, v4
	v_writelane_b32 v170, s18, 26
	v_lshlrev_b32_sdwa v4, v70, v5 dst_sel:DWORD dst_unused:UNUSED_PAD src0_sel:DWORD src1_sel:WORD_1
	v_writelane_b32 v170, s19, 27
	v_cmp_gt_i64_e64 s[18:19], 0, v[3:4]
	v_not_b32_e32 v4, v4
	v_writelane_b32 v170, s18, 28
	v_ashrrev_i32_e32 v30, 31, v4
	v_lshlrev_b32_sdwa v4, v72, v5 dst_sel:DWORD dst_unused:UNUSED_PAD src0_sel:DWORD src1_sel:WORD_1
	v_writelane_b32 v170, s19, 29
	v_cmp_gt_i64_e64 s[18:19], 0, v[3:4]
	v_not_b32_e32 v4, v4
	v_writelane_b32 v170, s18, 30
	v_ashrrev_i32_e32 v32, 31, v4
	v_lshlrev_b32_sdwa v4, v74, v5 dst_sel:DWORD dst_unused:UNUSED_PAD src0_sel:DWORD src1_sel:WORD_1
	v_writelane_b32 v170, s19, 31
	v_cmp_gt_i64_e64 s[18:19], 0, v[3:4]
	v_not_b32_e32 v4, v4
	v_ashrrev_i32_e32 v34, 31, v4
	v_and_b32_sdwa v4, v5, v68 dst_sel:DWORD dst_unused:UNUSED_PAD src0_sel:BYTE_3 src1_sel:DWORD
	v_mul_u32_u24_e32 v139, 20, v4
	v_and_b32_sdwa v4, v5, v69 dst_sel:DWORD dst_unused:UNUSED_PAD src0_sel:BYTE_3 src1_sel:DWORD
	v_writelane_b32 v170, s18, 32
	v_add_co_u32_e32 v36, vcc, -1, v4
	v_writelane_b32 v170, s19, 33
	v_addc_co_u32_e64 v37, s[18:19], 0, -1, vcc
	v_cmp_eq_u32_e64 s[18:19], 1, v4
	v_writelane_b32 v170, s18, 34
	v_lshlrev_b32_sdwa v4, v70, v5 dst_sel:DWORD dst_unused:UNUSED_PAD src0_sel:DWORD src1_sel:BYTE_3
	v_writelane_b32 v170, s19, 35
	v_cmp_gt_i64_e64 s[18:19], 0, v[3:4]
	v_not_b32_e32 v4, v4
	v_writelane_b32 v170, s18, 36
	v_ashrrev_i32_e32 v38, 31, v4
	v_lshlrev_b32_sdwa v4, v72, v5 dst_sel:DWORD dst_unused:UNUSED_PAD src0_sel:DWORD src1_sel:BYTE_3
	v_writelane_b32 v170, s19, 37
	v_cmp_gt_i64_e64 s[18:19], 0, v[3:4]
	v_not_b32_e32 v4, v4
	v_writelane_b32 v170, s18, 38
	v_ashrrev_i32_e32 v40, 31, v4
	v_lshlrev_b32_sdwa v4, v74, v5 dst_sel:DWORD dst_unused:UNUSED_PAD src0_sel:DWORD src1_sel:BYTE_3
	v_writelane_b32 v170, s19, 39
	v_cmp_gt_i64_e64 s[18:19], 0, v[3:4]
	v_not_b32_e32 v4, v4
	v_ashrrev_i32_e32 v42, 31, v4
	v_and_b32_e32 v4, 15, v6
	v_mul_u32_u24_e32 v140, 20, v4
	v_and_b32_e32 v4, 1, v6
	v_writelane_b32 v170, s18, 40
	v_add_co_u32_e32 v44, vcc, -1, v4
	v_writelane_b32 v170, s19, 41
	v_addc_co_u32_e64 v45, s[18:19], 0, -1, vcc
	v_cmp_eq_u32_e64 s[18:19], 1, v4
	v_writelane_b32 v170, s18, 42
	v_lshlrev_b32_e32 v4, 30, v6
	v_writelane_b32 v170, s19, 43
	v_cmp_gt_i64_e64 s[18:19], 0, v[3:4]
	v_not_b32_e32 v4, v4
	v_writelane_b32 v170, s18, 44
	v_ashrrev_i32_e32 v46, 31, v4
	v_lshlrev_b32_e32 v4, 29, v6
	v_writelane_b32 v170, s19, 45
	v_cmp_gt_i64_e64 s[18:19], 0, v[3:4]
	v_not_b32_e32 v4, v4
	v_writelane_b32 v170, s18, 46
	v_ashrrev_i32_e32 v48, 31, v4
	v_lshlrev_b32_e32 v4, 28, v6
	v_lshrrev_b32_e32 v118, 8, v6
	v_writelane_b32 v170, s19, 47
	v_cmp_gt_i64_e64 s[18:19], 0, v[3:4]
	v_not_b32_e32 v4, v4
	v_ashrrev_i32_e32 v50, 31, v4
	v_and_b32_e32 v4, 15, v118
	v_mul_u32_u24_e32 v141, 20, v4
	v_and_b32_e32 v4, 1, v118
	v_writelane_b32 v170, s18, 48
	v_add_co_u32_e32 v52, vcc, -1, v4
	v_writelane_b32 v170, s19, 49
	v_addc_co_u32_e64 v53, s[18:19], 0, -1, vcc
	v_cmp_eq_u32_e64 s[18:19], 1, v4
	v_writelane_b32 v170, s18, 50
	v_lshlrev_b32_e32 v4, 30, v118
	v_writelane_b32 v170, s19, 51
	v_cmp_gt_i64_e64 s[18:19], 0, v[3:4]
	v_not_b32_e32 v4, v4
	v_writelane_b32 v170, s18, 52
	v_ashrrev_i32_e32 v54, 31, v4
	v_lshlrev_b32_e32 v4, 29, v118
	v_writelane_b32 v170, s19, 53
	v_cmp_gt_i64_e64 s[18:19], 0, v[3:4]
	v_not_b32_e32 v4, v4
	v_writelane_b32 v170, s18, 54
	v_ashrrev_i32_e32 v56, 31, v4
	v_lshlrev_b32_e32 v4, 28, v118
	v_lshrrev_b32_e32 v126, 16, v6
	v_writelane_b32 v170, s19, 55
	v_cmp_gt_i64_e64 s[18:19], 0, v[3:4]
	v_not_b32_e32 v4, v4
	v_ashrrev_i32_e32 v58, 31, v4
	v_and_b32_e32 v4, 15, v126
	v_mul_u32_u24_e32 v142, 20, v4
	v_and_b32_e32 v4, 1, v126
	v_writelane_b32 v170, s18, 56
	v_add_co_u32_e32 v60, vcc, -1, v4
	v_writelane_b32 v170, s19, 57
	v_addc_co_u32_e64 v61, s[18:19], 0, -1, vcc
	v_cmp_eq_u32_e64 s[18:19], 1, v4
	v_writelane_b32 v170, s18, 58
	v_lshlrev_b32_e32 v4, 30, v126
	v_writelane_b32 v170, s19, 59
	v_cmp_gt_i64_e64 s[18:19], 0, v[3:4]
	v_not_b32_e32 v4, v4
	v_writelane_b32 v170, s18, 60
	v_ashrrev_i32_e32 v62, 31, v4
	v_lshlrev_b32_e32 v4, 29, v126
	v_writelane_b32 v170, s19, 61
	v_cmp_gt_i64_e64 s[18:19], 0, v[3:4]
	v_not_b32_e32 v4, v4
	v_writelane_b32 v170, s18, 62
	v_ashrrev_i32_e32 v64, 31, v4
	v_lshlrev_b32_e32 v4, 28, v126
	v_writelane_b32 v170, s19, 63
	v_cmp_gt_i64_e64 s[18:19], 0, v[3:4]
	v_not_b32_e32 v4, v4
	v_ashrrev_i32_e32 v66, 31, v4
	v_and_b32_sdwa v4, v6, v68 dst_sel:DWORD dst_unused:UNUSED_PAD src0_sel:BYTE_3 src1_sel:DWORD
	v_mul_u32_u24_e32 v143, 20, v4
	v_and_b32_sdwa v4, v6, v69 dst_sel:DWORD dst_unused:UNUSED_PAD src0_sel:BYTE_3 src1_sel:DWORD
	v_add_co_u32_e32 v68, vcc, -1, v4
	v_cmp_eq_u32_e64 s[80:81], 1, v4
	v_lshlrev_b32_sdwa v4, v70, v6 dst_sel:DWORD dst_unused:UNUSED_PAD src0_sel:DWORD src1_sel:BYTE_3
	v_cmp_gt_i64_e64 s[82:83], 0, v[3:4]
	v_not_b32_e32 v4, v4
	v_ashrrev_i32_e32 v70, 31, v4
	v_lshlrev_b32_sdwa v4, v72, v6 dst_sel:DWORD dst_unused:UNUSED_PAD src0_sel:DWORD src1_sel:BYTE_3
	v_cmp_gt_i64_e64 s[84:85], 0, v[3:4]
	v_not_b32_e32 v4, v4
	v_ashrrev_i32_e32 v72, 31, v4
	;; [unrolled: 4-line block ×3, first 2 shown]
	v_bfe_u32 v4, v5, 4, 4
	v_writelane_b32 v169, s18, 0
	v_mul_u32_u24_e32 v76, 20, v4
	v_bfe_u32 v4, v5, 4, 1
	v_writelane_b32 v169, s19, 1
	v_addc_co_u32_e64 v69, s[18:19], 0, -1, vcc
	v_lshrrev_b32_e32 v83, 4, v5
	v_add_co_u32_e32 v77, vcc, -1, v4
	v_and_b32_e32 v4, 16, v5
	v_cmp_ne_u32_e64 s[88:89], 0, v4
	v_lshlrev_b32_e32 v4, 30, v83
	v_cmp_gt_i64_e64 s[90:91], 0, v[3:4]
	v_not_b32_e32 v4, v4
	v_ashrrev_i32_e32 v79, 31, v4
	v_lshlrev_b32_e32 v4, 29, v83
	v_cmp_gt_i64_e64 s[92:93], 0, v[3:4]
	v_not_b32_e32 v4, v4
	v_ashrrev_i32_e32 v81, 31, v4
	v_lshlrev_b32_e32 v4, 28, v83
	v_cmp_gt_i64_e64 s[94:95], 0, v[3:4]
	v_not_b32_e32 v4, v4
	v_ashrrev_i32_e32 v83, 31, v4
	v_bfe_u32 v4, v5, 12, 4
	v_mul_u32_u24_e32 v149, 20, v4
	v_bfe_u32 v4, v5, 12, 1
	v_addc_co_u32_e64 v78, s[18:19], 0, -1, vcc
	v_add_co_u32_e32 v85, vcc, -1, v4
	v_lshrrev_b32_e32 v91, 12, v5
	v_addc_co_u32_e64 v86, s[18:19], 0, -1, vcc
	v_and_b32_e32 v4, 0x1000, v5
	v_cmp_ne_u32_e64 s[18:19], 0, v4
	v_lshlrev_b32_e32 v4, 30, v91
	v_cmp_gt_i64_e64 s[20:21], 0, v[3:4]
	v_not_b32_e32 v4, v4
	v_ashrrev_i32_e32 v87, 31, v4
	v_lshlrev_b32_e32 v4, 29, v91
	v_cmp_gt_i64_e64 s[22:23], 0, v[3:4]
	v_not_b32_e32 v4, v4
	v_ashrrev_i32_e32 v89, 31, v4
	;; [unrolled: 4-line block ×3, first 2 shown]
	v_bfe_u32 v4, v5, 20, 4
	v_mul_u32_u24_e32 v153, 20, v4
	v_bfe_u32 v4, v5, 20, 1
	v_add_co_u32_e32 v93, vcc, -1, v4
	v_lshrrev_b32_e32 v99, 20, v5
	v_addc_co_u32_e64 v94, s[26:27], 0, -1, vcc
	v_and_b32_e32 v4, 0x100000, v5
	v_cmp_ne_u32_e64 s[26:27], 0, v4
	v_lshlrev_b32_e32 v4, 30, v99
	v_cmp_gt_i64_e64 s[28:29], 0, v[3:4]
	v_not_b32_e32 v4, v4
	v_ashrrev_i32_e32 v95, 31, v4
	v_lshlrev_b32_e32 v4, 29, v99
	v_cmp_gt_i64_e64 s[30:31], 0, v[3:4]
	v_not_b32_e32 v4, v4
	v_ashrrev_i32_e32 v97, 31, v4
	;; [unrolled: 4-line block ×3, first 2 shown]
	v_bfe_u32 v4, v5, 28, 1
	v_add_co_u32_e32 v101, vcc, -1, v4
	v_lshrrev_b32_e32 v105, 28, v5
	v_addc_co_u32_e64 v102, s[36:37], 0, -1, vcc
	v_and_b32_e32 v4, 0x10000000, v5
	v_cmp_ne_u32_e64 s[36:37], 0, v4
	v_lshlrev_b32_e32 v4, 30, v105
	v_cmp_gt_i64_e64 s[38:39], 0, v[3:4]
	v_not_b32_e32 v4, v4
	v_ashrrev_i32_e32 v103, 31, v4
	v_lshlrev_b32_e32 v4, 29, v105
	v_cmp_gt_i64_e64 s[40:41], 0, v[3:4]
	v_not_b32_e32 v4, v4
	v_mul_u32_u24_e32 v154, 20, v105
	v_ashrrev_i32_e32 v105, 31, v4
	v_and_b32_e32 v4, 0xf0000000, v5
	v_cmp_gt_i64_e64 s[42:43], 0, v[3:4]
	v_not_b32_e32 v4, v4
	v_and_b32_e32 v0, 15, v5
	v_ashrrev_i32_e32 v18, 31, v1
	v_bfe_u32 v1, v5, 8, 4
	v_ashrrev_i32_e32 v5, 31, v4
	v_bfe_u32 v4, v6, 4, 4
	v_mul_u32_u24_e32 v155, 20, v4
	v_bfe_u32 v4, v6, 4, 1
	v_add_co_u32_e32 v108, vcc, -1, v4
	v_lshrrev_b32_e32 v114, 4, v6
	v_addc_co_u32_e64 v109, s[44:45], 0, -1, vcc
	v_and_b32_e32 v4, 16, v6
	v_cmp_ne_u32_e64 s[44:45], 0, v4
	v_lshlrev_b32_e32 v4, 30, v114
	v_cmp_gt_i64_e64 s[46:47], 0, v[3:4]
	v_not_b32_e32 v4, v4
	v_ashrrev_i32_e32 v110, 31, v4
	v_lshlrev_b32_e32 v4, 29, v114
	v_cmp_gt_i64_e64 s[48:49], 0, v[3:4]
	v_not_b32_e32 v4, v4
	v_ashrrev_i32_e32 v112, 31, v4
	v_lshlrev_b32_e32 v4, 28, v114
	v_cmp_gt_i64_e64 s[50:51], 0, v[3:4]
	v_not_b32_e32 v4, v4
	v_ashrrev_i32_e32 v114, 31, v4
	v_bfe_u32 v4, v118, 4, 4
	v_mul_u32_u24_e32 v156, 20, v4
	v_bfe_u32 v4, v118, 4, 1
	v_add_co_u32_e32 v116, vcc, -1, v4
	v_lshrrev_b32_e32 v122, 4, v118
	v_addc_co_u32_e64 v117, s[52:53], 0, -1, vcc
	v_and_b32_e32 v4, 16, v118
	v_cmp_ne_u32_e64 s[52:53], 0, v4
	v_lshlrev_b32_e32 v4, 30, v122
	v_cmp_gt_i64_e64 s[54:55], 0, v[3:4]
	v_not_b32_e32 v4, v4
	v_ashrrev_i32_e32 v118, 31, v4
	v_lshlrev_b32_e32 v4, 29, v122
	v_cmp_gt_i64_e64 s[56:57], 0, v[3:4]
	v_not_b32_e32 v4, v4
	v_ashrrev_i32_e32 v120, 31, v4
	v_lshlrev_b32_e32 v4, 28, v122
	v_cmp_gt_i64_e64 s[58:59], 0, v[3:4]
	v_not_b32_e32 v4, v4
	;; [unrolled: 20-line block ×3, first 2 shown]
	v_lshrrev_b32_e32 v138, 28, v6
	v_ashrrev_i32_e32 v130, 31, v4
	v_and_b32_e32 v4, 1, v138
	v_add_co_u32_e32 v6, vcc, -1, v4
	v_addc_co_u32_e64 v133, s[68:69], 0, -1, vcc
	v_cmp_eq_u32_e64 s[68:69], 1, v4
	v_lshlrev_b32_e32 v4, 30, v138
	v_cmp_gt_i64_e64 s[72:73], 0, v[3:4]
	v_not_b32_e32 v4, v4
	v_ashrrev_i32_e32 v134, 31, v4
	v_lshlrev_b32_e32 v4, 29, v138
	v_cmp_gt_i64_e64 s[74:75], 0, v[3:4]
	v_not_b32_e32 v4, v4
	v_ashrrev_i32_e32 v136, 31, v4
	v_lshlrev_b32_e32 v4, 28, v138
	v_cmp_gt_i64_e64 s[76:77], 0, v[3:4]
	v_not_b32_e32 v4, v4
	v_mul_u32_u24_e32 v0, 20, v0
	v_mul_u32_u24_e32 v1, 20, v1
	;; [unrolled: 1-line block ×3, first 2 shown]
	v_ashrrev_i32_e32 v4, 31, v4
	v_mov_b32_e32 v15, v14
	v_mov_b32_e32 v17, v16
	;; [unrolled: 1-line block ×48, first 2 shown]
	v_add_u32_e32 v144, v10, v0
	v_add_u32_e32 v145, v10, v1
	;; [unrolled: 1-line block ×15, first 2 shown]
	s_branch .LBB68_2
.LBB68_1:                               ;   in Loop: Header=BB68_2 Depth=1
	s_or_b64 exec, exec, s[78:79]
	s_waitcnt lgkmcnt(0)
	v_add_u32_e32 v0, v1, v0
	ds_bpermute_b32 v0, v8, v0
	s_add_i32 s33, s33, -1
	s_cmp_eq_u32 s33, 0
	s_waitcnt lgkmcnt(0)
	v_cndmask_b32_e64 v0, v0, v1, s[16:17]
	ds_write_b32 v2, v0 offset:16
	s_waitcnt lgkmcnt(0)
	s_barrier
	s_cbranch_scc1 .LBB68_46
.LBB68_2:                               ; =>This Inner Loop Header: Depth=1
	v_readlane_b32 s78, v170, 10
	v_readlane_b32 s79, v170, 11
	v_cndmask_b32_e64 v0, 0, 1, s[78:79]
	v_readlane_b32 s78, v170, 12
	v_readlane_b32 s79, v170, 13
	v_cmp_ne_u32_e32 vcc, 0, v0
	v_cndmask_b32_e64 v153, 0, 1, s[78:79]
	v_xor_b32_e32 v0, vcc_hi, v13
	v_xor_b32_e32 v1, vcc_lo, v12
	v_cmp_ne_u32_e32 vcc, 0, v153
	v_readlane_b32 s78, v170, 14
	v_and_b32_e32 v0, exec_hi, v0
	v_xor_b32_e32 v153, vcc_hi, v15
	v_readlane_b32 s79, v170, 15
	v_and_b32_e32 v0, v0, v153
	v_cndmask_b32_e64 v153, 0, 1, s[78:79]
	v_and_b32_e32 v1, exec_lo, v1
	v_xor_b32_e32 v154, vcc_lo, v14
	v_cmp_ne_u32_e32 vcc, 0, v153
	v_readlane_b32 s78, v170, 16
	v_and_b32_e32 v1, v1, v154
	v_xor_b32_e32 v153, vcc_hi, v17
	v_xor_b32_e32 v154, vcc_lo, v16
	v_readlane_b32 s79, v170, 17
	v_and_b32_e32 v0, v0, v153
	v_and_b32_e32 v153, v1, v154
	v_cndmask_b32_e64 v1, 0, 1, s[78:79]
	v_cmp_ne_u32_e32 vcc, 0, v1
	v_xor_b32_e32 v1, vcc_hi, v19
	v_xor_b32_e32 v154, vcc_lo, v18
	v_and_b32_e32 v1, v0, v1
	v_and_b32_e32 v0, v153, v154
	v_mbcnt_lo_u32_b32 v153, v0, 0
	v_mbcnt_hi_u32_b32 v153, v1, v153
	v_cmp_ne_u64_e64 s[78:79], 0, v[0:1]
	v_cmp_eq_u32_e32 vcc, 0, v153
	s_and_b64 vcc, s[78:79], vcc
	ds_write_b32 v2, v3 offset:16
	s_waitcnt lgkmcnt(0)
	s_barrier
	; wave barrier
	s_and_saveexec_b64 s[78:79], vcc
; %bb.3:                                ;   in Loop: Header=BB68_2 Depth=1
	v_bcnt_u32_b32 v0, v0, 0
	v_bcnt_u32_b32 v0, v1, v0
	ds_write_b32 v144, v0 offset:16
; %bb.4:                                ;   in Loop: Header=BB68_2 Depth=1
	s_or_b64 exec, exec, s[78:79]
	v_readlane_b32 s78, v170, 18
	v_readlane_b32 s79, v170, 19
	v_cndmask_b32_e64 v0, 0, 1, s[78:79]
	v_readlane_b32 s78, v170, 20
	v_readlane_b32 s79, v170, 21
	v_cmp_ne_u32_e32 vcc, 0, v0
	v_cndmask_b32_e64 v154, 0, 1, s[78:79]
	v_xor_b32_e32 v0, vcc_hi, v21
	v_xor_b32_e32 v1, vcc_lo, v20
	v_cmp_ne_u32_e32 vcc, 0, v154
	v_readlane_b32 s78, v170, 22
	v_and_b32_e32 v0, exec_hi, v0
	v_xor_b32_e32 v154, vcc_hi, v23
	v_readlane_b32 s79, v170, 23
	v_and_b32_e32 v0, v0, v154
	v_cndmask_b32_e64 v154, 0, 1, s[78:79]
	v_and_b32_e32 v1, exec_lo, v1
	v_xor_b32_e32 v155, vcc_lo, v22
	v_cmp_ne_u32_e32 vcc, 0, v154
	v_readlane_b32 s78, v170, 24
	v_and_b32_e32 v1, v1, v155
	v_xor_b32_e32 v154, vcc_hi, v25
	v_xor_b32_e32 v155, vcc_lo, v24
	v_readlane_b32 s79, v170, 25
	v_and_b32_e32 v0, v0, v154
	v_and_b32_e32 v154, v1, v155
	v_cndmask_b32_e64 v1, 0, 1, s[78:79]
	v_cmp_ne_u32_e32 vcc, 0, v1
	v_xor_b32_e32 v1, vcc_hi, v27
	v_xor_b32_e32 v155, vcc_lo, v26
	; wave barrier
	ds_read_b32 v153, v145 offset:16
	v_and_b32_e32 v1, v0, v1
	v_and_b32_e32 v0, v154, v155
	v_mbcnt_lo_u32_b32 v154, v0, 0
	v_mbcnt_hi_u32_b32 v154, v1, v154
	v_cmp_ne_u64_e32 vcc, 0, v[0:1]
	v_cmp_eq_u32_e64 s[78:79], 0, v154
	s_and_b64 vcc, vcc, s[78:79]
	; wave barrier
	s_and_saveexec_b64 s[78:79], vcc
	s_cbranch_execz .LBB68_6
; %bb.5:                                ;   in Loop: Header=BB68_2 Depth=1
	v_bcnt_u32_b32 v0, v0, 0
	v_bcnt_u32_b32 v0, v1, v0
	s_waitcnt lgkmcnt(0)
	v_add_u32_e32 v0, v153, v0
	ds_write_b32 v145, v0 offset:16
.LBB68_6:                               ;   in Loop: Header=BB68_2 Depth=1
	s_or_b64 exec, exec, s[78:79]
	v_readlane_b32 s78, v170, 26
	v_readlane_b32 s79, v170, 27
	v_cndmask_b32_e64 v0, 0, 1, s[78:79]
	v_readlane_b32 s78, v170, 28
	v_readlane_b32 s79, v170, 29
	v_cmp_ne_u32_e32 vcc, 0, v0
	v_cndmask_b32_e64 v154, 0, 1, s[78:79]
	v_xor_b32_e32 v0, vcc_hi, v29
	v_xor_b32_e32 v1, vcc_lo, v28
	v_cmp_ne_u32_e32 vcc, 0, v154
	v_readlane_b32 s78, v170, 30
	v_and_b32_e32 v0, exec_hi, v0
	v_xor_b32_e32 v154, vcc_hi, v31
	v_readlane_b32 s79, v170, 31
	v_and_b32_e32 v0, v0, v154
	v_cndmask_b32_e64 v154, 0, 1, s[78:79]
	v_and_b32_e32 v1, exec_lo, v1
	v_xor_b32_e32 v155, vcc_lo, v30
	v_cmp_ne_u32_e32 vcc, 0, v154
	v_readlane_b32 s78, v170, 32
	v_and_b32_e32 v1, v1, v155
	v_xor_b32_e32 v154, vcc_hi, v33
	v_xor_b32_e32 v155, vcc_lo, v32
	v_readlane_b32 s79, v170, 33
	v_and_b32_e32 v0, v0, v154
	v_and_b32_e32 v154, v1, v155
	v_cndmask_b32_e64 v1, 0, 1, s[78:79]
	v_cmp_ne_u32_e32 vcc, 0, v1
	v_xor_b32_e32 v1, vcc_hi, v35
	v_xor_b32_e32 v155, vcc_lo, v34
	; wave barrier
	s_waitcnt lgkmcnt(0)
	ds_read_b32 v153, v146 offset:16
	v_and_b32_e32 v1, v0, v1
	v_and_b32_e32 v0, v154, v155
	v_mbcnt_lo_u32_b32 v154, v0, 0
	v_mbcnt_hi_u32_b32 v154, v1, v154
	v_cmp_ne_u64_e32 vcc, 0, v[0:1]
	v_cmp_eq_u32_e64 s[78:79], 0, v154
	s_and_b64 vcc, vcc, s[78:79]
	; wave barrier
	s_and_saveexec_b64 s[78:79], vcc
	s_cbranch_execz .LBB68_8
; %bb.7:                                ;   in Loop: Header=BB68_2 Depth=1
	v_bcnt_u32_b32 v0, v0, 0
	v_bcnt_u32_b32 v0, v1, v0
	s_waitcnt lgkmcnt(0)
	v_add_u32_e32 v0, v153, v0
	ds_write_b32 v146, v0 offset:16
.LBB68_8:                               ;   in Loop: Header=BB68_2 Depth=1
	s_or_b64 exec, exec, s[78:79]
	v_readlane_b32 s78, v170, 34
	v_readlane_b32 s79, v170, 35
	v_cndmask_b32_e64 v0, 0, 1, s[78:79]
	v_readlane_b32 s78, v170, 36
	v_readlane_b32 s79, v170, 37
	v_cmp_ne_u32_e32 vcc, 0, v0
	v_cndmask_b32_e64 v154, 0, 1, s[78:79]
	v_xor_b32_e32 v0, vcc_hi, v37
	v_xor_b32_e32 v1, vcc_lo, v36
	v_cmp_ne_u32_e32 vcc, 0, v154
	v_readlane_b32 s78, v170, 38
	v_and_b32_e32 v0, exec_hi, v0
	v_xor_b32_e32 v154, vcc_hi, v39
	v_readlane_b32 s79, v170, 39
	v_and_b32_e32 v0, v0, v154
	v_cndmask_b32_e64 v154, 0, 1, s[78:79]
	v_and_b32_e32 v1, exec_lo, v1
	v_xor_b32_e32 v155, vcc_lo, v38
	v_cmp_ne_u32_e32 vcc, 0, v154
	v_readlane_b32 s78, v170, 40
	v_and_b32_e32 v1, v1, v155
	v_xor_b32_e32 v154, vcc_hi, v41
	v_xor_b32_e32 v155, vcc_lo, v40
	v_readlane_b32 s79, v170, 41
	v_and_b32_e32 v0, v0, v154
	v_and_b32_e32 v154, v1, v155
	v_cndmask_b32_e64 v1, 0, 1, s[78:79]
	v_cmp_ne_u32_e32 vcc, 0, v1
	v_xor_b32_e32 v1, vcc_hi, v43
	v_xor_b32_e32 v155, vcc_lo, v42
	; wave barrier
	s_waitcnt lgkmcnt(0)
	ds_read_b32 v153, v147 offset:16
	v_and_b32_e32 v1, v0, v1
	v_and_b32_e32 v0, v154, v155
	v_mbcnt_lo_u32_b32 v154, v0, 0
	v_mbcnt_hi_u32_b32 v154, v1, v154
	v_cmp_ne_u64_e32 vcc, 0, v[0:1]
	v_cmp_eq_u32_e64 s[78:79], 0, v154
	s_and_b64 vcc, vcc, s[78:79]
	; wave barrier
	s_and_saveexec_b64 s[78:79], vcc
	s_cbranch_execz .LBB68_10
; %bb.9:                                ;   in Loop: Header=BB68_2 Depth=1
	v_bcnt_u32_b32 v0, v0, 0
	v_bcnt_u32_b32 v0, v1, v0
	s_waitcnt lgkmcnt(0)
	v_add_u32_e32 v0, v153, v0
	ds_write_b32 v147, v0 offset:16
.LBB68_10:                              ;   in Loop: Header=BB68_2 Depth=1
	s_or_b64 exec, exec, s[78:79]
	v_readlane_b32 s78, v170, 42
	v_readlane_b32 s79, v170, 43
	v_cndmask_b32_e64 v0, 0, 1, s[78:79]
	v_readlane_b32 s78, v170, 44
	v_readlane_b32 s79, v170, 45
	v_cmp_ne_u32_e32 vcc, 0, v0
	v_cndmask_b32_e64 v154, 0, 1, s[78:79]
	v_xor_b32_e32 v0, vcc_hi, v45
	v_xor_b32_e32 v1, vcc_lo, v44
	v_cmp_ne_u32_e32 vcc, 0, v154
	v_readlane_b32 s78, v170, 46
	v_and_b32_e32 v0, exec_hi, v0
	v_xor_b32_e32 v154, vcc_hi, v47
	v_readlane_b32 s79, v170, 47
	v_and_b32_e32 v0, v0, v154
	v_cndmask_b32_e64 v154, 0, 1, s[78:79]
	v_and_b32_e32 v1, exec_lo, v1
	v_xor_b32_e32 v155, vcc_lo, v46
	v_cmp_ne_u32_e32 vcc, 0, v154
	v_readlane_b32 s78, v170, 48
	v_and_b32_e32 v1, v1, v155
	v_xor_b32_e32 v154, vcc_hi, v49
	v_xor_b32_e32 v155, vcc_lo, v48
	v_readlane_b32 s79, v170, 49
	v_and_b32_e32 v0, v0, v154
	v_and_b32_e32 v154, v1, v155
	v_cndmask_b32_e64 v1, 0, 1, s[78:79]
	v_cmp_ne_u32_e32 vcc, 0, v1
	v_xor_b32_e32 v1, vcc_hi, v51
	v_xor_b32_e32 v155, vcc_lo, v50
	; wave barrier
	s_waitcnt lgkmcnt(0)
	ds_read_b32 v153, v148 offset:16
	v_and_b32_e32 v1, v0, v1
	v_and_b32_e32 v0, v154, v155
	v_mbcnt_lo_u32_b32 v154, v0, 0
	v_mbcnt_hi_u32_b32 v154, v1, v154
	v_cmp_ne_u64_e32 vcc, 0, v[0:1]
	v_cmp_eq_u32_e64 s[78:79], 0, v154
	s_and_b64 vcc, vcc, s[78:79]
	; wave barrier
	s_and_saveexec_b64 s[78:79], vcc
	s_cbranch_execz .LBB68_12
; %bb.11:                               ;   in Loop: Header=BB68_2 Depth=1
	v_bcnt_u32_b32 v0, v0, 0
	v_bcnt_u32_b32 v0, v1, v0
	s_waitcnt lgkmcnt(0)
	v_add_u32_e32 v0, v153, v0
	ds_write_b32 v148, v0 offset:16
.LBB68_12:                              ;   in Loop: Header=BB68_2 Depth=1
	s_or_b64 exec, exec, s[78:79]
	v_readlane_b32 s78, v170, 50
	v_readlane_b32 s79, v170, 51
	v_cndmask_b32_e64 v0, 0, 1, s[78:79]
	v_readlane_b32 s78, v170, 52
	v_readlane_b32 s79, v170, 53
	v_cmp_ne_u32_e32 vcc, 0, v0
	v_cndmask_b32_e64 v154, 0, 1, s[78:79]
	v_xor_b32_e32 v0, vcc_hi, v53
	v_xor_b32_e32 v1, vcc_lo, v52
	v_cmp_ne_u32_e32 vcc, 0, v154
	v_readlane_b32 s78, v170, 54
	v_and_b32_e32 v0, exec_hi, v0
	v_xor_b32_e32 v154, vcc_hi, v55
	v_readlane_b32 s79, v170, 55
	v_and_b32_e32 v0, v0, v154
	v_cndmask_b32_e64 v154, 0, 1, s[78:79]
	v_and_b32_e32 v1, exec_lo, v1
	v_xor_b32_e32 v155, vcc_lo, v54
	v_cmp_ne_u32_e32 vcc, 0, v154
	v_readlane_b32 s78, v170, 56
	v_and_b32_e32 v1, v1, v155
	v_xor_b32_e32 v154, vcc_hi, v57
	v_xor_b32_e32 v155, vcc_lo, v56
	v_readlane_b32 s79, v170, 57
	v_and_b32_e32 v0, v0, v154
	v_and_b32_e32 v154, v1, v155
	v_cndmask_b32_e64 v1, 0, 1, s[78:79]
	v_cmp_ne_u32_e32 vcc, 0, v1
	v_xor_b32_e32 v1, vcc_hi, v59
	v_xor_b32_e32 v155, vcc_lo, v58
	; wave barrier
	s_waitcnt lgkmcnt(0)
	ds_read_b32 v153, v150 offset:16
	v_and_b32_e32 v1, v0, v1
	v_and_b32_e32 v0, v154, v155
	v_mbcnt_lo_u32_b32 v154, v0, 0
	v_mbcnt_hi_u32_b32 v154, v1, v154
	v_cmp_ne_u64_e32 vcc, 0, v[0:1]
	v_cmp_eq_u32_e64 s[78:79], 0, v154
	s_and_b64 vcc, vcc, s[78:79]
	; wave barrier
	s_and_saveexec_b64 s[78:79], vcc
	s_cbranch_execz .LBB68_14
; %bb.13:                               ;   in Loop: Header=BB68_2 Depth=1
	v_bcnt_u32_b32 v0, v0, 0
	v_bcnt_u32_b32 v0, v1, v0
	s_waitcnt lgkmcnt(0)
	v_add_u32_e32 v0, v153, v0
	ds_write_b32 v150, v0 offset:16
.LBB68_14:                              ;   in Loop: Header=BB68_2 Depth=1
	;; [unrolled: 51-line block ×3, first 2 shown]
	s_or_b64 exec, exec, s[78:79]
	v_cndmask_b32_e64 v0, 0, 1, s[80:81]
	v_cmp_ne_u32_e32 vcc, 0, v0
	v_cndmask_b32_e64 v154, 0, 1, s[82:83]
	v_xor_b32_e32 v0, vcc_hi, v69
	v_xor_b32_e32 v1, vcc_lo, v68
	v_cmp_ne_u32_e32 vcc, 0, v154
	v_and_b32_e32 v0, exec_hi, v0
	v_xor_b32_e32 v154, vcc_hi, v71
	v_and_b32_e32 v0, v0, v154
	v_cndmask_b32_e64 v154, 0, 1, s[84:85]
	v_and_b32_e32 v1, exec_lo, v1
	v_xor_b32_e32 v155, vcc_lo, v70
	v_cmp_ne_u32_e32 vcc, 0, v154
	v_and_b32_e32 v1, v1, v155
	v_xor_b32_e32 v154, vcc_hi, v73
	v_xor_b32_e32 v155, vcc_lo, v72
	v_and_b32_e32 v0, v0, v154
	v_and_b32_e32 v154, v1, v155
	v_cndmask_b32_e64 v1, 0, 1, s[86:87]
	v_cmp_ne_u32_e32 vcc, 0, v1
	v_xor_b32_e32 v1, vcc_hi, v75
	v_xor_b32_e32 v155, vcc_lo, v74
	; wave barrier
	s_waitcnt lgkmcnt(0)
	ds_read_b32 v153, v152 offset:16
	v_and_b32_e32 v1, v0, v1
	v_and_b32_e32 v0, v154, v155
	v_mbcnt_lo_u32_b32 v154, v0, 0
	v_mbcnt_hi_u32_b32 v154, v1, v154
	v_cmp_ne_u64_e32 vcc, 0, v[0:1]
	v_cmp_eq_u32_e64 s[78:79], 0, v154
	s_and_b64 vcc, vcc, s[78:79]
	; wave barrier
	s_and_saveexec_b64 s[78:79], vcc
	s_cbranch_execz .LBB68_18
; %bb.17:                               ;   in Loop: Header=BB68_2 Depth=1
	v_bcnt_u32_b32 v0, v0, 0
	v_bcnt_u32_b32 v0, v1, v0
	s_waitcnt lgkmcnt(0)
	v_add_u32_e32 v0, v153, v0
	ds_write_b32 v152, v0 offset:16
.LBB68_18:                              ;   in Loop: Header=BB68_2 Depth=1
	s_or_b64 exec, exec, s[78:79]
	; wave barrier
	s_waitcnt lgkmcnt(0)
	s_barrier
	ds_read_b32 v0, v2 offset:16
	s_waitcnt lgkmcnt(0)
	s_nop 0
	v_mov_b32_dpp v1, v0 row_shr:1 row_mask:0xf bank_mask:0xf
	v_cndmask_b32_e64 v1, v1, 0, s[70:71]
	v_add_u32_e32 v0, v1, v0
	s_nop 1
	v_mov_b32_dpp v1, v0 row_shr:2 row_mask:0xf bank_mask:0xf
	v_cndmask_b32_e64 v1, 0, v1, s[0:1]
	v_add_u32_e32 v0, v0, v1
	;; [unrolled: 4-line block ×4, first 2 shown]
	s_nop 1
	v_mov_b32_dpp v1, v0 row_bcast:15 row_mask:0xf bank_mask:0xf
	v_cndmask_b32_e64 v1, v1, 0, s[6:7]
	v_add_u32_e32 v0, v0, v1
	s_nop 1
	v_mov_b32_dpp v1, v0 row_bcast:31 row_mask:0xf bank_mask:0xf
	v_cndmask_b32_e64 v1, 0, v1, s[8:9]
	v_add_u32_e32 v0, v0, v1
	s_and_saveexec_b64 s[78:79], s[10:11]
; %bb.19:                               ;   in Loop: Header=BB68_2 Depth=1
	ds_write_b32 v9, v0
; %bb.20:                               ;   in Loop: Header=BB68_2 Depth=1
	s_or_b64 exec, exec, s[78:79]
	s_waitcnt lgkmcnt(0)
	s_barrier
	s_and_saveexec_b64 s[78:79], s[12:13]
	s_cbranch_execz .LBB68_22
; %bb.21:                               ;   in Loop: Header=BB68_2 Depth=1
	ds_read_b32 v1, v2
	v_readlane_b32 vcc_lo, v170, 6
	v_readlane_b32 vcc_hi, v170, 7
	s_waitcnt lgkmcnt(0)
	v_mov_b32_dpp v153, v1 row_shr:1 row_mask:0xf bank_mask:0xf
	v_cndmask_b32_e64 v153, v153, 0, vcc
	v_add_u32_e32 v1, v153, v1
	v_readlane_b32 vcc_lo, v170, 8
	v_readlane_b32 vcc_hi, v170, 9
	v_mov_b32_dpp v153, v1 row_shr:2 row_mask:0xf bank_mask:0xf
	v_cndmask_b32_e32 v153, 0, v153, vcc
	v_add_u32_e32 v1, v1, v153
	ds_write_b32 v2, v1
.LBB68_22:                              ;   in Loop: Header=BB68_2 Depth=1
	s_or_b64 exec, exec, s[78:79]
	v_mov_b32_e32 v1, 0
	s_waitcnt lgkmcnt(0)
	s_barrier
	s_and_saveexec_b64 s[78:79], s[14:15]
; %bb.23:                               ;   in Loop: Header=BB68_2 Depth=1
	ds_read_b32 v1, v11
; %bb.24:                               ;   in Loop: Header=BB68_2 Depth=1
	s_or_b64 exec, exec, s[78:79]
	s_waitcnt lgkmcnt(0)
	v_add_u32_e32 v0, v1, v0
	ds_bpermute_b32 v0, v8, v0
	v_cndmask_b32_e64 v153, 0, 1, s[90:91]
	s_waitcnt lgkmcnt(0)
	v_cndmask_b32_e64 v0, v0, v1, s[16:17]
	ds_write_b32 v2, v0 offset:16
	v_cndmask_b32_e64 v0, 0, 1, s[88:89]
	v_cmp_ne_u32_e32 vcc, 0, v0
	v_xor_b32_e32 v0, vcc_hi, v78
	v_xor_b32_e32 v1, vcc_lo, v77
	v_cmp_ne_u32_e32 vcc, 0, v153
	v_and_b32_e32 v0, exec_hi, v0
	v_xor_b32_e32 v153, vcc_hi, v80
	v_and_b32_e32 v0, v0, v153
	v_cndmask_b32_e64 v153, 0, 1, s[92:93]
	v_and_b32_e32 v1, exec_lo, v1
	v_xor_b32_e32 v154, vcc_lo, v79
	v_cmp_ne_u32_e32 vcc, 0, v153
	v_and_b32_e32 v1, v1, v154
	v_xor_b32_e32 v153, vcc_hi, v82
	v_xor_b32_e32 v154, vcc_lo, v81
	v_and_b32_e32 v0, v0, v153
	v_and_b32_e32 v153, v1, v154
	v_cndmask_b32_e64 v1, 0, 1, s[94:95]
	v_cmp_ne_u32_e32 vcc, 0, v1
	v_xor_b32_e32 v1, vcc_hi, v84
	v_xor_b32_e32 v154, vcc_lo, v83
	v_and_b32_e32 v1, v0, v1
	v_and_b32_e32 v0, v153, v154
	v_mbcnt_lo_u32_b32 v153, v0, 0
	v_mbcnt_hi_u32_b32 v153, v1, v153
	v_cmp_ne_u64_e32 vcc, 0, v[0:1]
	v_cmp_eq_u32_e64 s[78:79], 0, v153
	s_and_b64 vcc, vcc, s[78:79]
	s_waitcnt lgkmcnt(0)
	s_barrier
	ds_write_b32 v2, v3 offset:16
	s_waitcnt lgkmcnt(0)
	s_barrier
	; wave barrier
	s_and_saveexec_b64 s[78:79], vcc
; %bb.25:                               ;   in Loop: Header=BB68_2 Depth=1
	v_bcnt_u32_b32 v0, v0, 0
	v_bcnt_u32_b32 v0, v1, v0
	v_add_u32_e32 v1, v10, v76
	ds_write_b32 v1, v0 offset:16
; %bb.26:                               ;   in Loop: Header=BB68_2 Depth=1
	s_or_b64 exec, exec, s[78:79]
	v_cndmask_b32_e64 v0, 0, 1, s[18:19]
	v_cmp_ne_u32_e32 vcc, 0, v0
	v_cndmask_b32_e64 v155, 0, 1, s[20:21]
	v_xor_b32_e32 v0, vcc_hi, v86
	v_xor_b32_e32 v1, vcc_lo, v85
	v_cmp_ne_u32_e32 vcc, 0, v155
	v_and_b32_e32 v0, exec_hi, v0
	v_xor_b32_e32 v155, vcc_hi, v88
	v_and_b32_e32 v0, v0, v155
	v_cndmask_b32_e64 v155, 0, 1, s[22:23]
	v_and_b32_e32 v1, exec_lo, v1
	v_xor_b32_e32 v156, vcc_lo, v87
	v_cmp_ne_u32_e32 vcc, 0, v155
	v_and_b32_e32 v1, v1, v156
	v_xor_b32_e32 v155, vcc_hi, v90
	v_xor_b32_e32 v156, vcc_lo, v89
	v_and_b32_e32 v0, v0, v155
	v_and_b32_e32 v155, v1, v156
	v_cndmask_b32_e64 v1, 0, 1, s[24:25]
	v_cmp_ne_u32_e32 vcc, 0, v1
	v_xor_b32_e32 v1, vcc_hi, v92
	v_xor_b32_e32 v156, vcc_lo, v91
	; wave barrier
	ds_read_b32 v154, v132 offset:16
	v_and_b32_e32 v1, v0, v1
	v_and_b32_e32 v0, v155, v156
	v_mbcnt_lo_u32_b32 v155, v0, 0
	v_mbcnt_hi_u32_b32 v155, v1, v155
	v_cmp_ne_u64_e32 vcc, 0, v[0:1]
	v_cmp_eq_u32_e64 s[78:79], 0, v155
	s_and_b64 vcc, vcc, s[78:79]
	; wave barrier
	s_and_saveexec_b64 s[78:79], vcc
	s_cbranch_execz .LBB68_28
; %bb.27:                               ;   in Loop: Header=BB68_2 Depth=1
	v_bcnt_u32_b32 v0, v0, 0
	v_bcnt_u32_b32 v0, v1, v0
	s_waitcnt lgkmcnt(0)
	v_add_u32_e32 v0, v154, v0
	ds_write_b32 v132, v0 offset:16
.LBB68_28:                              ;   in Loop: Header=BB68_2 Depth=1
	s_or_b64 exec, exec, s[78:79]
	v_cndmask_b32_e64 v0, 0, 1, s[26:27]
	v_cmp_ne_u32_e32 vcc, 0, v0
	v_cndmask_b32_e64 v157, 0, 1, s[28:29]
	v_xor_b32_e32 v0, vcc_hi, v94
	v_xor_b32_e32 v1, vcc_lo, v93
	v_cmp_ne_u32_e32 vcc, 0, v157
	v_and_b32_e32 v0, exec_hi, v0
	v_xor_b32_e32 v157, vcc_hi, v96
	v_and_b32_e32 v0, v0, v157
	v_cndmask_b32_e64 v157, 0, 1, s[30:31]
	v_and_b32_e32 v1, exec_lo, v1
	v_xor_b32_e32 v158, vcc_lo, v95
	v_cmp_ne_u32_e32 vcc, 0, v157
	v_and_b32_e32 v1, v1, v158
	v_xor_b32_e32 v157, vcc_hi, v98
	v_xor_b32_e32 v158, vcc_lo, v97
	v_and_b32_e32 v0, v0, v157
	v_and_b32_e32 v157, v1, v158
	v_cndmask_b32_e64 v1, 0, 1, s[34:35]
	v_cmp_ne_u32_e32 vcc, 0, v1
	v_xor_b32_e32 v1, vcc_hi, v100
	v_xor_b32_e32 v158, vcc_lo, v99
	; wave barrier
	ds_read_b32 v156, v141 offset:16
	v_and_b32_e32 v1, v0, v1
	v_and_b32_e32 v0, v157, v158
	v_mbcnt_lo_u32_b32 v157, v0, 0
	v_mbcnt_hi_u32_b32 v157, v1, v157
	v_cmp_ne_u64_e32 vcc, 0, v[0:1]
	v_cmp_eq_u32_e64 s[78:79], 0, v157
	s_and_b64 vcc, vcc, s[78:79]
	; wave barrier
	s_and_saveexec_b64 s[78:79], vcc
	s_cbranch_execz .LBB68_30
; %bb.29:                               ;   in Loop: Header=BB68_2 Depth=1
	v_bcnt_u32_b32 v0, v0, 0
	v_bcnt_u32_b32 v0, v1, v0
	s_waitcnt lgkmcnt(0)
	v_add_u32_e32 v0, v156, v0
	ds_write_b32 v141, v0 offset:16
.LBB68_30:                              ;   in Loop: Header=BB68_2 Depth=1
	;; [unrolled: 42-line block ×7, first 2 shown]
	s_or_b64 exec, exec, s[78:79]
	; wave barrier
	s_waitcnt lgkmcnt(0)
	s_barrier
	ds_read_b32 v0, v2 offset:16
	s_waitcnt lgkmcnt(0)
	s_nop 0
	v_mov_b32_dpp v1, v0 row_shr:1 row_mask:0xf bank_mask:0xf
	v_cndmask_b32_e64 v1, v1, 0, s[70:71]
	v_add_u32_e32 v0, v1, v0
	s_nop 1
	v_mov_b32_dpp v1, v0 row_shr:2 row_mask:0xf bank_mask:0xf
	v_cndmask_b32_e64 v1, 0, v1, s[0:1]
	v_add_u32_e32 v0, v0, v1
	;; [unrolled: 4-line block ×4, first 2 shown]
	s_nop 1
	v_mov_b32_dpp v1, v0 row_bcast:15 row_mask:0xf bank_mask:0xf
	v_cndmask_b32_e64 v1, v1, 0, s[6:7]
	v_add_u32_e32 v0, v0, v1
	s_nop 1
	v_mov_b32_dpp v1, v0 row_bcast:31 row_mask:0xf bank_mask:0xf
	v_cndmask_b32_e64 v1, 0, v1, s[8:9]
	v_add_u32_e32 v0, v0, v1
	s_and_saveexec_b64 s[78:79], s[10:11]
; %bb.41:                               ;   in Loop: Header=BB68_2 Depth=1
	ds_write_b32 v9, v0
; %bb.42:                               ;   in Loop: Header=BB68_2 Depth=1
	s_or_b64 exec, exec, s[78:79]
	s_waitcnt lgkmcnt(0)
	s_barrier
	s_and_saveexec_b64 s[78:79], s[12:13]
	s_cbranch_execz .LBB68_44
; %bb.43:                               ;   in Loop: Header=BB68_2 Depth=1
	ds_read_b32 v1, v2
	v_readlane_b32 vcc_lo, v170, 6
	v_readlane_b32 vcc_hi, v170, 7
	s_waitcnt lgkmcnt(0)
	v_mov_b32_dpp v168, v1 row_shr:1 row_mask:0xf bank_mask:0xf
	v_cndmask_b32_e64 v168, v168, 0, vcc
	v_add_u32_e32 v1, v168, v1
	v_readlane_b32 vcc_lo, v170, 8
	v_readlane_b32 vcc_hi, v170, 9
	v_mov_b32_dpp v168, v1 row_shr:2 row_mask:0xf bank_mask:0xf
	v_cndmask_b32_e32 v168, 0, v168, vcc
	v_add_u32_e32 v1, v1, v168
	ds_write_b32 v2, v1
.LBB68_44:                              ;   in Loop: Header=BB68_2 Depth=1
	s_or_b64 exec, exec, s[78:79]
	v_mov_b32_e32 v1, 0
	s_waitcnt lgkmcnt(0)
	s_barrier
	s_and_saveexec_b64 s[78:79], s[14:15]
	s_cbranch_execz .LBB68_1
; %bb.45:                               ;   in Loop: Header=BB68_2 Depth=1
	ds_read_b32 v1, v11
	s_branch .LBB68_1
.LBB68_46:
	v_add_u32_e32 v0, v10, v76
	ds_read_b32 v4, v149 offset:16
	ds_read_b32 v3, v143 offset:16
	;; [unrolled: 1-line block ×8, first 2 shown]
	v_readlane_b32 s0, v170, 0
	v_readlane_b32 s4, v170, 2
	;; [unrolled: 1-line block ×5, first 2 shown]
	s_lshl_b64 s[0:1], s[0:1], 2
	s_mov_b64 s[2:3], s[6:7]
	s_add_u32 s0, s2, s0
	s_waitcnt lgkmcnt(4)
	v_add_u32_e32 v0, v0, v153
	s_waitcnt lgkmcnt(3)
	v_add3_u32 v1, v155, v154, v1
	v_add3_u32 v2, v157, v156, v2
	;; [unrolled: 1-line block ×4, first 2 shown]
	s_addc_u32 s1, s3, s1
	v_lshlrev_b32_e32 v4, 2, v7
	s_waitcnt lgkmcnt(0)
	v_add3_u32 v8, v161, v160, v8
	v_add3_u32 v9, v163, v162, v6
	;; [unrolled: 1-line block ×3, first 2 shown]
	v_readlane_b32 s5, v170, 3
	global_store_dwordx4 v4, v[0:3], s[0:1]
	global_store_dwordx4 v4, v[8:11], s[0:1] offset:16
	s_endpgm
	.section	.rodata,"a",@progbits
	.p2align	6, 0x0
	.amdhsa_kernel _Z11rank_kernelIhLj4ELb0EL18RadixRankAlgorithm2ELj256ELj8ELj10EEvPKT_Pi
		.amdhsa_group_segment_fixed_size 1040
		.amdhsa_private_segment_fixed_size 0
		.amdhsa_kernarg_size 272
		.amdhsa_user_sgpr_count 6
		.amdhsa_user_sgpr_private_segment_buffer 1
		.amdhsa_user_sgpr_dispatch_ptr 0
		.amdhsa_user_sgpr_queue_ptr 0
		.amdhsa_user_sgpr_kernarg_segment_ptr 1
		.amdhsa_user_sgpr_dispatch_id 0
		.amdhsa_user_sgpr_flat_scratch_init 0
		.amdhsa_user_sgpr_private_segment_size 0
		.amdhsa_uses_dynamic_stack 0
		.amdhsa_system_sgpr_private_segment_wavefront_offset 0
		.amdhsa_system_sgpr_workgroup_id_x 1
		.amdhsa_system_sgpr_workgroup_id_y 0
		.amdhsa_system_sgpr_workgroup_id_z 0
		.amdhsa_system_sgpr_workgroup_info 0
		.amdhsa_system_vgpr_workitem_id 2
		.amdhsa_next_free_vgpr 171
		.amdhsa_next_free_sgpr 96
		.amdhsa_reserve_vcc 1
		.amdhsa_reserve_flat_scratch 0
		.amdhsa_float_round_mode_32 0
		.amdhsa_float_round_mode_16_64 0
		.amdhsa_float_denorm_mode_32 3
		.amdhsa_float_denorm_mode_16_64 3
		.amdhsa_dx10_clamp 1
		.amdhsa_ieee_mode 1
		.amdhsa_fp16_overflow 0
		.amdhsa_exception_fp_ieee_invalid_op 0
		.amdhsa_exception_fp_denorm_src 0
		.amdhsa_exception_fp_ieee_div_zero 0
		.amdhsa_exception_fp_ieee_overflow 0
		.amdhsa_exception_fp_ieee_underflow 0
		.amdhsa_exception_fp_ieee_inexact 0
		.amdhsa_exception_int_div_zero 0
	.end_amdhsa_kernel
	.section	.text._Z11rank_kernelIhLj4ELb0EL18RadixRankAlgorithm2ELj256ELj8ELj10EEvPKT_Pi,"axG",@progbits,_Z11rank_kernelIhLj4ELb0EL18RadixRankAlgorithm2ELj256ELj8ELj10EEvPKT_Pi,comdat
.Lfunc_end68:
	.size	_Z11rank_kernelIhLj4ELb0EL18RadixRankAlgorithm2ELj256ELj8ELj10EEvPKT_Pi, .Lfunc_end68-_Z11rank_kernelIhLj4ELb0EL18RadixRankAlgorithm2ELj256ELj8ELj10EEvPKT_Pi
                                        ; -- End function
	.set _Z11rank_kernelIhLj4ELb0EL18RadixRankAlgorithm2ELj256ELj8ELj10EEvPKT_Pi.num_vgpr, 171
	.set _Z11rank_kernelIhLj4ELb0EL18RadixRankAlgorithm2ELj256ELj8ELj10EEvPKT_Pi.num_agpr, 0
	.set _Z11rank_kernelIhLj4ELb0EL18RadixRankAlgorithm2ELj256ELj8ELj10EEvPKT_Pi.numbered_sgpr, 96
	.set _Z11rank_kernelIhLj4ELb0EL18RadixRankAlgorithm2ELj256ELj8ELj10EEvPKT_Pi.num_named_barrier, 0
	.set _Z11rank_kernelIhLj4ELb0EL18RadixRankAlgorithm2ELj256ELj8ELj10EEvPKT_Pi.private_seg_size, 0
	.set _Z11rank_kernelIhLj4ELb0EL18RadixRankAlgorithm2ELj256ELj8ELj10EEvPKT_Pi.uses_vcc, 1
	.set _Z11rank_kernelIhLj4ELb0EL18RadixRankAlgorithm2ELj256ELj8ELj10EEvPKT_Pi.uses_flat_scratch, 0
	.set _Z11rank_kernelIhLj4ELb0EL18RadixRankAlgorithm2ELj256ELj8ELj10EEvPKT_Pi.has_dyn_sized_stack, 0
	.set _Z11rank_kernelIhLj4ELb0EL18RadixRankAlgorithm2ELj256ELj8ELj10EEvPKT_Pi.has_recursion, 0
	.set _Z11rank_kernelIhLj4ELb0EL18RadixRankAlgorithm2ELj256ELj8ELj10EEvPKT_Pi.has_indirect_call, 0
	.section	.AMDGPU.csdata,"",@progbits
; Kernel info:
; codeLenInByte = 7328
; TotalNumSgprs: 100
; NumVgprs: 171
; ScratchSize: 0
; MemoryBound: 0
; FloatMode: 240
; IeeeMode: 1
; LDSByteSize: 1040 bytes/workgroup (compile time only)
; SGPRBlocks: 12
; VGPRBlocks: 42
; NumSGPRsForWavesPerEU: 100
; NumVGPRsForWavesPerEU: 171
; Occupancy: 1
; WaveLimiterHint : 0
; COMPUTE_PGM_RSRC2:SCRATCH_EN: 0
; COMPUTE_PGM_RSRC2:USER_SGPR: 6
; COMPUTE_PGM_RSRC2:TRAP_HANDLER: 0
; COMPUTE_PGM_RSRC2:TGID_X_EN: 1
; COMPUTE_PGM_RSRC2:TGID_Y_EN: 0
; COMPUTE_PGM_RSRC2:TGID_Z_EN: 0
; COMPUTE_PGM_RSRC2:TIDIG_COMP_CNT: 2
	.section	.text._Z11rank_kernelIhLj4ELb0EL18RadixRankAlgorithm0ELj256ELj16ELj10EEvPKT_Pi,"axG",@progbits,_Z11rank_kernelIhLj4ELb0EL18RadixRankAlgorithm0ELj256ELj16ELj10EEvPKT_Pi,comdat
	.protected	_Z11rank_kernelIhLj4ELb0EL18RadixRankAlgorithm0ELj256ELj16ELj10EEvPKT_Pi ; -- Begin function _Z11rank_kernelIhLj4ELb0EL18RadixRankAlgorithm0ELj256ELj16ELj10EEvPKT_Pi
	.globl	_Z11rank_kernelIhLj4ELb0EL18RadixRankAlgorithm0ELj256ELj16ELj10EEvPKT_Pi
	.p2align	8
	.type	_Z11rank_kernelIhLj4ELb0EL18RadixRankAlgorithm0ELj256ELj16ELj10EEvPKT_Pi,@function
_Z11rank_kernelIhLj4ELb0EL18RadixRankAlgorithm0ELj256ELj16ELj10EEvPKT_Pi: ; @_Z11rank_kernelIhLj4ELb0EL18RadixRankAlgorithm0ELj256ELj16ELj10EEvPKT_Pi
; %bb.0:
	s_load_dwordx4 s[24:27], s[4:5], 0x0
	s_lshl_b32 s28, s6, 12
	v_lshlrev_b32_e32 v1, 4, v0
	v_mbcnt_lo_u32_b32 v4, -1, 0
	v_mbcnt_hi_u32_b32 v5, -1, v4
	s_waitcnt lgkmcnt(0)
	s_add_u32 s0, s24, s28
	s_addc_u32 s1, s25, 0
	global_load_dwordx4 v[34:37], v1, s[0:1]
	s_movk_i32 s22, 0x700
	v_or_b32_e32 v4, 63, v0
	v_lshrrev_b32_e32 v6, 4, v0
	v_and_b32_e32 v7, 15, v5
	v_and_b32_e32 v8, 16, v5
	v_subrev_co_u32_e64 v9, s[6:7], 1, v5
	v_and_b32_e32 v10, 64, v5
	v_cmp_eq_u32_e64 s[4:5], v0, v4
	v_and_b32_e32 v4, 12, v6
	v_and_b32_e32 v6, 3, v5
	v_cmp_eq_u32_e64 s[8:9], 0, v7
	v_cmp_lt_u32_e64 s[10:11], 1, v7
	v_cmp_lt_u32_e64 s[12:13], 3, v7
	;; [unrolled: 1-line block ×3, first 2 shown]
	v_cmp_eq_u32_e64 s[16:17], 0, v8
	v_cmp_lt_i32_e64 s[18:19], v9, v10
	v_cmp_lt_u32_e64 s[2:3], 31, v5
	v_cndmask_b32_e64 v5, v9, v5, s[18:19]
	v_cmp_eq_u32_e64 s[18:19], 0, v6
	v_cmp_lt_u32_e64 s[20:21], 1, v6
	s_mov_b32 s29, 0
	v_lshlrev_b32_e32 v3, 5, v0
	v_mul_i32_i24_e32 v39, 0xffffffe4, v0
	v_mov_b32_e32 v2, 0
	v_cmp_gt_u32_e32 vcc, 4, v0
	v_cmp_lt_u32_e64 s[0:1], 63, v0
	v_lshlrev_b32_e32 v5, 2, v5
	s_movk_i32 s30, 0x6ff
	v_add_u32_e32 v39, v3, v39
	s_mov_b32 s31, s29
	s_waitcnt vmcnt(0)
	v_lshlrev_b32_e32 v23, 8, v34
	v_lshlrev_b32_e32 v7, 20, v34
	v_and_or_b32 v8, v34, s22, v0
	v_lshrrev_b32_e32 v10, 8, v34
	v_lshlrev_b32_e32 v13, 20, v35
	v_and_or_b32 v14, v35, s22, v0
	v_lshrrev_b32_e32 v16, 8, v35
	v_lshrrev_b32_e32 v17, 16, v35
	v_lshlrev_b32_e32 v32, 8, v36
	v_lshlrev_b32_e32 v20, 20, v36
	v_and_or_b32 v21, v36, s22, v0
	v_lshlrev_b32_e32 v6, 28, v34
	v_lshlrev_b32_e32 v9, 12, v34
	;; [unrolled: 1-line block ×4, first 2 shown]
	v_lshrrev_b32_e32 v24, 8, v36
	v_and_or_b32 v27, v23, s22, v0
	v_alignbit_b32 v7, v8, v7, 31
	v_and_or_b32 v8, v10, s22, v0
	v_alignbit_b32 v13, v14, v13, 31
	v_and_or_b32 v14, v16, s22, v0
	v_and_or_b32 v16, v17, s22, v0
	;; [unrolled: 1-line block ×3, first 2 shown]
	v_alignbit_b32 v20, v21, v20, 31
	v_lshlrev_b32_e32 v38, 8, v37
	v_lshlrev_b32_e32 v26, 4, v35
	;; [unrolled: 1-line block ×3, first 2 shown]
	v_and_or_b32 v21, v24, s22, v0
	v_alignbit_b32 v24, v27, v6, 31
	v_lshlrev_b32_e32 v6, 1, v7
	v_alignbit_b32 v27, v8, v9, 31
	v_lshlrev_b32_e32 v7, 1, v13
	v_alignbit_b32 v13, v14, v15, 31
	v_alignbit_b32 v15, v17, v18, 31
	v_lshlrev_b32_e32 v8, 1, v20
	v_lshlrev_b32_e32 v18, 28, v37
	v_and_or_b32 v20, v38, s22, v0
	v_alignbit_b32 v14, v16, v26, 31
	v_alignbit_b32 v16, v21, v22, 31
	;; [unrolled: 1-line block ×3, first 2 shown]
	v_lshlrev_b32_e32 v20, 20, v37
	v_and_or_b32 v21, v37, s22, v0
	v_lshrrev_b32_e32 v22, 8, v37
	v_alignbit_b32 v20, v21, v20, 31
	v_lshlrev_b32_e32 v21, 12, v37
	v_and_or_b32 v22, v22, s22, v0
	v_alignbit_b32 v21, v22, v21, 31
	v_lshrrev_b32_e32 v11, 16, v34
	v_lshlrev_b32_e32 v22, 1, v21
	v_lshrrev_b32_e32 v21, 16, v37
	v_lshlrev_b32_e32 v19, 4, v34
	v_lshlrev_b32_e32 v28, 8, v35
	v_lshrrev_b32_e32 v25, 16, v36
	v_and_or_b32 v10, v11, s22, v0
	v_and_or_b32 v21, v21, s22, v0
	v_lshlrev_b32_e32 v40, 4, v37
	v_lshlrev_b32_e32 v12, 28, v35
	v_and_or_b32 v11, v28, s22, v0
	v_alignbit_b32 v29, v10, v19, 31
	v_and_or_b32 v17, v25, s22, v0
	v_lshlrev_b32_e32 v30, 4, v36
	v_alignbit_b32 v21, v21, v40, 31
	v_alignbit_b32 v12, v11, v12, 31
	v_lshlrev_b32_e32 v9, 1, v24
	v_lshlrev_b32_e32 v10, 1, v27
	;; [unrolled: 1-line block ×3, first 2 shown]
	v_alignbit_b32 v17, v17, v30, 31
	v_lshlrev_b32_e32 v24, 1, v21
	v_lshlrev_b32_e32 v21, 24, v34
	v_and_or_b32 v19, v19, s22, v0
	v_lshrrev_b32_e32 v25, 4, v34
	v_lshlrev_b32_e32 v27, 24, v35
	v_and_or_b32 v26, v26, s22, v0
	v_lshrrev_b32_e32 v29, 4, v35
	;; [unrolled: 3-line block ×3, first 2 shown]
	v_alignbit_b32 v19, v19, v21, 31
	v_lshlrev_b32_e32 v21, 16, v34
	v_and_or_b32 v25, v25, s22, v0
	v_alignbit_b32 v26, v26, v27, 31
	v_lshlrev_b32_e32 v27, 16, v35
	v_and_or_b32 v29, v29, s22, v0
	;; [unrolled: 3-line block ×3, first 2 shown]
	v_alignbit_b32 v21, v25, v21, 31
	v_lshrrev_b32_e32 v25, 12, v34
	v_alignbit_b32 v27, v29, v27, 31
	v_lshrrev_b32_e32 v29, 12, v35
	;; [unrolled: 2-line block ×3, first 2 shown]
	v_and_or_b32 v25, v25, s22, v0
	v_and_or_b32 v29, v29, s22, v0
	;; [unrolled: 1-line block ×3, first 2 shown]
	v_alignbit_b32 v23, v25, v23, 31
	v_lshrrev_b32_e32 v25, 20, v34
	v_alignbit_b32 v28, v29, v28, 31
	v_lshrrev_b32_e32 v29, 20, v35
	;; [unrolled: 2-line block ×3, first 2 shown]
	v_and_or_b32 v25, v25, s22, v0
	v_and_or_b32 v29, v29, s22, v0
	;; [unrolled: 1-line block ×3, first 2 shown]
	v_alignbit_b32 v25, v25, v34, 31
	v_alignbit_b32 v29, v29, v35, 31
	;; [unrolled: 1-line block ×3, first 2 shown]
	v_lshlrev_b32_e32 v34, 24, v37
	v_and_or_b32 v35, v40, s22, v0
	v_lshrrev_b32_e32 v36, 4, v37
	v_alignbit_b32 v34, v35, v34, 31
	v_lshlrev_b32_e32 v35, 16, v37
	v_and_or_b32 v36, v36, s22, v0
	v_alignbit_b32 v35, v36, v35, 31
	v_lshrrev_b32_e32 v36, 12, v37
	v_and_or_b32 v36, v36, s22, v0
	v_alignbit_b32 v36, v36, v38, 31
	v_lshrrev_b32_e32 v38, 20, v37
	v_and_or_b32 v38, v38, s22, v0
	v_alignbit_b32 v37, v38, v37, 31
	v_lshlrev_b32_e32 v12, 1, v12
	v_lshlrev_b32_e32 v13, 1, v13
	;; [unrolled: 1-line block ×25, first 2 shown]
	v_or_b32_e32 v0, 0xffffff00, v0
	s_branch .LBB69_2
.LBB69_1:                               ;   in Loop: Header=BB69_2 Depth=1
	s_or_b64 exec, exec, s[22:23]
	s_waitcnt lgkmcnt(0)
	v_add_u32_e32 v56, v57, v56
	ds_bpermute_b32 v56, v5, v56
	s_add_i32 s31, s31, 1
	s_cmp_eq_u32 s31, 10
	s_waitcnt lgkmcnt(0)
	v_cndmask_b32_e64 v56, v56, v57, s[6:7]
	ds_read_b32 v57, v2 offset:8204
	s_waitcnt lgkmcnt(0)
	v_lshl_add_u32 v60, v57, 16, v56
	ds_read2_b64 v[56:59], v3 offset1:1
	s_waitcnt lgkmcnt(0)
	v_add_u32_e32 v61, v60, v56
	v_add_u32_e32 v56, v57, v61
	;; [unrolled: 1-line block ×3, first 2 shown]
	ds_write2_b64 v3, v[60:61], v[56:57] offset1:1
	v_add_u32_e32 v56, v59, v57
	ds_read_b64 v[57:58], v3 offset:16
	ds_read_b32 v59, v3 offset:24
	s_waitcnt lgkmcnt(1)
	v_add_u32_e32 v57, v57, v56
	v_add_u32_e32 v58, v58, v57
	s_waitcnt lgkmcnt(0)
	v_add_u32_e32 v59, v59, v58
	ds_write2_b64 v3, v[56:57], v[58:59] offset0:2 offset1:3
	s_waitcnt lgkmcnt(0)
	s_barrier
	s_cbranch_scc1 .LBB69_18
.LBB69_2:                               ; =>This Loop Header: Depth=1
                                        ;     Child Loop BB69_3 Depth 2
                                        ;     Child Loop BB69_11 Depth 2
	s_mov_b64 s[24:25], 0
	v_mov_b32_e32 v40, v0
	v_mov_b32_e32 v41, v38
.LBB69_3:                               ;   Parent Loop BB69_2 Depth=1
                                        ; =>  This Inner Loop Header: Depth=2
	v_add_u32_e32 v40, 0x100, v40
	v_cmp_lt_u32_e64 s[22:23], s30, v40
	ds_write_b32 v41, v2
	s_or_b64 s[24:25], s[22:23], s[24:25]
	v_add_u32_e32 v41, 0x400, v41
	s_andn2_b64 exec, exec, s[24:25]
	s_cbranch_execnz .LBB69_3
; %bb.4:                                ;   in Loop: Header=BB69_2 Depth=1
	s_or_b64 exec, exec, s[24:25]
	ds_read_u16 v40, v9
	s_waitcnt lgkmcnt(0)
	v_add_u16_e32 v40, 1, v40
	ds_write_b16 v9, v40
	ds_read_u16 v40, v6
	s_waitcnt lgkmcnt(0)
	v_add_u16_e32 v40, 1, v40
	ds_write_b16 v6, v40
	;; [unrolled: 4-line block ×16, first 2 shown]
	s_waitcnt lgkmcnt(0)
	s_barrier
	ds_read2_b64 v[40:43], v3 offset1:1
	s_waitcnt lgkmcnt(0)
	v_add_u32_e32 v40, v41, v40
	v_add3_u32 v44, v40, v42, v43
	ds_read2_b64 v[40:43], v3 offset0:2 offset1:3
	s_waitcnt lgkmcnt(0)
	v_add3_u32 v40, v44, v40, v41
	v_add3_u32 v40, v40, v42, v43
	s_nop 1
	v_mov_b32_dpp v41, v40 row_shr:1 row_mask:0xf bank_mask:0xf
	v_cndmask_b32_e64 v41, v41, 0, s[8:9]
	v_add_u32_e32 v40, v41, v40
	s_nop 1
	v_mov_b32_dpp v41, v40 row_shr:2 row_mask:0xf bank_mask:0xf
	v_cndmask_b32_e64 v41, 0, v41, s[10:11]
	v_add_u32_e32 v40, v40, v41
	;; [unrolled: 4-line block ×4, first 2 shown]
	s_nop 1
	v_mov_b32_dpp v41, v40 row_bcast:15 row_mask:0xf bank_mask:0xf
	v_cndmask_b32_e64 v41, v41, 0, s[16:17]
	v_add_u32_e32 v40, v40, v41
	s_nop 1
	v_mov_b32_dpp v41, v40 row_bcast:31 row_mask:0xf bank_mask:0xf
	v_cndmask_b32_e64 v41, 0, v41, s[2:3]
	v_add_u32_e32 v40, v40, v41
	s_and_saveexec_b64 s[22:23], s[4:5]
; %bb.5:                                ;   in Loop: Header=BB69_2 Depth=1
	ds_write_b32 v4, v40 offset:8192
; %bb.6:                                ;   in Loop: Header=BB69_2 Depth=1
	s_or_b64 exec, exec, s[22:23]
	s_waitcnt lgkmcnt(0)
	s_barrier
	s_and_saveexec_b64 s[22:23], vcc
	s_cbranch_execz .LBB69_8
; %bb.7:                                ;   in Loop: Header=BB69_2 Depth=1
	ds_read_b32 v41, v39 offset:8192
	s_waitcnt lgkmcnt(0)
	s_nop 0
	v_mov_b32_dpp v42, v41 row_shr:1 row_mask:0xf bank_mask:0xf
	v_cndmask_b32_e64 v42, v42, 0, s[18:19]
	v_add_u32_e32 v41, v42, v41
	s_nop 1
	v_mov_b32_dpp v42, v41 row_shr:2 row_mask:0xf bank_mask:0xf
	v_cndmask_b32_e64 v42, 0, v42, s[20:21]
	v_add_u32_e32 v41, v41, v42
	ds_write_b32 v39, v41 offset:8192
.LBB69_8:                               ;   in Loop: Header=BB69_2 Depth=1
	s_or_b64 exec, exec, s[22:23]
	v_mov_b32_e32 v41, 0
	s_waitcnt lgkmcnt(0)
	s_barrier
	s_and_saveexec_b64 s[22:23], s[0:1]
; %bb.9:                                ;   in Loop: Header=BB69_2 Depth=1
	ds_read_b32 v41, v4 offset:8188
; %bb.10:                               ;   in Loop: Header=BB69_2 Depth=1
	s_or_b64 exec, exec, s[22:23]
	s_waitcnt lgkmcnt(0)
	v_add_u32_e32 v40, v41, v40
	ds_bpermute_b32 v40, v5, v40
	s_mov_b64 s[24:25], 0
	s_waitcnt lgkmcnt(0)
	v_cndmask_b32_e64 v40, v40, v41, s[6:7]
	ds_read_b32 v41, v2 offset:8204
	s_waitcnt lgkmcnt(0)
	v_lshl_add_u32 v44, v41, 16, v40
	ds_read2_b64 v[40:43], v3 offset1:1
	s_waitcnt lgkmcnt(0)
	v_add_u32_e32 v45, v44, v40
	v_add_u32_e32 v40, v41, v45
	;; [unrolled: 1-line block ×3, first 2 shown]
	ds_write2_b64 v3, v[44:45], v[40:41] offset1:1
	v_add_u32_e32 v40, v43, v41
	ds_read_b64 v[41:42], v3 offset:16
	ds_read_b32 v43, v3 offset:24
	s_waitcnt lgkmcnt(1)
	v_add_u32_e32 v41, v41, v40
	v_add_u32_e32 v42, v42, v41
	s_waitcnt lgkmcnt(0)
	v_add_u32_e32 v43, v43, v42
	ds_write2_b64 v3, v[40:41], v[42:43] offset0:2 offset1:3
	v_mov_b32_e32 v40, v38
	v_mov_b32_e32 v41, v0
	s_waitcnt lgkmcnt(0)
	s_barrier
.LBB69_11:                              ;   Parent Loop BB69_2 Depth=1
                                        ; =>  This Inner Loop Header: Depth=2
	v_add_u32_e32 v41, 0x100, v41
	v_cmp_lt_u32_e64 s[22:23], s30, v41
	ds_write_b32 v40, v2
	s_or_b64 s[24:25], s[22:23], s[24:25]
	v_add_u32_e32 v40, 0x400, v40
	s_andn2_b64 exec, exec, s[24:25]
	s_cbranch_execnz .LBB69_11
; %bb.12:                               ;   in Loop: Header=BB69_2 Depth=1
	s_or_b64 exec, exec, s[24:25]
	ds_read_u16 v40, v19
	s_waitcnt lgkmcnt(0)
	v_add_u16_e32 v41, 1, v40
	ds_write_b16 v19, v41
	ds_read_u16 v41, v21
	s_waitcnt lgkmcnt(0)
	v_add_u16_e32 v42, 1, v41
	ds_write_b16 v21, v42
	;; [unrolled: 4-line block ×16, first 2 shown]
	s_waitcnt lgkmcnt(0)
	s_barrier
	ds_read2_b64 v[56:59], v3 offset1:1
	s_waitcnt lgkmcnt(0)
	v_add_u32_e32 v56, v57, v56
	v_add3_u32 v60, v56, v58, v59
	ds_read2_b64 v[56:59], v3 offset0:2 offset1:3
	s_waitcnt lgkmcnt(0)
	v_add3_u32 v56, v60, v56, v57
	v_add3_u32 v56, v56, v58, v59
	s_nop 1
	v_mov_b32_dpp v57, v56 row_shr:1 row_mask:0xf bank_mask:0xf
	v_cndmask_b32_e64 v57, v57, 0, s[8:9]
	v_add_u32_e32 v56, v57, v56
	s_nop 1
	v_mov_b32_dpp v57, v56 row_shr:2 row_mask:0xf bank_mask:0xf
	v_cndmask_b32_e64 v57, 0, v57, s[10:11]
	v_add_u32_e32 v56, v56, v57
	;; [unrolled: 4-line block ×4, first 2 shown]
	s_nop 1
	v_mov_b32_dpp v57, v56 row_bcast:15 row_mask:0xf bank_mask:0xf
	v_cndmask_b32_e64 v57, v57, 0, s[16:17]
	v_add_u32_e32 v56, v56, v57
	s_nop 1
	v_mov_b32_dpp v57, v56 row_bcast:31 row_mask:0xf bank_mask:0xf
	v_cndmask_b32_e64 v57, 0, v57, s[2:3]
	v_add_u32_e32 v56, v56, v57
	s_and_saveexec_b64 s[22:23], s[4:5]
; %bb.13:                               ;   in Loop: Header=BB69_2 Depth=1
	ds_write_b32 v4, v56 offset:8192
; %bb.14:                               ;   in Loop: Header=BB69_2 Depth=1
	s_or_b64 exec, exec, s[22:23]
	s_waitcnt lgkmcnt(0)
	s_barrier
	s_and_saveexec_b64 s[22:23], vcc
	s_cbranch_execz .LBB69_16
; %bb.15:                               ;   in Loop: Header=BB69_2 Depth=1
	ds_read_b32 v57, v39 offset:8192
	s_waitcnt lgkmcnt(0)
	s_nop 0
	v_mov_b32_dpp v58, v57 row_shr:1 row_mask:0xf bank_mask:0xf
	v_cndmask_b32_e64 v58, v58, 0, s[18:19]
	v_add_u32_e32 v57, v58, v57
	s_nop 1
	v_mov_b32_dpp v58, v57 row_shr:2 row_mask:0xf bank_mask:0xf
	v_cndmask_b32_e64 v58, 0, v58, s[20:21]
	v_add_u32_e32 v57, v57, v58
	ds_write_b32 v39, v57 offset:8192
.LBB69_16:                              ;   in Loop: Header=BB69_2 Depth=1
	s_or_b64 exec, exec, s[22:23]
	v_mov_b32_e32 v57, 0
	s_waitcnt lgkmcnt(0)
	s_barrier
	s_and_saveexec_b64 s[22:23], s[0:1]
	s_cbranch_execz .LBB69_1
; %bb.17:                               ;   in Loop: Header=BB69_2 Depth=1
	ds_read_b32 v57, v4 offset:8188
	s_branch .LBB69_1
.LBB69_18:
	ds_read_u16 v0, v37
	ds_read_u16 v2, v36
	ds_read_u16 v3, v35
	ds_read_u16 v6, v34
	ds_read_u16 v7, v33
	ds_read_u16 v8, v32
	ds_read_u16 v10, v31
	ds_read_u16 v11, v30
	ds_read_u16 v12, v29
	ds_read_u16 v14, v28
	ds_read_u16 v15, v27
	ds_read_u16 v16, v26
	ds_read_u16 v17, v25
	ds_read_u16 v18, v23
	ds_read_u16 v20, v21
	ds_read_u16 v19, v19
	s_lshl_b64 s[0:1], s[28:29], 2
	s_add_u32 s0, s26, s0
	s_waitcnt lgkmcnt(14)
	v_add_u32_sdwa v5, v0, v55 dst_sel:DWORD dst_unused:UNUSED_PAD src0_sel:DWORD src1_sel:WORD_0
	v_add_u32_sdwa v4, v2, v54 dst_sel:DWORD dst_unused:UNUSED_PAD src0_sel:DWORD src1_sel:WORD_0
	s_waitcnt lgkmcnt(12)
	v_add_u32_sdwa v2, v6, v52 dst_sel:DWORD dst_unused:UNUSED_PAD src0_sel:DWORD src1_sel:WORD_0
	s_waitcnt lgkmcnt(11)
	;; [unrolled: 2-line block ×12, first 2 shown]
	v_add_u32_sdwa v14, v19, v40 dst_sel:DWORD dst_unused:UNUSED_PAD src0_sel:DWORD src1_sel:WORD_0
	s_addc_u32 s1, s27, s1
	v_lshlrev_b32_e32 v0, 2, v1
	v_add_u32_sdwa v3, v3, v53 dst_sel:DWORD dst_unused:UNUSED_PAD src0_sel:DWORD src1_sel:WORD_0
	v_add_u32_sdwa v8, v8, v50 dst_sel:DWORD dst_unused:UNUSED_PAD src0_sel:DWORD src1_sel:WORD_0
	global_store_dwordx4 v0, v[14:17], s[0:1]
	global_store_dwordx4 v0, v[10:13], s[0:1] offset:16
	global_store_dwordx4 v0, v[6:9], s[0:1] offset:32
	;; [unrolled: 1-line block ×3, first 2 shown]
	s_endpgm
	.section	.rodata,"a",@progbits
	.p2align	6, 0x0
	.amdhsa_kernel _Z11rank_kernelIhLj4ELb0EL18RadixRankAlgorithm0ELj256ELj16ELj10EEvPKT_Pi
		.amdhsa_group_segment_fixed_size 8208
		.amdhsa_private_segment_fixed_size 0
		.amdhsa_kernarg_size 16
		.amdhsa_user_sgpr_count 6
		.amdhsa_user_sgpr_private_segment_buffer 1
		.amdhsa_user_sgpr_dispatch_ptr 0
		.amdhsa_user_sgpr_queue_ptr 0
		.amdhsa_user_sgpr_kernarg_segment_ptr 1
		.amdhsa_user_sgpr_dispatch_id 0
		.amdhsa_user_sgpr_flat_scratch_init 0
		.amdhsa_user_sgpr_private_segment_size 0
		.amdhsa_uses_dynamic_stack 0
		.amdhsa_system_sgpr_private_segment_wavefront_offset 0
		.amdhsa_system_sgpr_workgroup_id_x 1
		.amdhsa_system_sgpr_workgroup_id_y 0
		.amdhsa_system_sgpr_workgroup_id_z 0
		.amdhsa_system_sgpr_workgroup_info 0
		.amdhsa_system_vgpr_workitem_id 0
		.amdhsa_next_free_vgpr 62
		.amdhsa_next_free_sgpr 77
		.amdhsa_reserve_vcc 1
		.amdhsa_reserve_flat_scratch 0
		.amdhsa_float_round_mode_32 0
		.amdhsa_float_round_mode_16_64 0
		.amdhsa_float_denorm_mode_32 3
		.amdhsa_float_denorm_mode_16_64 3
		.amdhsa_dx10_clamp 1
		.amdhsa_ieee_mode 1
		.amdhsa_fp16_overflow 0
		.amdhsa_exception_fp_ieee_invalid_op 0
		.amdhsa_exception_fp_denorm_src 0
		.amdhsa_exception_fp_ieee_div_zero 0
		.amdhsa_exception_fp_ieee_overflow 0
		.amdhsa_exception_fp_ieee_underflow 0
		.amdhsa_exception_fp_ieee_inexact 0
		.amdhsa_exception_int_div_zero 0
	.end_amdhsa_kernel
	.section	.text._Z11rank_kernelIhLj4ELb0EL18RadixRankAlgorithm0ELj256ELj16ELj10EEvPKT_Pi,"axG",@progbits,_Z11rank_kernelIhLj4ELb0EL18RadixRankAlgorithm0ELj256ELj16ELj10EEvPKT_Pi,comdat
.Lfunc_end69:
	.size	_Z11rank_kernelIhLj4ELb0EL18RadixRankAlgorithm0ELj256ELj16ELj10EEvPKT_Pi, .Lfunc_end69-_Z11rank_kernelIhLj4ELb0EL18RadixRankAlgorithm0ELj256ELj16ELj10EEvPKT_Pi
                                        ; -- End function
	.set _Z11rank_kernelIhLj4ELb0EL18RadixRankAlgorithm0ELj256ELj16ELj10EEvPKT_Pi.num_vgpr, 62
	.set _Z11rank_kernelIhLj4ELb0EL18RadixRankAlgorithm0ELj256ELj16ELj10EEvPKT_Pi.num_agpr, 0
	.set _Z11rank_kernelIhLj4ELb0EL18RadixRankAlgorithm0ELj256ELj16ELj10EEvPKT_Pi.numbered_sgpr, 32
	.set _Z11rank_kernelIhLj4ELb0EL18RadixRankAlgorithm0ELj256ELj16ELj10EEvPKT_Pi.num_named_barrier, 0
	.set _Z11rank_kernelIhLj4ELb0EL18RadixRankAlgorithm0ELj256ELj16ELj10EEvPKT_Pi.private_seg_size, 0
	.set _Z11rank_kernelIhLj4ELb0EL18RadixRankAlgorithm0ELj256ELj16ELj10EEvPKT_Pi.uses_vcc, 1
	.set _Z11rank_kernelIhLj4ELb0EL18RadixRankAlgorithm0ELj256ELj16ELj10EEvPKT_Pi.uses_flat_scratch, 0
	.set _Z11rank_kernelIhLj4ELb0EL18RadixRankAlgorithm0ELj256ELj16ELj10EEvPKT_Pi.has_dyn_sized_stack, 0
	.set _Z11rank_kernelIhLj4ELb0EL18RadixRankAlgorithm0ELj256ELj16ELj10EEvPKT_Pi.has_recursion, 0
	.set _Z11rank_kernelIhLj4ELb0EL18RadixRankAlgorithm0ELj256ELj16ELj10EEvPKT_Pi.has_indirect_call, 0
	.section	.AMDGPU.csdata,"",@progbits
; Kernel info:
; codeLenInByte = 3292
; TotalNumSgprs: 36
; NumVgprs: 62
; ScratchSize: 0
; MemoryBound: 0
; FloatMode: 240
; IeeeMode: 1
; LDSByteSize: 8208 bytes/workgroup (compile time only)
; SGPRBlocks: 10
; VGPRBlocks: 15
; NumSGPRsForWavesPerEU: 81
; NumVGPRsForWavesPerEU: 62
; Occupancy: 4
; WaveLimiterHint : 0
; COMPUTE_PGM_RSRC2:SCRATCH_EN: 0
; COMPUTE_PGM_RSRC2:USER_SGPR: 6
; COMPUTE_PGM_RSRC2:TRAP_HANDLER: 0
; COMPUTE_PGM_RSRC2:TGID_X_EN: 1
; COMPUTE_PGM_RSRC2:TGID_Y_EN: 0
; COMPUTE_PGM_RSRC2:TGID_Z_EN: 0
; COMPUTE_PGM_RSRC2:TIDIG_COMP_CNT: 0
	.section	.text._Z11rank_kernelIhLj4ELb0EL18RadixRankAlgorithm1ELj256ELj16ELj10EEvPKT_Pi,"axG",@progbits,_Z11rank_kernelIhLj4ELb0EL18RadixRankAlgorithm1ELj256ELj16ELj10EEvPKT_Pi,comdat
	.protected	_Z11rank_kernelIhLj4ELb0EL18RadixRankAlgorithm1ELj256ELj16ELj10EEvPKT_Pi ; -- Begin function _Z11rank_kernelIhLj4ELb0EL18RadixRankAlgorithm1ELj256ELj16ELj10EEvPKT_Pi
	.globl	_Z11rank_kernelIhLj4ELb0EL18RadixRankAlgorithm1ELj256ELj16ELj10EEvPKT_Pi
	.p2align	8
	.type	_Z11rank_kernelIhLj4ELb0EL18RadixRankAlgorithm1ELj256ELj16ELj10EEvPKT_Pi,@function
_Z11rank_kernelIhLj4ELb0EL18RadixRankAlgorithm1ELj256ELj16ELj10EEvPKT_Pi: ; @_Z11rank_kernelIhLj4ELb0EL18RadixRankAlgorithm1ELj256ELj16ELj10EEvPKT_Pi
; %bb.0:
	s_load_dwordx4 s[24:27], s[4:5], 0x0
	s_lshl_b32 s28, s6, 12
	v_lshlrev_b32_e32 v8, 4, v0
	v_mbcnt_lo_u32_b32 v5, -1, 0
	v_mbcnt_hi_u32_b32 v5, -1, v5
	s_waitcnt lgkmcnt(0)
	s_add_u32 s0, s24, s28
	s_addc_u32 s1, s25, 0
	global_load_dwordx4 v[1:4], v8, s[0:1]
	v_or_b32_e32 v6, 63, v0
	v_lshrrev_b32_e32 v7, 4, v0
	v_cmp_eq_u32_e64 s[4:5], v0, v6
	v_subrev_co_u32_e64 v6, s[6:7], 1, v5
	v_and_b32_e32 v14, 64, v5
	s_movk_i32 s22, 0x700
	v_and_b32_e32 v13, 16, v5
	v_and_b32_e32 v11, 12, v7
	;; [unrolled: 1-line block ×3, first 2 shown]
	v_cmp_lt_i32_e64 s[18:19], v6, v14
	v_and_b32_e32 v12, 15, v5
	v_cmp_lt_u32_e64 s[2:3], 31, v5
	v_cmp_eq_u32_e64 s[16:17], 0, v13
	v_cndmask_b32_e64 v5, v6, v5, s[18:19]
	v_cmp_eq_u32_e64 s[18:19], 0, v7
	v_cmp_lt_u32_e64 s[20:21], 1, v7
	v_cmp_eq_u32_e64 s[8:9], 0, v12
	v_cmp_lt_u32_e64 s[10:11], 1, v12
	v_cmp_lt_u32_e64 s[12:13], 3, v12
	;; [unrolled: 1-line block ×3, first 2 shown]
	v_lshlrev_b32_e32 v12, 2, v5
	s_mov_b32 s29, 0
	v_lshlrev_b32_e32 v10, 5, v0
	v_mul_i32_i24_e32 v47, 0xffffffe4, v0
	v_mov_b32_e32 v9, 0
	v_cmp_gt_u32_e32 vcc, 4, v0
	v_cmp_lt_u32_e64 s[0:1], 63, v0
	v_lshlrev_b32_e32 v45, 2, v0
	v_or_b32_e32 v46, 0xffffff00, v0
	s_movk_i32 s30, 0x6ff
	v_add_u32_e32 v47, v10, v47
	s_mov_b32 s31, s29
	s_waitcnt vmcnt(0)
	v_lshlrev_b32_e32 v6, 8, v1
	v_lshlrev_b32_e32 v7, 20, v1
	v_and_or_b32 v13, v1, s22, v0
	v_lshrrev_b32_e32 v15, 8, v1
	v_lshlrev_b32_e32 v5, 28, v1
	v_lshlrev_b32_e32 v14, 12, v1
	v_lshrrev_b32_e32 v16, 16, v1
	v_lshlrev_b32_e32 v35, 8, v2
	v_and_or_b32 v30, v6, s22, v0
	v_alignbit_b32 v7, v13, v7, 31
	v_and_or_b32 v15, v15, s22, v0
	v_lshlrev_b32_e32 v26, 4, v1
	v_lshlrev_b32_e32 v17, 28, v2
	;; [unrolled: 1-line block ×3, first 2 shown]
	v_and_or_b32 v25, v3, s22, v0
	v_lshrrev_b32_e32 v28, 8, v3
	v_lshrrev_b32_e32 v29, 16, v3
	v_and_or_b32 v16, v16, s22, v0
	v_and_or_b32 v31, v35, s22, v0
	v_alignbit_b32 v5, v30, v5, 31
	v_lshlrev_b32_e32 v13, 1, v7
	v_alignbit_b32 v7, v15, v14, 31
	v_lshlrev_b32_e32 v18, 20, v2
	v_and_or_b32 v19, v2, s22, v0
	v_lshrrev_b32_e32 v21, 8, v2
	v_lshrrev_b32_e32 v22, 16, v2
	v_lshlrev_b32_e32 v39, 8, v3
	v_alignbit_b32 v24, v25, v24, 31
	v_and_or_b32 v25, v28, s22, v0
	v_alignbit_b32 v28, v16, v26, 31
	v_alignbit_b32 v30, v31, v17, 31
	v_lshlrev_b32_e32 v16, 1, v5
	v_lshlrev_b32_e32 v17, 1, v7
	v_and_or_b32 v5, v29, s22, v0
	v_lshlrev_b32_e32 v7, 4, v3
	v_lshlrev_b32_e32 v23, 28, v3
	;; [unrolled: 1-line block ×3, first 2 shown]
	v_alignbit_b32 v18, v19, v18, 31
	v_and_or_b32 v19, v21, s22, v0
	v_and_or_b32 v21, v22, s22, v0
	;; [unrolled: 1-line block ×3, first 2 shown]
	v_alignbit_b32 v5, v5, v7, 31
	v_lshlrev_b32_e32 v43, 8, v4
	v_alignbit_b32 v22, v22, v23, 31
	v_lshlrev_b32_e32 v15, 1, v24
	v_alignbit_b32 v23, v25, v27, 31
	v_lshlrev_b32_e32 v24, 1, v5
	v_lshlrev_b32_e32 v5, 28, v4
	v_and_or_b32 v25, v43, s22, v0
	v_alignbit_b32 v5, v25, v5, 31
	v_lshlrev_b32_e32 v25, 1, v5
	v_lshlrev_b32_e32 v5, 20, v4
	v_and_or_b32 v27, v4, s22, v0
	v_lshlrev_b32_e32 v14, 1, v18
	v_lshlrev_b32_e32 v18, 1, v28
	v_alignbit_b32 v5, v27, v5, 31
	v_lshrrev_b32_e32 v28, 8, v4
	v_lshlrev_b32_e32 v27, 1, v5
	v_lshlrev_b32_e32 v5, 12, v4
	v_and_or_b32 v28, v28, s22, v0
	v_alignbit_b32 v5, v28, v5, 31
	v_lshlrev_b32_e32 v29, 1, v5
	v_lshrrev_b32_e32 v5, 16, v4
	v_and_or_b32 v5, v5, s22, v0
	v_lshlrev_b32_e32 v41, 4, v4
	v_alignbit_b32 v5, v5, v41, 31
	v_lshlrev_b32_e32 v31, 1, v5
	v_lshlrev_b32_e32 v5, 24, v1
	v_and_or_b32 v26, v26, s22, v0
	v_alignbit_b32 v5, v26, v5, 31
	v_lshrrev_b32_e32 v28, 4, v1
	v_lshlrev_b32_e32 v26, 1, v5
	v_lshlrev_b32_e32 v5, 16, v1
	v_and_or_b32 v28, v28, s22, v0
	v_alignbit_b32 v5, v28, v5, 31
	v_lshlrev_b32_e32 v28, 1, v5
	v_lshrrev_b32_e32 v5, 12, v1
	v_and_or_b32 v5, v5, s22, v0
	v_lshlrev_b32_e32 v20, 12, v2
	v_alignbit_b32 v5, v5, v6, 31
	v_alignbit_b32 v20, v19, v20, 31
	v_lshlrev_b32_e32 v19, 1, v30
	v_lshlrev_b32_e32 v30, 1, v5
	v_lshrrev_b32_e32 v5, 20, v1
	v_and_or_b32 v5, v5, s22, v0
	v_lshlrev_b32_e32 v33, 4, v2
	v_alignbit_b32 v1, v5, v1, 31
	v_lshlrev_b32_e32 v32, 1, v1
	v_lshlrev_b32_e32 v1, 24, v2
	v_and_or_b32 v5, v33, s22, v0
	v_alignbit_b32 v1, v5, v1, 31
	v_lshrrev_b32_e32 v5, 4, v2
	v_alignbit_b32 v21, v21, v33, 31
	v_lshlrev_b32_e32 v33, 1, v1
	v_lshlrev_b32_e32 v1, 16, v2
	v_and_or_b32 v5, v5, s22, v0
	v_alignbit_b32 v1, v5, v1, 31
	v_lshlrev_b32_e32 v34, 1, v1
	v_lshrrev_b32_e32 v1, 12, v2
	v_and_or_b32 v1, v1, s22, v0
	v_alignbit_b32 v1, v1, v35, 31
	v_lshlrev_b32_e32 v35, 1, v1
	v_lshrrev_b32_e32 v1, 20, v2
	v_and_or_b32 v1, v1, s22, v0
	v_alignbit_b32 v1, v1, v2, 31
	v_lshlrev_b32_e32 v36, 1, v1
	v_lshlrev_b32_e32 v1, 24, v3
	v_and_or_b32 v2, v7, s22, v0
	v_alignbit_b32 v1, v2, v1, 31
	v_lshrrev_b32_e32 v2, 4, v3
	v_lshlrev_b32_e32 v37, 1, v1
	v_lshlrev_b32_e32 v1, 16, v3
	v_and_or_b32 v2, v2, s22, v0
	v_alignbit_b32 v1, v2, v1, 31
	v_lshlrev_b32_e32 v38, 1, v1
	v_lshrrev_b32_e32 v1, 12, v3
	v_and_or_b32 v1, v1, s22, v0
	v_alignbit_b32 v1, v1, v39, 31
	v_lshlrev_b32_e32 v39, 1, v1
	v_lshrrev_b32_e32 v1, 20, v3
	v_and_or_b32 v1, v1, s22, v0
	v_alignbit_b32 v1, v1, v3, 31
	v_lshlrev_b32_e32 v40, 1, v1
	v_lshlrev_b32_e32 v1, 24, v4
	v_and_or_b32 v2, v41, s22, v0
	v_alignbit_b32 v1, v2, v1, 31
	v_lshrrev_b32_e32 v2, 4, v4
	v_lshlrev_b32_e32 v41, 1, v1
	v_lshlrev_b32_e32 v1, 16, v4
	v_and_or_b32 v2, v2, s22, v0
	v_alignbit_b32 v1, v2, v1, 31
	v_lshlrev_b32_e32 v42, 1, v1
	v_lshrrev_b32_e32 v1, 12, v4
	v_and_or_b32 v1, v1, s22, v0
	v_alignbit_b32 v1, v1, v43, 31
	v_lshlrev_b32_e32 v43, 1, v1
	v_lshrrev_b32_e32 v1, 20, v4
	v_and_or_b32 v1, v1, s22, v0
	v_alignbit_b32 v1, v1, v4, 31
	v_lshlrev_b32_e32 v20, 1, v20
	v_lshlrev_b32_e32 v21, 1, v21
	;; [unrolled: 1-line block ×5, first 2 shown]
	s_branch .LBB70_2
.LBB70_1:                               ;   in Loop: Header=BB70_2 Depth=1
	s_or_b64 exec, exec, s[22:23]
	s_waitcnt lgkmcnt(0)
	v_add_u32_e32 v3, v64, v3
	ds_bpermute_b32 v3, v12, v3
	ds_read_b32 v65, v9 offset:8204
	s_add_i32 s31, s31, 1
	s_cmp_eq_u32 s31, 10
	s_waitcnt lgkmcnt(1)
	v_cndmask_b32_e64 v3, v3, v64, s[6:7]
	s_waitcnt lgkmcnt(0)
	v_lshl_add_u32 v3, v65, 16, v3
	v_add_u32_e32 v4, v3, v4
	v_add_u32_e32 v5, v4, v5
	v_add_u32_e32 v6, v5, v6
	v_add_u32_e32 v64, v6, v7
	v_add_u32_e32 v65, v64, v0
	v_add_u32_e32 v0, v65, v1
	v_add_u32_e32 v1, v0, v2
	ds_write2_b64 v10, v[3:4], v[5:6] offset1:1
	ds_write2_b64 v10, v[64:65], v[0:1] offset0:2 offset1:3
	s_waitcnt lgkmcnt(0)
	s_barrier
	s_cbranch_scc1 .LBB70_18
.LBB70_2:                               ; =>This Loop Header: Depth=1
                                        ;     Child Loop BB70_3 Depth 2
                                        ;     Child Loop BB70_11 Depth 2
	s_mov_b64 s[24:25], 0
	v_mov_b32_e32 v0, v46
	v_mov_b32_e32 v1, v45
.LBB70_3:                               ;   Parent Loop BB70_2 Depth=1
                                        ; =>  This Inner Loop Header: Depth=2
	v_add_u32_e32 v0, 0x100, v0
	v_cmp_lt_u32_e64 s[22:23], s30, v0
	ds_write_b32 v1, v9
	s_or_b64 s[24:25], s[22:23], s[24:25]
	v_add_u32_e32 v1, 0x400, v1
	s_andn2_b64 exec, exec, s[24:25]
	s_cbranch_execnz .LBB70_3
; %bb.4:                                ;   in Loop: Header=BB70_2 Depth=1
	s_or_b64 exec, exec, s[24:25]
	ds_read_u16 v0, v16
	s_waitcnt lgkmcnt(0)
	v_add_u16_e32 v0, 1, v0
	ds_write_b16 v16, v0
	ds_read_u16 v0, v13
	s_waitcnt lgkmcnt(0)
	v_add_u16_e32 v0, 1, v0
	ds_write_b16 v13, v0
	;; [unrolled: 4-line block ×16, first 2 shown]
	s_waitcnt lgkmcnt(0)
	s_barrier
	ds_read2_b64 v[4:7], v10 offset1:1
	ds_read2_b64 v[0:3], v10 offset0:2 offset1:3
	s_waitcnt lgkmcnt(1)
	v_add_u32_e32 v48, v5, v4
	v_add3_u32 v48, v48, v6, v7
	s_waitcnt lgkmcnt(0)
	v_add3_u32 v48, v48, v0, v1
	v_add3_u32 v3, v48, v2, v3
	s_nop 1
	v_mov_b32_dpp v48, v3 row_shr:1 row_mask:0xf bank_mask:0xf
	v_cndmask_b32_e64 v48, v48, 0, s[8:9]
	v_add_u32_e32 v3, v48, v3
	s_nop 1
	v_mov_b32_dpp v48, v3 row_shr:2 row_mask:0xf bank_mask:0xf
	v_cndmask_b32_e64 v48, 0, v48, s[10:11]
	v_add_u32_e32 v3, v3, v48
	;; [unrolled: 4-line block ×4, first 2 shown]
	s_nop 1
	v_mov_b32_dpp v48, v3 row_bcast:15 row_mask:0xf bank_mask:0xf
	v_cndmask_b32_e64 v48, v48, 0, s[16:17]
	v_add_u32_e32 v3, v3, v48
	s_nop 1
	v_mov_b32_dpp v48, v3 row_bcast:31 row_mask:0xf bank_mask:0xf
	v_cndmask_b32_e64 v48, 0, v48, s[2:3]
	v_add_u32_e32 v3, v3, v48
	s_and_saveexec_b64 s[22:23], s[4:5]
; %bb.5:                                ;   in Loop: Header=BB70_2 Depth=1
	ds_write_b32 v11, v3 offset:8192
; %bb.6:                                ;   in Loop: Header=BB70_2 Depth=1
	s_or_b64 exec, exec, s[22:23]
	s_waitcnt lgkmcnt(0)
	s_barrier
	s_and_saveexec_b64 s[22:23], vcc
	s_cbranch_execz .LBB70_8
; %bb.7:                                ;   in Loop: Header=BB70_2 Depth=1
	ds_read_b32 v48, v47 offset:8192
	s_waitcnt lgkmcnt(0)
	s_nop 0
	v_mov_b32_dpp v49, v48 row_shr:1 row_mask:0xf bank_mask:0xf
	v_cndmask_b32_e64 v49, v49, 0, s[18:19]
	v_add_u32_e32 v48, v49, v48
	s_nop 1
	v_mov_b32_dpp v49, v48 row_shr:2 row_mask:0xf bank_mask:0xf
	v_cndmask_b32_e64 v49, 0, v49, s[20:21]
	v_add_u32_e32 v48, v48, v49
	ds_write_b32 v47, v48 offset:8192
.LBB70_8:                               ;   in Loop: Header=BB70_2 Depth=1
	s_or_b64 exec, exec, s[22:23]
	v_mov_b32_e32 v48, 0
	s_waitcnt lgkmcnt(0)
	s_barrier
	s_and_saveexec_b64 s[22:23], s[0:1]
; %bb.9:                                ;   in Loop: Header=BB70_2 Depth=1
	ds_read_b32 v48, v11 offset:8188
; %bb.10:                               ;   in Loop: Header=BB70_2 Depth=1
	s_or_b64 exec, exec, s[22:23]
	s_waitcnt lgkmcnt(0)
	v_add_u32_e32 v3, v48, v3
	ds_bpermute_b32 v3, v12, v3
	ds_read_b32 v49, v9 offset:8204
	s_mov_b64 s[24:25], 0
	s_waitcnt lgkmcnt(1)
	v_cndmask_b32_e64 v3, v3, v48, s[6:7]
	s_waitcnt lgkmcnt(0)
	v_lshl_add_u32 v3, v49, 16, v3
	v_add_u32_e32 v4, v3, v4
	v_add_u32_e32 v5, v4, v5
	;; [unrolled: 1-line block ×7, first 2 shown]
	ds_write2_b64 v10, v[48:49], v[0:1] offset0:2 offset1:3
	v_mov_b32_e32 v0, v45
	v_mov_b32_e32 v1, v46
	ds_write2_b64 v10, v[3:4], v[5:6] offset1:1
	s_waitcnt lgkmcnt(0)
	s_barrier
.LBB70_11:                              ;   Parent Loop BB70_2 Depth=1
                                        ; =>  This Inner Loop Header: Depth=2
	v_add_u32_e32 v1, 0x100, v1
	v_cmp_lt_u32_e64 s[22:23], s30, v1
	ds_write_b32 v0, v9
	s_or_b64 s[24:25], s[22:23], s[24:25]
	v_add_u32_e32 v0, 0x400, v0
	s_andn2_b64 exec, exec, s[24:25]
	s_cbranch_execnz .LBB70_11
; %bb.12:                               ;   in Loop: Header=BB70_2 Depth=1
	s_or_b64 exec, exec, s[24:25]
	ds_read_u16 v48, v26
	s_waitcnt lgkmcnt(0)
	v_add_u16_e32 v0, 1, v48
	ds_write_b16 v26, v0
	ds_read_u16 v49, v28
	s_waitcnt lgkmcnt(0)
	v_add_u16_e32 v0, 1, v49
	ds_write_b16 v28, v0
	ds_read_u16 v50, v30
	s_waitcnt lgkmcnt(0)
	v_add_u16_e32 v0, 1, v50
	ds_write_b16 v30, v0
	ds_read_u16 v51, v32
	s_waitcnt lgkmcnt(0)
	v_add_u16_e32 v0, 1, v51
	ds_write_b16 v32, v0
	ds_read_u16 v52, v33
	s_waitcnt lgkmcnt(0)
	v_add_u16_e32 v0, 1, v52
	ds_write_b16 v33, v0
	ds_read_u16 v53, v34
	s_waitcnt lgkmcnt(0)
	v_add_u16_e32 v0, 1, v53
	ds_write_b16 v34, v0
	ds_read_u16 v54, v35
	s_waitcnt lgkmcnt(0)
	v_add_u16_e32 v0, 1, v54
	ds_write_b16 v35, v0
	ds_read_u16 v55, v36
	s_waitcnt lgkmcnt(0)
	v_add_u16_e32 v0, 1, v55
	ds_write_b16 v36, v0
	ds_read_u16 v56, v37
	s_waitcnt lgkmcnt(0)
	v_add_u16_e32 v0, 1, v56
	ds_write_b16 v37, v0
	ds_read_u16 v57, v38
	s_waitcnt lgkmcnt(0)
	v_add_u16_e32 v0, 1, v57
	ds_write_b16 v38, v0
	ds_read_u16 v58, v39
	s_waitcnt lgkmcnt(0)
	v_add_u16_e32 v0, 1, v58
	ds_write_b16 v39, v0
	ds_read_u16 v59, v40
	s_waitcnt lgkmcnt(0)
	v_add_u16_e32 v0, 1, v59
	ds_write_b16 v40, v0
	ds_read_u16 v60, v41
	s_waitcnt lgkmcnt(0)
	v_add_u16_e32 v0, 1, v60
	ds_write_b16 v41, v0
	ds_read_u16 v61, v42
	s_waitcnt lgkmcnt(0)
	v_add_u16_e32 v0, 1, v61
	ds_write_b16 v42, v0
	ds_read_u16 v62, v43
	s_waitcnt lgkmcnt(0)
	v_add_u16_e32 v0, 1, v62
	ds_write_b16 v43, v0
	ds_read_u16 v63, v44
	s_waitcnt lgkmcnt(0)
	v_add_u16_e32 v0, 1, v63
	ds_write_b16 v44, v0
	s_waitcnt lgkmcnt(0)
	s_barrier
	ds_read2_b64 v[4:7], v10 offset1:1
	ds_read2_b64 v[0:3], v10 offset0:2 offset1:3
	s_waitcnt lgkmcnt(1)
	v_add_u32_e32 v64, v5, v4
	v_add3_u32 v64, v64, v6, v7
	s_waitcnt lgkmcnt(0)
	v_add3_u32 v64, v64, v0, v1
	v_add3_u32 v3, v64, v2, v3
	s_nop 1
	v_mov_b32_dpp v64, v3 row_shr:1 row_mask:0xf bank_mask:0xf
	v_cndmask_b32_e64 v64, v64, 0, s[8:9]
	v_add_u32_e32 v3, v64, v3
	s_nop 1
	v_mov_b32_dpp v64, v3 row_shr:2 row_mask:0xf bank_mask:0xf
	v_cndmask_b32_e64 v64, 0, v64, s[10:11]
	v_add_u32_e32 v3, v3, v64
	;; [unrolled: 4-line block ×4, first 2 shown]
	s_nop 1
	v_mov_b32_dpp v64, v3 row_bcast:15 row_mask:0xf bank_mask:0xf
	v_cndmask_b32_e64 v64, v64, 0, s[16:17]
	v_add_u32_e32 v3, v3, v64
	s_nop 1
	v_mov_b32_dpp v64, v3 row_bcast:31 row_mask:0xf bank_mask:0xf
	v_cndmask_b32_e64 v64, 0, v64, s[2:3]
	v_add_u32_e32 v3, v3, v64
	s_and_saveexec_b64 s[22:23], s[4:5]
; %bb.13:                               ;   in Loop: Header=BB70_2 Depth=1
	ds_write_b32 v11, v3 offset:8192
; %bb.14:                               ;   in Loop: Header=BB70_2 Depth=1
	s_or_b64 exec, exec, s[22:23]
	s_waitcnt lgkmcnt(0)
	s_barrier
	s_and_saveexec_b64 s[22:23], vcc
	s_cbranch_execz .LBB70_16
; %bb.15:                               ;   in Loop: Header=BB70_2 Depth=1
	ds_read_b32 v64, v47 offset:8192
	s_waitcnt lgkmcnt(0)
	s_nop 0
	v_mov_b32_dpp v65, v64 row_shr:1 row_mask:0xf bank_mask:0xf
	v_cndmask_b32_e64 v65, v65, 0, s[18:19]
	v_add_u32_e32 v64, v65, v64
	s_nop 1
	v_mov_b32_dpp v65, v64 row_shr:2 row_mask:0xf bank_mask:0xf
	v_cndmask_b32_e64 v65, 0, v65, s[20:21]
	v_add_u32_e32 v64, v64, v65
	ds_write_b32 v47, v64 offset:8192
.LBB70_16:                              ;   in Loop: Header=BB70_2 Depth=1
	s_or_b64 exec, exec, s[22:23]
	v_mov_b32_e32 v64, 0
	s_waitcnt lgkmcnt(0)
	s_barrier
	s_and_saveexec_b64 s[22:23], s[0:1]
	s_cbranch_execz .LBB70_1
; %bb.17:                               ;   in Loop: Header=BB70_2 Depth=1
	ds_read_b32 v64, v11 offset:8188
	s_branch .LBB70_1
.LBB70_18:
	ds_read_u16 v0, v44
	ds_read_u16 v1, v43
	;; [unrolled: 1-line block ×16, first 2 shown]
	s_lshl_b64 s[0:1], s[28:29], 2
	s_add_u32 s0, s26, s0
	s_waitcnt lgkmcnt(14)
	v_add_u32_sdwa v3, v0, v63 dst_sel:DWORD dst_unused:UNUSED_PAD src0_sel:DWORD src1_sel:WORD_0
	v_add_u32_sdwa v2, v1, v62 dst_sel:DWORD dst_unused:UNUSED_PAD src0_sel:DWORD src1_sel:WORD_0
	s_waitcnt lgkmcnt(13)
	v_add_u32_sdwa v1, v4, v61 dst_sel:DWORD dst_unused:UNUSED_PAD src0_sel:DWORD src1_sel:WORD_0
	s_waitcnt lgkmcnt(12)
	;; [unrolled: 2-line block ×13, first 2 shown]
	v_add_u32_sdwa v13, v19, v48 dst_sel:DWORD dst_unused:UNUSED_PAD src0_sel:DWORD src1_sel:WORD_0
	s_addc_u32 s1, s27, s1
	v_lshlrev_b32_e32 v8, 2, v8
	v_add_u32_sdwa v12, v12, v55 dst_sel:DWORD dst_unused:UNUSED_PAD src0_sel:DWORD src1_sel:WORD_0
	global_store_dwordx4 v8, v[13:16], s[0:1]
	global_store_dwordx4 v8, v[9:12], s[0:1] offset:16
	global_store_dwordx4 v8, v[4:7], s[0:1] offset:32
	;; [unrolled: 1-line block ×3, first 2 shown]
	s_endpgm
	.section	.rodata,"a",@progbits
	.p2align	6, 0x0
	.amdhsa_kernel _Z11rank_kernelIhLj4ELb0EL18RadixRankAlgorithm1ELj256ELj16ELj10EEvPKT_Pi
		.amdhsa_group_segment_fixed_size 8208
		.amdhsa_private_segment_fixed_size 0
		.amdhsa_kernarg_size 16
		.amdhsa_user_sgpr_count 6
		.amdhsa_user_sgpr_private_segment_buffer 1
		.amdhsa_user_sgpr_dispatch_ptr 0
		.amdhsa_user_sgpr_queue_ptr 0
		.amdhsa_user_sgpr_kernarg_segment_ptr 1
		.amdhsa_user_sgpr_dispatch_id 0
		.amdhsa_user_sgpr_flat_scratch_init 0
		.amdhsa_user_sgpr_private_segment_size 0
		.amdhsa_uses_dynamic_stack 0
		.amdhsa_system_sgpr_private_segment_wavefront_offset 0
		.amdhsa_system_sgpr_workgroup_id_x 1
		.amdhsa_system_sgpr_workgroup_id_y 0
		.amdhsa_system_sgpr_workgroup_id_z 0
		.amdhsa_system_sgpr_workgroup_info 0
		.amdhsa_system_vgpr_workitem_id 0
		.amdhsa_next_free_vgpr 66
		.amdhsa_next_free_sgpr 77
		.amdhsa_reserve_vcc 1
		.amdhsa_reserve_flat_scratch 0
		.amdhsa_float_round_mode_32 0
		.amdhsa_float_round_mode_16_64 0
		.amdhsa_float_denorm_mode_32 3
		.amdhsa_float_denorm_mode_16_64 3
		.amdhsa_dx10_clamp 1
		.amdhsa_ieee_mode 1
		.amdhsa_fp16_overflow 0
		.amdhsa_exception_fp_ieee_invalid_op 0
		.amdhsa_exception_fp_denorm_src 0
		.amdhsa_exception_fp_ieee_div_zero 0
		.amdhsa_exception_fp_ieee_overflow 0
		.amdhsa_exception_fp_ieee_underflow 0
		.amdhsa_exception_fp_ieee_inexact 0
		.amdhsa_exception_int_div_zero 0
	.end_amdhsa_kernel
	.section	.text._Z11rank_kernelIhLj4ELb0EL18RadixRankAlgorithm1ELj256ELj16ELj10EEvPKT_Pi,"axG",@progbits,_Z11rank_kernelIhLj4ELb0EL18RadixRankAlgorithm1ELj256ELj16ELj10EEvPKT_Pi,comdat
.Lfunc_end70:
	.size	_Z11rank_kernelIhLj4ELb0EL18RadixRankAlgorithm1ELj256ELj16ELj10EEvPKT_Pi, .Lfunc_end70-_Z11rank_kernelIhLj4ELb0EL18RadixRankAlgorithm1ELj256ELj16ELj10EEvPKT_Pi
                                        ; -- End function
	.set _Z11rank_kernelIhLj4ELb0EL18RadixRankAlgorithm1ELj256ELj16ELj10EEvPKT_Pi.num_vgpr, 66
	.set _Z11rank_kernelIhLj4ELb0EL18RadixRankAlgorithm1ELj256ELj16ELj10EEvPKT_Pi.num_agpr, 0
	.set _Z11rank_kernelIhLj4ELb0EL18RadixRankAlgorithm1ELj256ELj16ELj10EEvPKT_Pi.numbered_sgpr, 32
	.set _Z11rank_kernelIhLj4ELb0EL18RadixRankAlgorithm1ELj256ELj16ELj10EEvPKT_Pi.num_named_barrier, 0
	.set _Z11rank_kernelIhLj4ELb0EL18RadixRankAlgorithm1ELj256ELj16ELj10EEvPKT_Pi.private_seg_size, 0
	.set _Z11rank_kernelIhLj4ELb0EL18RadixRankAlgorithm1ELj256ELj16ELj10EEvPKT_Pi.uses_vcc, 1
	.set _Z11rank_kernelIhLj4ELb0EL18RadixRankAlgorithm1ELj256ELj16ELj10EEvPKT_Pi.uses_flat_scratch, 0
	.set _Z11rank_kernelIhLj4ELb0EL18RadixRankAlgorithm1ELj256ELj16ELj10EEvPKT_Pi.has_dyn_sized_stack, 0
	.set _Z11rank_kernelIhLj4ELb0EL18RadixRankAlgorithm1ELj256ELj16ELj10EEvPKT_Pi.has_recursion, 0
	.set _Z11rank_kernelIhLj4ELb0EL18RadixRankAlgorithm1ELj256ELj16ELj10EEvPKT_Pi.has_indirect_call, 0
	.section	.AMDGPU.csdata,"",@progbits
; Kernel info:
; codeLenInByte = 3224
; TotalNumSgprs: 36
; NumVgprs: 66
; ScratchSize: 0
; MemoryBound: 0
; FloatMode: 240
; IeeeMode: 1
; LDSByteSize: 8208 bytes/workgroup (compile time only)
; SGPRBlocks: 10
; VGPRBlocks: 16
; NumSGPRsForWavesPerEU: 81
; NumVGPRsForWavesPerEU: 66
; Occupancy: 3
; WaveLimiterHint : 0
; COMPUTE_PGM_RSRC2:SCRATCH_EN: 0
; COMPUTE_PGM_RSRC2:USER_SGPR: 6
; COMPUTE_PGM_RSRC2:TRAP_HANDLER: 0
; COMPUTE_PGM_RSRC2:TGID_X_EN: 1
; COMPUTE_PGM_RSRC2:TGID_Y_EN: 0
; COMPUTE_PGM_RSRC2:TGID_Z_EN: 0
; COMPUTE_PGM_RSRC2:TIDIG_COMP_CNT: 0
	.section	.text._Z11rank_kernelIhLj4ELb0EL18RadixRankAlgorithm2ELj256ELj16ELj10EEvPKT_Pi,"axG",@progbits,_Z11rank_kernelIhLj4ELb0EL18RadixRankAlgorithm2ELj256ELj16ELj10EEvPKT_Pi,comdat
	.protected	_Z11rank_kernelIhLj4ELb0EL18RadixRankAlgorithm2ELj256ELj16ELj10EEvPKT_Pi ; -- Begin function _Z11rank_kernelIhLj4ELb0EL18RadixRankAlgorithm2ELj256ELj16ELj10EEvPKT_Pi
	.globl	_Z11rank_kernelIhLj4ELb0EL18RadixRankAlgorithm2ELj256ELj16ELj10EEvPKT_Pi
	.p2align	8
	.type	_Z11rank_kernelIhLj4ELb0EL18RadixRankAlgorithm2ELj256ELj16ELj10EEvPKT_Pi,@function
_Z11rank_kernelIhLj4ELb0EL18RadixRankAlgorithm2ELj256ELj16ELj10EEvPKT_Pi: ; @_Z11rank_kernelIhLj4ELb0EL18RadixRankAlgorithm2ELj256ELj16ELj10EEvPKT_Pi
; %bb.0:
	s_load_dwordx4 s[8:11], s[4:5], 0x0
	s_mov_b64 s[98:99], s[2:3]
	s_mov_b64 s[96:97], s[0:1]
	s_add_u32 s96, s96, s7
	s_addc_u32 s97, s97, 0
	s_lshl_b32 s6, s6, 12
	s_load_dword s2, s[4:5], 0x1c
	s_waitcnt lgkmcnt(0)
	s_add_u32 s0, s8, s6
                                        ; implicit-def: $vgpr252 : SGPR spill to VGPR lane
	v_lshlrev_b32_e32 v3, 4, v0
	v_writelane_b32 v252, s8, 0
	s_addc_u32 s1, s9, 0
	buffer_store_dword v3, off, s[96:99], 0 offset:300 ; 4-byte Folded Spill
	global_load_dwordx4 v[3:6], v3, s[0:1]
	v_mbcnt_lo_u32_b32 v8, -1, 0
	v_mbcnt_hi_u32_b32 v171, -1, v8
	v_subrev_co_u32_e64 v8, s[92:93], 1, v171
	v_and_b32_e32 v9, 64, v171
	v_cmp_lt_i32_e32 vcc, v8, v9
	v_writelane_b32 v252, s9, 1
	v_mov_b32_e32 v7, 0
	v_cndmask_b32_e32 v9, v8, v171, vcc
	v_writelane_b32 v252, s10, 2
	s_lshr_b32 s1, s2, 16
	s_and_b32 s0, s2, 0xffff
	v_writelane_b32 v252, s11, 3
	v_mad_u32_u24 v1, v2, s1, v1
	v_mov_b32_e32 v75, 30
	v_mov_b32_e32 v74, 29
	;; [unrolled: 1-line block ×3, first 2 shown]
                                        ; implicit-def: $vgpr253 : SGPR spill to VGPR lane
                                        ; implicit-def: $vgpr254 : SGPR spill to VGPR lane
	s_mov_b32 s7, 0
	v_or_b32_e32 v166, 63, v0
                                        ; implicit-def: $vgpr255 : SGPR spill to VGPR lane
	v_and_b32_e32 v169, 15, v171
	v_and_b32_e32 v170, 16, v171
	v_lshlrev_b32_e32 v85, 2, v0
	v_lshlrev_b32_e32 v101, 2, v9
	v_cmp_eq_u32_e64 s[94:95], v0, v166
	v_cmp_eq_u32_e64 s[4:5], 0, v169
	v_cmp_lt_u32_e64 s[8:9], 3, v169
	v_cmp_lt_u32_e64 s[10:11], 7, v169
	v_cmp_eq_u32_e64 s[12:13], 0, v170
	v_cmp_lt_u32_e64 s[14:15], 31, v171
	s_mov_b32 s33, 10
	s_waitcnt vmcnt(0)
	v_lshlrev_b32_e32 v8, 30, v3
	v_cmp_gt_i64_e64 s[2:3], 0, v[7:8]
	v_not_b32_e32 v11, v8
	v_writelane_b32 v252, s2, 4
	v_lshlrev_b32_e32 v8, 29, v3
	v_writelane_b32 v252, s3, 5
	v_cmp_gt_i64_e64 s[2:3], 0, v[7:8]
	v_not_b32_e32 v10, v8
	v_writelane_b32 v252, s2, 6
	v_lshlrev_b32_e32 v8, 28, v3
	v_writelane_b32 v252, s3, 7
	v_cmp_gt_i64_e64 s[2:3], 0, v[7:8]
	v_lshrrev_b32_e32 v2, 8, v3
	v_writelane_b32 v252, s2, 8
	v_not_b32_e32 v12, v8
	v_lshlrev_b32_e32 v8, 30, v2
	v_writelane_b32 v252, s3, 9
	v_cmp_gt_i64_e64 s[2:3], 0, v[7:8]
	v_not_b32_e32 v13, v8
	v_writelane_b32 v252, s2, 10
	v_lshlrev_b32_e32 v8, 29, v2
	v_writelane_b32 v252, s3, 11
	v_cmp_gt_i64_e64 s[2:3], 0, v[7:8]
	v_not_b32_e32 v14, v8
	v_writelane_b32 v252, s2, 12
	v_lshlrev_b32_e32 v8, 28, v2
	v_writelane_b32 v252, s3, 13
	v_cmp_gt_i64_e64 s[2:3], 0, v[7:8]
	v_not_b32_e32 v15, v8
	v_writelane_b32 v252, s2, 14
	v_lshlrev_b32_sdwa v8, v75, v3 dst_sel:DWORD dst_unused:UNUSED_PAD src0_sel:DWORD src1_sel:WORD_1
	v_writelane_b32 v252, s3, 15
	v_cmp_gt_i64_e64 s[2:3], 0, v[7:8]
	v_not_b32_e32 v17, v8
	v_writelane_b32 v252, s2, 16
	v_lshlrev_b32_sdwa v8, v74, v3 dst_sel:DWORD dst_unused:UNUSED_PAD src0_sel:DWORD src1_sel:WORD_1
	v_writelane_b32 v252, s3, 17
	v_cmp_gt_i64_e64 s[2:3], 0, v[7:8]
	v_not_b32_e32 v16, v8
	v_writelane_b32 v252, s2, 18
	;; [unrolled: 5-line block ×3, first 2 shown]
	v_lshlrev_b32_sdwa v8, v75, v3 dst_sel:DWORD dst_unused:UNUSED_PAD src0_sel:DWORD src1_sel:BYTE_3
	v_writelane_b32 v252, s3, 21
	v_cmp_gt_i64_e64 s[2:3], 0, v[7:8]
	v_not_b32_e32 v19, v8
	v_writelane_b32 v252, s2, 22
	v_lshlrev_b32_sdwa v8, v74, v3 dst_sel:DWORD dst_unused:UNUSED_PAD src0_sel:DWORD src1_sel:BYTE_3
	v_writelane_b32 v252, s3, 23
	v_cmp_gt_i64_e64 s[2:3], 0, v[7:8]
	v_not_b32_e32 v21, v8
	v_writelane_b32 v252, s2, 24
	;; [unrolled: 5-line block ×3, first 2 shown]
	v_lshlrev_b32_e32 v8, 30, v4
	v_writelane_b32 v252, s3, 27
	v_cmp_gt_i64_e64 s[2:3], 0, v[7:8]
	v_not_b32_e32 v25, v8
	v_writelane_b32 v252, s2, 28
	v_lshlrev_b32_e32 v8, 29, v4
	v_writelane_b32 v252, s3, 29
	v_cmp_gt_i64_e64 s[2:3], 0, v[7:8]
	v_not_b32_e32 v28, v8
	v_writelane_b32 v252, s2, 30
	v_lshlrev_b32_e32 v8, 28, v4
	v_writelane_b32 v252, s3, 31
	v_cmp_gt_i64_e64 s[2:3], 0, v[7:8]
	v_lshrrev_b32_e32 v26, 8, v4
	v_writelane_b32 v252, s2, 32
	v_not_b32_e32 v20, v8
	v_lshlrev_b32_e32 v8, 30, v26
	v_writelane_b32 v252, s3, 33
	v_cmp_gt_i64_e64 s[2:3], 0, v[7:8]
	v_not_b32_e32 v22, v8
	v_writelane_b32 v252, s2, 34
	v_lshlrev_b32_e32 v8, 29, v26
	v_writelane_b32 v252, s3, 35
	v_cmp_gt_i64_e64 s[2:3], 0, v[7:8]
	v_not_b32_e32 v24, v8
	v_writelane_b32 v252, s2, 36
	;; [unrolled: 5-line block ×3, first 2 shown]
	v_lshlrev_b32_sdwa v8, v75, v4 dst_sel:DWORD dst_unused:UNUSED_PAD src0_sel:DWORD src1_sel:WORD_1
	v_writelane_b32 v252, s3, 39
	v_cmp_gt_i64_e64 s[2:3], 0, v[7:8]
	v_mad_u64_u32 v[1:2], s[0:1], v1, s0, v[0:1]
	v_and_b32_e32 v45, 1, v3
	v_add_co_u32_e32 v2, vcc, -1, v45
	v_writelane_b32 v252, s2, 40
	v_not_b32_e32 v27, v8
	v_lshlrev_b32_sdwa v8, v74, v4 dst_sel:DWORD dst_unused:UNUSED_PAD src0_sel:DWORD src1_sel:WORD_1
	buffer_store_dword v2, off, s[96:99], 0 ; 4-byte Folded Spill
	v_addc_co_u32_e64 v2, s[0:1], 0, -1, vcc
	v_writelane_b32 v252, s3, 41
	v_cmp_gt_i64_e64 s[2:3], 0, v[7:8]
	buffer_store_dword v2, off, s[96:99], 0 offset:4 ; 4-byte Folded Spill
	v_bfe_u32 v2, v3, 8, 1
	v_add_co_u32_e32 v2, vcc, -1, v2
	v_writelane_b32 v252, s2, 42
	v_not_b32_e32 v29, v8
	v_lshlrev_b32_sdwa v8, v73, v4 dst_sel:DWORD dst_unused:UNUSED_PAD src0_sel:DWORD src1_sel:WORD_1
	buffer_store_dword v2, off, s[96:99], 0 offset:8 ; 4-byte Folded Spill
	v_addc_co_u32_e64 v2, s[0:1], 0, -1, vcc
	v_writelane_b32 v252, s3, 43
	v_cmp_gt_i64_e64 s[2:3], 0, v[7:8]
	buffer_store_dword v2, off, s[96:99], 0 offset:12 ; 4-byte Folded Spill
	v_bfe_u32 v2, v3, 16, 1
	v_add_co_u32_e32 v2, vcc, -1, v2
	v_writelane_b32 v252, s2, 44
	v_not_b32_e32 v30, v8
	v_lshlrev_b32_sdwa v8, v75, v4 dst_sel:DWORD dst_unused:UNUSED_PAD src0_sel:DWORD src1_sel:BYTE_3
	buffer_store_dword v2, off, s[96:99], 0 offset:16 ; 4-byte Folded Spill
	v_addc_co_u32_e64 v2, s[0:1], 0, -1, vcc
	v_writelane_b32 v252, s3, 45
	v_cmp_gt_i64_e64 s[2:3], 0, v[7:8]
	buffer_store_dword v2, off, s[96:99], 0 offset:20 ; 4-byte Folded Spill
	v_mov_b32_e32 v2, 1
	v_and_b32_sdwa v46, v3, v2 dst_sel:DWORD dst_unused:UNUSED_PAD src0_sel:BYTE_3 src1_sel:DWORD
	v_writelane_b32 v252, s2, 46
	v_not_b32_e32 v31, v8
	v_lshlrev_b32_sdwa v8, v74, v4 dst_sel:DWORD dst_unused:UNUSED_PAD src0_sel:DWORD src1_sel:BYTE_3
	v_add_co_u32_e32 v47, vcc, -1, v46
	v_writelane_b32 v252, s3, 47
	v_cmp_gt_i64_e64 s[2:3], 0, v[7:8]
	buffer_store_dword v47, off, s[96:99], 0 offset:24 ; 4-byte Folded Spill
	v_addc_co_u32_e64 v47, s[0:1], 0, -1, vcc
	buffer_store_dword v47, off, s[96:99], 0 offset:28 ; 4-byte Folded Spill
	v_and_b32_e32 v47, 1, v4
	v_writelane_b32 v252, s2, 48
	v_not_b32_e32 v32, v8
	v_lshlrev_b32_sdwa v8, v73, v4 dst_sel:DWORD dst_unused:UNUSED_PAD src0_sel:DWORD src1_sel:BYTE_3
	v_add_co_u32_e32 v48, vcc, -1, v47
	v_writelane_b32 v252, s3, 49
	v_cmp_gt_i64_e64 s[2:3], 0, v[7:8]
	buffer_store_dword v48, off, s[96:99], 0 offset:32 ; 4-byte Folded Spill
	v_addc_co_u32_e64 v48, s[0:1], 0, -1, vcc
	buffer_store_dword v48, off, s[96:99], 0 offset:36 ; 4-byte Folded Spill
	v_bfe_u32 v48, v4, 8, 1
	v_writelane_b32 v252, s2, 50
	v_not_b32_e32 v33, v8
	v_lshlrev_b32_e32 v8, 30, v5
	v_add_co_u32_e32 v48, vcc, -1, v48
	v_writelane_b32 v252, s3, 51
	v_cmp_gt_i64_e64 s[2:3], 0, v[7:8]
	buffer_store_dword v48, off, s[96:99], 0 offset:40 ; 4-byte Folded Spill
	v_addc_co_u32_e64 v48, s[0:1], 0, -1, vcc
	buffer_store_dword v48, off, s[96:99], 0 offset:44 ; 4-byte Folded Spill
	v_bfe_u32 v48, v4, 16, 1
	v_writelane_b32 v252, s2, 52
	v_not_b32_e32 v34, v8
	v_lshlrev_b32_e32 v8, 29, v5
	v_add_co_u32_e32 v48, vcc, -1, v48
	v_writelane_b32 v252, s3, 53
	v_cmp_gt_i64_e64 s[2:3], 0, v[7:8]
	buffer_store_dword v48, off, s[96:99], 0 offset:48 ; 4-byte Folded Spill
	v_addc_co_u32_e64 v48, s[0:1], 0, -1, vcc
	buffer_store_dword v48, off, s[96:99], 0 offset:52 ; 4-byte Folded Spill
	v_and_b32_sdwa v48, v4, v2 dst_sel:DWORD dst_unused:UNUSED_PAD src0_sel:BYTE_3 src1_sel:DWORD
	v_writelane_b32 v252, s2, 54
	v_not_b32_e32 v35, v8
	v_lshlrev_b32_e32 v8, 28, v5
	v_add_co_u32_e32 v49, vcc, -1, v48
	v_writelane_b32 v252, s3, 55
	v_cmp_gt_i64_e64 s[2:3], 0, v[7:8]
	buffer_store_dword v49, off, s[96:99], 0 offset:56 ; 4-byte Folded Spill
	v_addc_co_u32_e64 v49, s[0:1], 0, -1, vcc
	v_lshrrev_b32_e32 v38, 8, v5
	buffer_store_dword v49, off, s[96:99], 0 offset:60 ; 4-byte Folded Spill
	v_and_b32_e32 v49, 1, v5
	v_writelane_b32 v252, s2, 56
	v_not_b32_e32 v36, v8
	v_lshlrev_b32_e32 v8, 30, v38
	v_add_co_u32_e32 v50, vcc, -1, v49
	v_writelane_b32 v252, s3, 57
	v_cmp_gt_i64_e64 s[2:3], 0, v[7:8]
	buffer_store_dword v50, off, s[96:99], 0 offset:64 ; 4-byte Folded Spill
	v_addc_co_u32_e64 v50, s[0:1], 0, -1, vcc
	buffer_store_dword v50, off, s[96:99], 0 offset:68 ; 4-byte Folded Spill
	v_bfe_u32 v50, v5, 8, 1
	v_writelane_b32 v252, s2, 58
	v_not_b32_e32 v37, v8
	v_lshlrev_b32_e32 v8, 29, v38
	v_add_co_u32_e32 v50, vcc, -1, v50
	v_writelane_b32 v252, s3, 59
	v_cmp_gt_i64_e64 s[2:3], 0, v[7:8]
	buffer_store_dword v50, off, s[96:99], 0 offset:72 ; 4-byte Folded Spill
	v_addc_co_u32_e64 v50, s[0:1], 0, -1, vcc
	buffer_store_dword v50, off, s[96:99], 0 offset:76 ; 4-byte Folded Spill
	v_bfe_u32 v50, v5, 16, 1
	v_writelane_b32 v252, s2, 60
	v_not_b32_e32 v40, v8
	v_lshlrev_b32_e32 v8, 28, v38
	v_add_co_u32_e32 v50, vcc, -1, v50
	v_writelane_b32 v252, s3, 61
	v_cmp_gt_i64_e64 s[2:3], 0, v[7:8]
	buffer_store_dword v50, off, s[96:99], 0 offset:80 ; 4-byte Folded Spill
	v_addc_co_u32_e64 v50, s[0:1], 0, -1, vcc
	v_and_b32_sdwa v139, v5, v2 dst_sel:DWORD dst_unused:UNUSED_PAD src0_sel:BYTE_3 src1_sel:DWORD
	buffer_store_dword v50, off, s[96:99], 0 offset:84 ; 4-byte Folded Spill
	v_add_co_u32_e32 v50, vcc, -1, v139
	v_and_b32_e32 v142, 1, v6
	v_writelane_b32 v252, s2, 62
	v_not_b32_e32 v41, v8
	v_lshlrev_b32_sdwa v8, v75, v5 dst_sel:DWORD dst_unused:UNUSED_PAD src0_sel:DWORD src1_sel:WORD_1
	v_lshrrev_b32_e32 v38, 8, v6
	buffer_store_dword v50, off, s[96:99], 0 offset:88 ; 4-byte Folded Spill
	v_addc_co_u32_e64 v50, s[0:1], 0, -1, vcc
	v_add_co_u32_e32 v56, vcc, -1, v142
	v_writelane_b32 v252, s3, 63
	v_cmp_gt_i64_e64 s[2:3], 0, v[7:8]
	buffer_store_dword v56, off, s[96:99], 0 offset:96 ; 4-byte Folded Spill
	v_addc_co_u32_e64 v56, s[0:1], 0, -1, vcc
	v_and_b32_e32 v143, 1, v38
	v_lshrrev_b32_e32 v39, 16, v6
	buffer_store_dword v56, off, s[96:99], 0 offset:100 ; 4-byte Folded Spill
	v_add_co_u32_e32 v56, vcc, -1, v143
	v_writelane_b32 v253, s2, 0
	v_not_b32_e32 v42, v8
	v_lshlrev_b32_sdwa v8, v74, v5 dst_sel:DWORD dst_unused:UNUSED_PAD src0_sel:DWORD src1_sel:WORD_1
	buffer_store_dword v56, off, s[96:99], 0 offset:104 ; 4-byte Folded Spill
	v_addc_co_u32_e64 v56, s[0:1], 0, -1, vcc
	v_and_b32_e32 v144, 1, v39
	v_writelane_b32 v253, s3, 1
	v_cmp_gt_i64_e64 s[2:3], 0, v[7:8]
	buffer_store_dword v56, off, s[96:99], 0 offset:108 ; 4-byte Folded Spill
	v_add_co_u32_e32 v56, vcc, -1, v144
	v_and_b32_sdwa v140, v6, v2 dst_sel:DWORD dst_unused:UNUSED_PAD src0_sel:BYTE_3 src1_sel:DWORD
	buffer_store_dword v56, off, s[96:99], 0 offset:112 ; 4-byte Folded Spill
	v_addc_co_u32_e64 v56, s[0:1], 0, -1, vcc
	v_writelane_b32 v253, s2, 2
	v_not_b32_e32 v43, v8
	v_lshlrev_b32_sdwa v8, v73, v5 dst_sel:DWORD dst_unused:UNUSED_PAD src0_sel:DWORD src1_sel:WORD_1
	v_bfe_u32 v2, v3, 4, 1
	buffer_store_dword v56, off, s[96:99], 0 offset:116 ; 4-byte Folded Spill
	v_add_co_u32_e32 v56, vcc, -1, v140
	v_writelane_b32 v253, s3, 3
	v_cmp_gt_i64_e64 s[2:3], 0, v[7:8]
	buffer_store_dword v56, off, s[96:99], 0 offset:120 ; 4-byte Folded Spill
	v_addc_co_u32_e64 v56, s[0:1], 0, -1, vcc
	v_add_co_u32_e32 v2, vcc, -1, v2
	buffer_store_dword v50, off, s[96:99], 0 offset:92 ; 4-byte Folded Spill
	v_bfe_u32 v50, v3, 12, 1
	buffer_store_dword v2, off, s[96:99], 0 offset:128 ; 4-byte Folded Spill
	v_addc_co_u32_e64 v2, s[0:1], 0, -1, vcc
	v_writelane_b32 v253, s2, 4
	v_not_b32_e32 v44, v8
	v_lshlrev_b32_sdwa v8, v75, v5 dst_sel:DWORD dst_unused:UNUSED_PAD src0_sel:DWORD src1_sel:BYTE_3
	buffer_store_dword v2, off, s[96:99], 0 offset:132 ; 4-byte Folded Spill
	v_add_co_u32_e32 v2, vcc, -1, v50
	v_writelane_b32 v253, s3, 5
	v_cmp_gt_i64_e64 s[2:3], 0, v[7:8]
	v_bfe_u32 v51, v3, 20, 1
	buffer_store_dword v2, off, s[96:99], 0 offset:136 ; 4-byte Folded Spill
	v_addc_co_u32_e64 v2, s[0:1], 0, -1, vcc
	buffer_store_dword v2, off, s[96:99], 0 offset:140 ; 4-byte Folded Spill
	v_add_co_u32_e32 v2, vcc, -1, v51
	v_writelane_b32 v253, s2, 6
	v_not_b32_e32 v121, v8
	v_lshlrev_b32_sdwa v8, v74, v5 dst_sel:DWORD dst_unused:UNUSED_PAD src0_sel:DWORD src1_sel:BYTE_3
	v_bfe_u32 v52, v3, 28, 1
	buffer_store_dword v2, off, s[96:99], 0 offset:144 ; 4-byte Folded Spill
	v_addc_co_u32_e64 v2, s[0:1], 0, -1, vcc
	v_writelane_b32 v253, s3, 7
	v_cmp_gt_i64_e64 s[2:3], 0, v[7:8]
	buffer_store_dword v2, off, s[96:99], 0 offset:148 ; 4-byte Folded Spill
	v_add_co_u32_e32 v2, vcc, -1, v52
	v_bfe_u32 v53, v4, 4, 1
	buffer_store_dword v2, off, s[96:99], 0 offset:152 ; 4-byte Folded Spill
	v_addc_co_u32_e64 v2, s[0:1], 0, -1, vcc
	v_writelane_b32 v253, s2, 8
	v_not_b32_e32 v122, v8
	v_lshlrev_b32_sdwa v8, v73, v5 dst_sel:DWORD dst_unused:UNUSED_PAD src0_sel:DWORD src1_sel:BYTE_3
	buffer_store_dword v2, off, s[96:99], 0 offset:156 ; 4-byte Folded Spill
	v_add_co_u32_e32 v2, vcc, -1, v53
	v_writelane_b32 v253, s3, 9
	v_cmp_gt_i64_e64 s[2:3], 0, v[7:8]
	v_bfe_u32 v54, v4, 12, 1
	buffer_store_dword v2, off, s[96:99], 0 offset:160 ; 4-byte Folded Spill
	v_addc_co_u32_e64 v2, s[0:1], 0, -1, vcc
	buffer_store_dword v2, off, s[96:99], 0 offset:164 ; 4-byte Folded Spill
	v_add_co_u32_e32 v2, vcc, -1, v54
	v_writelane_b32 v253, s2, 10
	v_not_b32_e32 v123, v8
	v_lshlrev_b32_e32 v8, 30, v6
	v_bfe_u32 v55, v4, 20, 1
	buffer_store_dword v2, off, s[96:99], 0 offset:168 ; 4-byte Folded Spill
	v_addc_co_u32_e64 v2, s[0:1], 0, -1, vcc
	v_writelane_b32 v253, s3, 11
	v_cmp_gt_i64_e64 s[2:3], 0, v[7:8]
	buffer_store_dword v2, off, s[96:99], 0 offset:172 ; 4-byte Folded Spill
	v_add_co_u32_e32 v2, vcc, -1, v55
	v_not_b32_e32 v124, v8
	v_lshlrev_b32_e32 v8, 29, v6
	buffer_store_dword v2, off, s[96:99], 0 offset:176 ; 4-byte Folded Spill
	v_addc_co_u32_e64 v2, s[0:1], 0, -1, vcc
	v_writelane_b32 v253, s2, 12
	v_cmp_gt_i64_e64 s[0:1], 0, v[7:8]
	v_writelane_b32 v253, s3, 13
	v_bfe_u32 v51, v4, 28, 1
	v_writelane_b32 v253, s0, 14
	v_add_co_u32_e32 v51, vcc, -1, v51
	v_writelane_b32 v253, s1, 15
	v_bfe_u32 v52, v5, 4, 1
	buffer_store_dword v51, off, s[96:99], 0 offset:184 ; 4-byte Folded Spill
	v_addc_co_u32_e64 v51, s[0:1], 0, -1, vcc
	buffer_store_dword v51, off, s[96:99], 0 offset:188 ; 4-byte Folded Spill
	v_add_co_u32_e32 v51, vcc, -1, v52
	v_bfe_u32 v53, v5, 12, 1
	buffer_store_dword v51, off, s[96:99], 0 offset:192 ; 4-byte Folded Spill
	v_addc_co_u32_e64 v51, s[0:1], 0, -1, vcc
	buffer_store_dword v51, off, s[96:99], 0 offset:196 ; 4-byte Folded Spill
	v_add_co_u32_e32 v51, vcc, -1, v53
	;; [unrolled: 5-line block ×4, first 2 shown]
	buffer_store_dword v56, off, s[96:99], 0 offset:124 ; 4-byte Folded Spill
	v_bfe_u32 v56, v6, 4, 1
	buffer_store_dword v51, off, s[96:99], 0 offset:216 ; 4-byte Folded Spill
	v_addc_co_u32_e64 v51, s[0:1], 0, -1, vcc
	buffer_store_dword v51, off, s[96:99], 0 offset:220 ; 4-byte Folded Spill
	v_add_co_u32_e32 v51, vcc, -1, v56
	buffer_store_dword v2, off, s[96:99], 0 offset:180 ; 4-byte Folded Spill
	v_not_b32_e32 v2, v8
	v_lshlrev_b32_e32 v8, 28, v6
	buffer_store_dword v51, off, s[96:99], 0 offset:224 ; 4-byte Folded Spill
	v_addc_co_u32_e64 v51, s[0:1], 0, -1, vcc
	v_cmp_gt_i64_e64 s[0:1], 0, v[7:8]
	v_not_b32_e32 v50, v8
	v_writelane_b32 v253, s0, 16
	v_lshlrev_b32_e32 v8, 30, v38
	v_writelane_b32 v253, s1, 17
	v_cmp_gt_i64_e64 s[0:1], 0, v[7:8]
	v_bfe_u32 v53, v38, 4, 1
	v_writelane_b32 v253, s0, 18
	v_add_co_u32_e32 v53, vcc, -1, v53
	v_writelane_b32 v253, s1, 19
	buffer_store_dword v53, off, s[96:99], 0 offset:232 ; 4-byte Folded Spill
	v_addc_co_u32_e64 v53, s[0:1], 0, -1, vcc
	buffer_store_dword v53, off, s[96:99], 0 offset:236 ; 4-byte Folded Spill
	v_bfe_u32 v53, v39, 4, 1
	v_add_co_u32_e32 v53, vcc, -1, v53
	v_lshrrev_b32_e32 v54, 28, v6
	buffer_store_dword v53, off, s[96:99], 0 offset:240 ; 4-byte Folded Spill
	v_addc_co_u32_e64 v53, s[0:1], 0, -1, vcc
	buffer_store_dword v53, off, s[96:99], 0 offset:244 ; 4-byte Folded Spill
	v_and_b32_e32 v53, 1, v54
	v_add_co_u32_e32 v55, vcc, -1, v53
	buffer_store_dword v51, off, s[96:99], 0 offset:228 ; 4-byte Folded Spill
	v_not_b32_e32 v51, v8
	v_lshlrev_b32_e32 v8, 29, v38
	buffer_store_dword v55, off, s[96:99], 0 offset:248 ; 4-byte Folded Spill
	v_addc_co_u32_e64 v55, s[0:1], 0, -1, vcc
	v_cmp_gt_i64_e64 s[0:1], 0, v[7:8]
	v_not_b32_e32 v52, v8
	v_writelane_b32 v253, s0, 20
	v_lshlrev_b32_e32 v8, 28, v38
	v_writelane_b32 v253, s1, 21
	v_cmp_gt_i64_e64 s[0:1], 0, v[7:8]
	buffer_store_dword v55, off, s[96:99], 0 offset:252 ; 4-byte Folded Spill
	v_not_b32_e32 v55, v8
	v_writelane_b32 v253, s0, 22
	v_lshlrev_b32_e32 v8, 30, v39
	v_writelane_b32 v253, s1, 23
	v_cmp_gt_i64_e64 s[0:1], 0, v[7:8]
	v_not_b32_e32 v56, v8
	v_writelane_b32 v253, s0, 24
	v_lshlrev_b32_e32 v8, 29, v39
	v_writelane_b32 v253, s1, 25
	v_cmp_gt_i64_e64 s[0:1], 0, v[7:8]
	;; [unrolled: 5-line block ×3, first 2 shown]
	v_not_b32_e32 v58, v8
	v_writelane_b32 v253, s0, 28
	v_lshlrev_b32_sdwa v8, v75, v6 dst_sel:DWORD dst_unused:UNUSED_PAD src0_sel:DWORD src1_sel:BYTE_3
	v_writelane_b32 v253, s1, 29
	v_cmp_gt_i64_e64 s[0:1], 0, v[7:8]
	v_not_b32_e32 v59, v8
	v_writelane_b32 v253, s0, 30
	v_lshlrev_b32_sdwa v8, v74, v6 dst_sel:DWORD dst_unused:UNUSED_PAD src0_sel:DWORD src1_sel:BYTE_3
	v_writelane_b32 v253, s1, 31
	v_cmp_gt_i64_e64 s[0:1], 0, v[7:8]
	;; [unrolled: 5-line block ×3, first 2 shown]
	v_lshrrev_b32_e32 v62, 4, v3
	v_not_b32_e32 v61, v8
	v_writelane_b32 v253, s0, 34
	v_lshlrev_b32_e32 v8, 30, v62
	v_writelane_b32 v253, s1, 35
	v_cmp_gt_i64_e64 s[0:1], 0, v[7:8]
	v_not_b32_e32 v63, v8
	v_writelane_b32 v253, s0, 36
	v_lshlrev_b32_e32 v8, 29, v62
	v_writelane_b32 v253, s1, 37
	v_cmp_gt_i64_e64 s[0:1], 0, v[7:8]
	v_not_b32_e32 v64, v8
	v_writelane_b32 v253, s0, 38
	v_lshlrev_b32_e32 v8, 28, v62
	v_writelane_b32 v253, s1, 39
	v_cmp_gt_i64_e64 s[0:1], 0, v[7:8]
	v_lshrrev_b32_e32 v65, 12, v3
	v_not_b32_e32 v62, v8
	v_writelane_b32 v253, s0, 40
	v_lshlrev_b32_e32 v8, 30, v65
	v_writelane_b32 v253, s1, 41
	v_cmp_gt_i64_e64 s[0:1], 0, v[7:8]
	v_not_b32_e32 v66, v8
	v_writelane_b32 v253, s0, 42
	v_lshlrev_b32_e32 v8, 29, v65
	v_writelane_b32 v253, s1, 43
	v_cmp_gt_i64_e64 s[0:1], 0, v[7:8]
	v_not_b32_e32 v67, v8
	v_writelane_b32 v253, s0, 44
	v_lshlrev_b32_e32 v8, 28, v65
	v_writelane_b32 v253, s1, 45
	v_cmp_gt_i64_e64 s[0:1], 0, v[7:8]
	;; [unrolled: 16-line block ×3, first 2 shown]
	v_lshrrev_b32_e32 v71, 28, v3
	v_not_b32_e32 v68, v8
	v_writelane_b32 v253, s0, 52
	v_lshlrev_b32_e32 v8, 30, v71
	v_writelane_b32 v253, s1, 53
	v_cmp_gt_i64_e64 s[0:1], 0, v[7:8]
	v_not_b32_e32 v72, v8
	v_writelane_b32 v253, s0, 54
	v_lshlrev_b32_e32 v8, 29, v71
	v_writelane_b32 v253, s1, 55
	v_cmp_gt_i64_e64 s[0:1], 0, v[7:8]
	v_not_b32_e32 v79, v8
	v_writelane_b32 v253, s0, 56
	v_and_b32_e32 v8, 0xf0000000, v3
	v_writelane_b32 v253, s1, 57
	v_cmp_gt_i64_e64 s[0:1], 0, v[7:8]
	v_lshrrev_b32_e32 v73, 4, v4
	v_not_b32_e32 v80, v8
	v_writelane_b32 v253, s0, 58
	v_lshlrev_b32_e32 v8, 30, v73
	v_writelane_b32 v253, s1, 59
	v_cmp_gt_i64_e64 s[0:1], 0, v[7:8]
	v_not_b32_e32 v81, v8
	v_writelane_b32 v253, s0, 60
	v_lshlrev_b32_e32 v8, 29, v73
	v_writelane_b32 v253, s1, 61
	v_cmp_gt_i64_e64 s[0:1], 0, v[7:8]
	v_not_b32_e32 v82, v8
	v_writelane_b32 v253, s0, 62
	v_lshlrev_b32_e32 v8, 28, v73
	v_writelane_b32 v253, s1, 63
	v_cmp_gt_i64_e64 s[0:1], 0, v[7:8]
	v_lshrrev_b32_e32 v73, 12, v4
	v_not_b32_e32 v83, v8
	v_writelane_b32 v254, s0, 0
	v_lshlrev_b32_e32 v8, 30, v73
	v_writelane_b32 v254, s1, 1
	v_cmp_gt_i64_e64 s[0:1], 0, v[7:8]
	v_not_b32_e32 v84, v8
	v_writelane_b32 v254, s0, 2
	v_lshlrev_b32_e32 v8, 29, v73
	v_writelane_b32 v254, s1, 3
	v_cmp_gt_i64_e64 s[0:1], 0, v[7:8]
	v_not_b32_e32 v94, v8
	v_writelane_b32 v254, s0, 4
	v_lshlrev_b32_e32 v8, 28, v73
	;; [unrolled: 16-line block ×3, first 2 shown]
	v_writelane_b32 v254, s1, 11
	v_cmp_gt_i64_e64 s[0:1], 0, v[7:8]
	v_lshrrev_b32_e32 v149, 28, v4
	v_not_b32_e32 v148, v8
	v_writelane_b32 v254, s0, 12
	v_lshlrev_b32_e32 v8, 30, v149
	v_writelane_b32 v254, s1, 13
	v_cmp_gt_i64_e64 s[0:1], 0, v[7:8]
	v_not_b32_e32 v150, v8
	v_writelane_b32 v254, s0, 14
	v_lshlrev_b32_e32 v8, 29, v149
	v_writelane_b32 v254, s1, 15
	v_cmp_gt_i64_e64 s[0:1], 0, v[7:8]
	v_not_b32_e32 v151, v8
	v_writelane_b32 v254, s0, 16
	v_and_b32_e32 v8, 0xf0000000, v4
	v_writelane_b32 v254, s1, 17
	v_cmp_gt_i64_e64 s[0:1], 0, v[7:8]
	v_lshrrev_b32_e32 v73, 4, v5
	v_not_b32_e32 v152, v8
	v_writelane_b32 v254, s0, 18
	v_lshlrev_b32_e32 v8, 30, v73
	v_writelane_b32 v254, s1, 19
	v_cmp_gt_i64_e64 s[0:1], 0, v[7:8]
	v_not_b32_e32 v153, v8
	v_writelane_b32 v254, s0, 20
	v_lshlrev_b32_e32 v8, 29, v73
	v_writelane_b32 v254, s1, 21
	v_cmp_gt_i64_e64 s[0:1], 0, v[7:8]
	v_not_b32_e32 v154, v8
	v_writelane_b32 v254, s0, 22
	v_lshlrev_b32_e32 v8, 28, v73
	v_writelane_b32 v254, s1, 23
	v_cmp_gt_i64_e64 s[0:1], 0, v[7:8]
	v_lshrrev_b32_e32 v73, 12, v5
	v_not_b32_e32 v155, v8
	v_writelane_b32 v254, s0, 24
	v_lshlrev_b32_e32 v8, 30, v73
	v_writelane_b32 v254, s1, 25
	v_cmp_gt_i64_e64 s[0:1], 0, v[7:8]
	v_not_b32_e32 v156, v8
	v_writelane_b32 v254, s0, 26
	v_lshlrev_b32_e32 v8, 29, v73
	v_writelane_b32 v254, s1, 27
	v_cmp_gt_i64_e64 s[0:1], 0, v[7:8]
	v_not_b32_e32 v157, v8
	v_writelane_b32 v254, s0, 28
	v_lshlrev_b32_e32 v8, 28, v73
	;; [unrolled: 16-line block ×3, first 2 shown]
	v_writelane_b32 v254, s1, 35
	v_cmp_gt_i64_e64 s[0:1], 0, v[7:8]
	v_lshrrev_b32_e32 v193, 28, v5
	v_not_b32_e32 v192, v8
	v_writelane_b32 v254, s0, 36
	v_lshlrev_b32_e32 v8, 30, v193
	v_writelane_b32 v254, s1, 37
	v_cmp_gt_i64_e64 s[0:1], 0, v[7:8]
	v_not_b32_e32 v194, v8
	v_writelane_b32 v254, s0, 38
	v_lshlrev_b32_e32 v8, 29, v193
	v_writelane_b32 v254, s1, 39
	v_cmp_gt_i64_e64 s[0:1], 0, v[7:8]
	v_not_b32_e32 v195, v8
	v_writelane_b32 v254, s0, 40
	v_and_b32_e32 v8, 0xf0000000, v5
	v_mov_b32_e32 v73, 15
	v_writelane_b32 v254, s1, 41
	v_cmp_gt_i64_e64 s[0:1], 0, v[7:8]
	v_and_b32_sdwa v102, v3, v73 dst_sel:DWORD dst_unused:UNUSED_PAD src0_sel:BYTE_3 src1_sel:DWORD
	v_and_b32_e32 v103, 15, v3
	v_bfe_u32 v104, v3, 8, 4
	v_and_b32_e32 v174, 0x100, v3
	v_bfe_u32 v105, v3, 16, 4
	;; [unrolled: 2-line block ×5, first 2 shown]
	v_and_b32_e32 v191, 0x100000, v3
	v_and_b32_e32 v196, 0x10000000, v3
	v_lshrrev_b32_e32 v3, 4, v6
	v_not_b32_e32 v204, v8
	v_writelane_b32 v254, s0, 42
	v_lshlrev_b32_e32 v8, 30, v3
	v_writelane_b32 v254, s1, 43
	v_cmp_gt_i64_e64 s[0:1], 0, v[7:8]
	v_not_b32_e32 v206, v8
	v_writelane_b32 v254, s0, 44
	v_lshlrev_b32_e32 v8, 29, v3
	v_writelane_b32 v254, s1, 45
	v_cmp_gt_i64_e64 s[0:1], 0, v[7:8]
	;; [unrolled: 5-line block ×3, first 2 shown]
	v_lshrrev_b32_e32 v3, 4, v38
	v_not_b32_e32 v210, v8
	v_writelane_b32 v254, s0, 48
	v_lshlrev_b32_e32 v8, 30, v3
	v_writelane_b32 v254, s1, 49
	v_cmp_gt_i64_e64 s[0:1], 0, v[7:8]
	v_not_b32_e32 v212, v8
	v_writelane_b32 v254, s0, 50
	v_lshlrev_b32_e32 v8, 29, v3
	v_writelane_b32 v254, s1, 51
	v_cmp_gt_i64_e64 s[0:1], 0, v[7:8]
	;; [unrolled: 5-line block ×3, first 2 shown]
	v_and_b32_sdwa v125, v5, v73 dst_sel:DWORD dst_unused:UNUSED_PAD src0_sel:BYTE_3 src1_sel:DWORD
	v_and_b32_e32 v112, 15, v5
	v_bfe_u32 v115, v5, 8, 4
	v_and_b32_e32 v182, 0x100, v5
	v_bfe_u32 v118, v5, 16, 4
	;; [unrolled: 2-line block ×5, first 2 shown]
	v_and_b32_e32 v207, 0x100000, v5
	v_and_b32_e32 v209, 0x10000000, v5
	v_lshrrev_b32_e32 v5, 4, v39
	v_not_b32_e32 v215, v8
	v_writelane_b32 v254, s0, 54
	v_lshlrev_b32_e32 v8, 30, v5
	v_writelane_b32 v254, s1, 55
	v_cmp_gt_i64_e64 s[0:1], 0, v[7:8]
	v_not_b32_e32 v216, v8
	v_writelane_b32 v254, s0, 56
	v_lshlrev_b32_e32 v8, 29, v5
	v_writelane_b32 v254, s1, 57
	v_cmp_gt_i64_e64 s[0:1], 0, v[7:8]
	v_not_b32_e32 v217, v8
	v_writelane_b32 v254, s0, 58
	v_writelane_b32 v254, s1, 59
	v_lshlrev_b32_e32 v8, 28, v5
	v_writelane_b32 v254, s6, 60
	v_mul_u32_u24_e32 v219, 20, v105
	v_ashrrev_i32_e32 v105, 31, v26
	v_and_b32_e32 v26, 3, v171
	v_cmp_eq_u32_e64 s[24:25], 1, v46
	v_not_b32_e32 v46, v8
	v_cmp_gt_i64_e64 s[64:65], 0, v[7:8]
	v_lshlrev_b32_e32 v8, 30, v54
	v_writelane_b32 v254, s7, 61
	v_cmp_eq_u32_e64 s[16:17], 0, v26
	v_cmp_eq_u32_e64 s[26:27], 1, v47
	v_not_b32_e32 v47, v8
	v_cmp_gt_i64_e64 s[68:69], 0, v[7:8]
	v_lshlrev_b32_e32 v8, 29, v54
	v_and_b32_e32 v126, 15, v6
	v_writelane_b32 v254, s16, 62
	v_cmp_eq_u32_e64 s[34:35], 1, v48
	v_not_b32_e32 v48, v8
	v_cmp_gt_i64_e64 s[72:73], 0, v[7:8]
	v_lshlrev_b32_e32 v8, 28, v54
	v_and_b32_sdwa v109, v4, v73 dst_sel:DWORD dst_unused:UNUSED_PAD src0_sel:BYTE_3 src1_sel:DWORD
	v_and_b32_e32 v106, 15, v4
	v_bfe_u32 v107, v4, 8, 4
	v_and_b32_e32 v178, 0x100, v4
	v_bfe_u32 v108, v4, 16, 4
	;; [unrolled: 2-line block ×5, first 2 shown]
	v_and_b32_e32 v199, 0x100000, v4
	v_and_b32_e32 v200, 0x10000000, v4
	v_bfe_u32 v211, v6, 4, 4
	v_and_b32_e32 v214, 16, v6
	v_and_b32_sdwa v6, v6, v73 dst_sel:DWORD dst_unused:UNUSED_PAD src0_sel:BYTE_3 src1_sel:DWORD
	v_and_b32_e32 v128, 15, v38
	v_and_b32_e32 v131, 15, v39
	v_lshrrev_b32_e32 v1, 4, v1
	v_ashrrev_i32_e32 v4, 31, v11
	v_ashrrev_i32_e32 v73, 31, v10
	v_ashrrev_i32_e32 v86, 31, v16
	v_ashrrev_i32_e32 v117, 31, v41
	v_ashrrev_i32_e32 v120, 31, v44
	v_mul_u32_u24_e32 v239, 20, v126
	v_ashrrev_i32_e32 v126, 31, v2
	v_mul_u32_u24_e32 v2, 20, v137
	v_writelane_b32 v254, s17, 63
	v_cmp_lt_u32_e64 s[16:17], 1, v26
	v_cmp_eq_u32_e64 s[36:37], 1, v49
	v_bfe_u32 v41, v38, 4, 4
	v_bfe_u32 v44, v39, 4, 4
	v_not_b32_e32 v49, v8
	v_lshrrev_b32_e32 v3, 4, v0
	buffer_store_dword v4, off, s[96:99], 0 offset:256 ; 4-byte Folded Spill
	v_ashrrev_i32_e32 v74, 31, v12
	v_ashrrev_i32_e32 v75, 31, v13
	;; [unrolled: 1-line block ×5, first 2 shown]
	buffer_store_dword v73, off, s[96:99], 0 offset:260 ; 4-byte Folded Spill
	buffer_store_dword v74, off, s[96:99], 0 offset:264 ; 4-byte Folded Spill
	;; [unrolled: 1-line block ×6, first 2 shown]
	v_ashrrev_i32_e32 v87, 31, v18
	v_ashrrev_i32_e32 v88, 31, v19
	;; [unrolled: 1-line block ×6, first 2 shown]
	buffer_store_dword v86, off, s[96:99], 0 offset:284 ; 4-byte Folded Spill
	buffer_store_dword v87, off, s[96:99], 0 offset:288 ; 4-byte Folded Spill
	v_and_b32_e32 v90, 0xffffffc, v1
	v_mul_u32_u24_e32 v1, 20, v103
	v_mul_u32_u24_e32 v218, 20, v104
	;; [unrolled: 1-line block ×4, first 2 shown]
	v_ashrrev_i32_e32 v102, 31, v20
	v_mul_u32_u24_e32 v222, 20, v107
	v_ashrrev_i32_e32 v103, 31, v22
	v_ashrrev_i32_e32 v104, 31, v24
	v_mul_u32_u24_e32 v223, 20, v108
	v_ashrrev_i32_e32 v106, 31, v27
	v_ashrrev_i32_e32 v107, 31, v29
	v_ashrrev_i32_e32 v108, 31, v30
	v_mul_u32_u24_e32 v224, 20, v109
	v_ashrrev_i32_e32 v109, 31, v31
	;; [unrolled: 4-line block ×4, first 2 shown]
	v_ashrrev_i32_e32 v116, 31, v40
	v_mul_u32_u24_e32 v233, 20, v118
	v_ashrrev_i32_e32 v118, 31, v42
	v_ashrrev_i32_e32 v119, 31, v43
	v_mul_u32_u24_e32 v236, 20, v125
	v_ashrrev_i32_e32 v121, 31, v121
	v_ashrrev_i32_e32 v122, 31, v122
	;; [unrolled: 1-line block ×5, first 2 shown]
	v_mul_u32_u24_e32 v50, 20, v128
	v_ashrrev_i32_e32 v128, 31, v51
	v_ashrrev_i32_e32 v129, 31, v52
	v_ashrrev_i32_e32 v130, 31, v55
	v_mul_u32_u24_e32 v51, 20, v131
	v_ashrrev_i32_e32 v131, 31, v56
	v_ashrrev_i32_e32 v132, 31, v57
	v_ashrrev_i32_e32 v133, 31, v58
	v_mul_u32_u24_e32 v6, 20, v6
	v_ashrrev_i32_e32 v134, 31, v59
	v_ashrrev_i32_e32 v135, 31, v60
	v_ashrrev_i32_e32 v136, 31, v61
	buffer_store_dword v2, off, s[96:99], 0 offset:292 ; 4-byte Folded Spill
	v_ashrrev_i32_e32 v137, 31, v63
	v_ashrrev_i32_e32 v138, 31, v64
	v_ashrrev_i32_e32 v9, 31, v62
	v_mul_u32_u24_e32 v52, 20, v141
	v_ashrrev_i32_e32 v5, 31, v66
	v_ashrrev_i32_e32 v141, 31, v67
	v_ashrrev_i32_e32 v124, 31, v65
	v_mul_u32_u24_e32 v55, 20, v161
	;; [unrolled: 4-line block ×8, first 2 shown]
	v_cmp_gt_u32_e64 s[0:1], 4, v0
	v_cmp_lt_u32_e64 s[2:3], 63, v0
	v_writelane_b32 v255, s16, 0
	v_cmp_eq_u32_e64 s[18:19], 1, v45
	v_and_b32_e32 v0, 16, v38
	v_and_b32_e32 v62, 16, v39
	v_ashrrev_i32_e32 v26, 31, v153
	v_ashrrev_i32_e32 v27, 31, v154
	v_ashrrev_i32_e32 v28, 31, v155
	v_mul_u32_u24_e32 v63, 20, v202
	v_ashrrev_i32_e32 v29, 31, v156
	v_ashrrev_i32_e32 v30, 31, v157
	v_ashrrev_i32_e32 v31, 31, v158
	v_mul_u32_u24_e32 v64, 20, v205
	;; [unrolled: 4-line block ×4, first 2 shown]
	v_mul_u32_u24_e32 v54, 20, v54
	v_ashrrev_i32_e32 v38, 31, v206
	v_ashrrev_i32_e32 v39, 31, v208
	v_ashrrev_i32_e32 v40, 31, v210
	v_mul_u32_u24_e32 v67, 20, v41
	v_ashrrev_i32_e32 v41, 31, v212
	v_ashrrev_i32_e32 v42, 31, v213
	v_ashrrev_i32_e32 v43, 31, v215
	;; [unrolled: 4-line block ×3, first 2 shown]
	v_ashrrev_i32_e32 v47, 31, v47
	v_ashrrev_i32_e32 v48, 31, v48
	;; [unrolled: 1-line block ×3, first 2 shown]
	v_cmp_gt_i64_e64 s[90:91], 0, v[7:8]
	v_and_b32_e32 v3, 12, v3
	v_mov_b32_e32 v96, v88
	v_mov_b32_e32 v97, v89
	;; [unrolled: 1-line block ×13, first 2 shown]
	v_cmp_lt_u32_e64 s[6:7], 1, v169
	v_mov_b32_e32 v169, v110
	v_mov_b32_e32 v170, v111
	;; [unrolled: 1-line block ×3, first 2 shown]
	v_writelane_b32 v255, s17, 1
	v_mov_b32_e32 v172, v113
	v_mov_b32_e32 v173, v114
	v_cmp_ne_u32_e64 s[20:21], 0, v174
	v_mov_b32_e32 v174, v115
	v_cmp_ne_u32_e64 s[22:23], 0, v175
	v_mov_b32_e32 v175, v116
	v_mov_b32_e32 v176, v117
	v_mov_b32_e32 v177, v118
	v_cmp_ne_u32_e64 s[28:29], 0, v178
	v_mov_b32_e32 v178, v119
	v_cmp_ne_u32_e64 s[30:31], 0, v179
	v_mov_b32_e32 v179, v120
	;; [unrolled: 6-line block ×3, first 2 shown]
	v_cmp_eq_u32_e64 s[42:43], 1, v139
	v_mov_b32_e32 v184, v126
	v_cmp_eq_u32_e64 s[44:45], 1, v142
	v_mov_b32_e32 v185, v127
	;; [unrolled: 2-line block ×5, first 2 shown]
	v_cmp_ne_u32_e64 s[52:53], 0, v189
	v_mov_b32_e32 v189, v131
	v_cmp_ne_u32_e64 s[54:55], 0, v190
	v_mov_b32_e32 v190, v132
	;; [unrolled: 2-line block ×3, first 2 shown]
	v_cmp_ne_u32_e64 s[58:59], 0, v196
	v_cmp_ne_u32_e64 s[60:61], 0, v197
	;; [unrolled: 1-line block ×6, first 2 shown]
	v_add_u32_e32 v1, v90, v1
	v_add_u32_e32 v226, v90, v218
	v_add_u32_e32 v228, v90, v219
	v_add_u32_e32 v229, v90, v220
	v_add_u32_e32 v231, v90, v221
	v_add_u32_e32 v232, v90, v222
	v_add_u32_e32 v234, v90, v223
	v_add_u32_e32 v235, v90, v224
	v_add_u32_e32 v237, v90, v227
	v_add_u32_e32 v238, v90, v230
	v_add_u32_e32 v240, v90, v233
	v_add_u32_e32 v241, v90, v236
	v_add_u32_e32 v242, v90, v239
	v_add_u32_e32 v244, v90, v50
	v_add_u32_e32 v245, v90, v51
	v_add_u32_e32 v246, v90, v6
	v_add_u32_e32 v204, v90, v52
	v_add_u32_e32 v205, v90, v55
	v_add_u32_e32 v208, v90, v56
	v_add_u32_e32 v210, v90, v57
	v_add_u32_e32 v213, v90, v58
	v_add_u32_e32 v215, v90, v59
	v_add_u32_e32 v218, v90, v60
	v_add_u32_e32 v221, v90, v61
	v_add_u32_e32 v224, v90, v63
	v_add_u32_e32 v227, v90, v64
	v_add_u32_e32 v230, v90, v65
	v_add_u32_e32 v233, v90, v66
	v_add_u32_e32 v236, v90, v67
	v_add_u32_e32 v239, v90, v68
	v_add_u32_e32 v243, v90, v54
	v_cmp_ne_u32_e64 s[76:77], 0, v203
	v_mov_b32_e32 v247, v134
	v_cmp_ne_u32_e64 s[78:79], 0, v207
	v_mov_b32_e32 v248, v135
	;; [unrolled: 2-line block ×6, first 2 shown]
	v_cmp_eq_u32_e64 s[88:89], 1, v53
	v_mov_b32_e32 v140, v5
	v_mov_b32_e32 v8, v141
	;; [unrolled: 1-line block ×45, first 2 shown]
	buffer_store_dword v1, off, s[96:99], 0 offset:296 ; 4-byte Folded Spill
	s_branch .LBB71_2
.LBB71_1:                               ;   in Loop: Header=BB71_2 Depth=1
	s_or_b64 exec, exec, s[16:17]
	s_waitcnt lgkmcnt(0)
	v_add_u32_e32 v0, v1, v0
	ds_bpermute_b32 v0, v101, v0
	s_add_i32 s33, s33, -1
	s_cmp_eq_u32 s33, 0
	s_waitcnt lgkmcnt(0)
	v_cndmask_b32_e64 v0, v0, v1, s[92:93]
	ds_write_b32 v85, v0 offset:16
	s_waitcnt lgkmcnt(0)
	s_barrier
	s_cbranch_scc1 .LBB71_78
.LBB71_2:                               ; =>This Inner Loop Header: Depth=1
	v_cndmask_b32_e64 v0, 0, 1, s[18:19]
	ds_write_b32 v85, v7 offset:16
	s_waitcnt vmcnt(0) lgkmcnt(0)
	s_barrier
	v_cmp_ne_u32_e32 vcc, 0, v0
	buffer_load_dword v0, off, s[96:99], 0 offset:4 ; 4-byte Folded Reload
	buffer_load_dword v1, off, s[96:99], 0  ; 4-byte Folded Reload
	v_readlane_b32 s16, v252, 4
	v_readlane_b32 s17, v252, 5
	v_cndmask_b32_e64 v6, 0, 1, s[16:17]
	v_readlane_b32 s16, v252, 6
	v_readlane_b32 s17, v252, 7
	s_waitcnt vmcnt(1)
	v_xor_b32_e32 v0, vcc_hi, v0
	s_waitcnt vmcnt(0)
	v_xor_b32_e32 v1, vcc_lo, v1
	v_cmp_ne_u32_e32 vcc, 0, v6
	buffer_load_dword v6, off, s[96:99], 0 offset:256 ; 4-byte Folded Reload
	v_and_b32_e32 v0, exec_hi, v0
	v_xor_b32_e32 v50, vcc_lo, v4
	v_and_b32_e32 v1, exec_lo, v1
	v_and_b32_e32 v1, v1, v50
	s_waitcnt vmcnt(0)
	v_xor_b32_e32 v6, vcc_hi, v6
	v_and_b32_e32 v0, v0, v6
	v_cndmask_b32_e64 v6, 0, 1, s[16:17]
	v_cmp_ne_u32_e32 vcc, 0, v6
	buffer_load_dword v6, off, s[96:99], 0 offset:260 ; 4-byte Folded Reload
	v_readlane_b32 s16, v252, 8
	v_xor_b32_e32 v50, vcc_lo, v73
	v_readlane_b32 s17, v252, 9
	s_waitcnt vmcnt(0)
	v_xor_b32_e32 v6, vcc_hi, v6
	v_and_b32_e32 v0, v0, v6
	v_and_b32_e32 v6, v1, v50
	v_cndmask_b32_e64 v1, 0, 1, s[16:17]
	v_cmp_ne_u32_e32 vcc, 0, v1
	buffer_load_dword v1, off, s[96:99], 0 offset:264 ; 4-byte Folded Reload
	v_xor_b32_e32 v50, vcc_lo, v74
	; wave barrier
	s_waitcnt vmcnt(0)
	v_xor_b32_e32 v1, vcc_hi, v1
	v_and_b32_e32 v1, v0, v1
	v_and_b32_e32 v0, v6, v50
	v_mbcnt_lo_u32_b32 v6, v0, 0
	v_mbcnt_hi_u32_b32 v6, v1, v6
	v_cmp_ne_u64_e64 s[16:17], 0, v[0:1]
	v_cmp_eq_u32_e32 vcc, 0, v6
	s_and_b64 vcc, s[16:17], vcc
	s_and_saveexec_b64 s[16:17], vcc
	s_cbranch_execz .LBB71_4
; %bb.3:                                ;   in Loop: Header=BB71_2 Depth=1
	v_bcnt_u32_b32 v0, v0, 0
	v_bcnt_u32_b32 v0, v1, v0
	buffer_load_dword v1, off, s[96:99], 0 offset:296 ; 4-byte Folded Reload
	s_waitcnt vmcnt(0)
	ds_write_b32 v1, v0 offset:16
.LBB71_4:                               ;   in Loop: Header=BB71_2 Depth=1
	s_or_b64 exec, exec, s[16:17]
	v_cndmask_b32_e64 v0, 0, 1, s[20:21]
	; wave barrier
	v_cmp_ne_u32_e32 vcc, 0, v0
	buffer_load_dword v0, off, s[96:99], 0 offset:12 ; 4-byte Folded Reload
	buffer_load_dword v1, off, s[96:99], 0 offset:8 ; 4-byte Folded Reload
	v_readlane_b32 s16, v252, 10
	v_readlane_b32 s17, v252, 11
	v_cndmask_b32_e64 v50, 0, 1, s[16:17]
	v_readlane_b32 s16, v252, 12
	v_readlane_b32 s17, v252, 13
	ds_read_b32 v6, v226 offset:16
	s_waitcnt vmcnt(1)
	v_xor_b32_e32 v0, vcc_hi, v0
	s_waitcnt vmcnt(0)
	v_xor_b32_e32 v1, vcc_lo, v1
	v_cmp_ne_u32_e32 vcc, 0, v50
	buffer_load_dword v50, off, s[96:99], 0 offset:268 ; 4-byte Folded Reload
	v_and_b32_e32 v0, exec_hi, v0
	v_xor_b32_e32 v51, vcc_lo, v75
	v_and_b32_e32 v1, exec_lo, v1
	v_and_b32_e32 v1, v1, v51
	s_waitcnt vmcnt(0)
	v_xor_b32_e32 v50, vcc_hi, v50
	v_and_b32_e32 v0, v0, v50
	v_cndmask_b32_e64 v50, 0, 1, s[16:17]
	v_cmp_ne_u32_e32 vcc, 0, v50
	buffer_load_dword v50, off, s[96:99], 0 offset:272 ; 4-byte Folded Reload
	v_readlane_b32 s16, v252, 14
	v_xor_b32_e32 v51, vcc_lo, v76
	v_readlane_b32 s17, v252, 15
	s_waitcnt vmcnt(0)
	v_xor_b32_e32 v50, vcc_hi, v50
	v_and_b32_e32 v0, v0, v50
	v_and_b32_e32 v50, v1, v51
	v_cndmask_b32_e64 v1, 0, 1, s[16:17]
	v_cmp_ne_u32_e32 vcc, 0, v1
	buffer_load_dword v1, off, s[96:99], 0 offset:276 ; 4-byte Folded Reload
	v_xor_b32_e32 v51, vcc_lo, v77
	; wave barrier
	s_waitcnt vmcnt(0)
	v_xor_b32_e32 v1, vcc_hi, v1
	v_and_b32_e32 v1, v0, v1
	v_and_b32_e32 v0, v50, v51
	v_mbcnt_lo_u32_b32 v50, v0, 0
	v_mbcnt_hi_u32_b32 v50, v1, v50
	v_cmp_ne_u64_e32 vcc, 0, v[0:1]
	v_cmp_eq_u32_e64 s[16:17], 0, v50
	s_and_b64 vcc, vcc, s[16:17]
	s_and_saveexec_b64 s[16:17], vcc
	s_cbranch_execz .LBB71_6
; %bb.5:                                ;   in Loop: Header=BB71_2 Depth=1
	v_bcnt_u32_b32 v0, v0, 0
	v_bcnt_u32_b32 v0, v1, v0
	s_waitcnt lgkmcnt(0)
	v_add_u32_e32 v0, v6, v0
	ds_write_b32 v226, v0 offset:16
.LBB71_6:                               ;   in Loop: Header=BB71_2 Depth=1
	s_or_b64 exec, exec, s[16:17]
	v_cndmask_b32_e64 v0, 0, 1, s[22:23]
	; wave barrier
	v_cmp_ne_u32_e32 vcc, 0, v0
	buffer_load_dword v0, off, s[96:99], 0 offset:20 ; 4-byte Folded Reload
	buffer_load_dword v1, off, s[96:99], 0 offset:16 ; 4-byte Folded Reload
	v_readlane_b32 s16, v252, 16
	v_readlane_b32 s17, v252, 17
	v_cndmask_b32_e64 v50, 0, 1, s[16:17]
	v_readlane_b32 s16, v252, 18
	v_readlane_b32 s17, v252, 19
	s_waitcnt lgkmcnt(0)
	ds_read_b32 v6, v228 offset:16
	s_waitcnt vmcnt(1)
	v_xor_b32_e32 v0, vcc_hi, v0
	s_waitcnt vmcnt(0)
	v_xor_b32_e32 v1, vcc_lo, v1
	v_cmp_ne_u32_e32 vcc, 0, v50
	buffer_load_dword v50, off, s[96:99], 0 offset:280 ; 4-byte Folded Reload
	v_and_b32_e32 v0, exec_hi, v0
	v_xor_b32_e32 v51, vcc_lo, v78
	v_and_b32_e32 v1, exec_lo, v1
	v_and_b32_e32 v1, v1, v51
	s_waitcnt vmcnt(0)
	v_xor_b32_e32 v50, vcc_hi, v50
	v_and_b32_e32 v0, v0, v50
	v_cndmask_b32_e64 v50, 0, 1, s[16:17]
	v_cmp_ne_u32_e32 vcc, 0, v50
	buffer_load_dword v50, off, s[96:99], 0 offset:284 ; 4-byte Folded Reload
	v_readlane_b32 s16, v252, 20
	v_xor_b32_e32 v51, vcc_lo, v86
	v_readlane_b32 s17, v252, 21
	s_waitcnt vmcnt(0)
	v_xor_b32_e32 v50, vcc_hi, v50
	v_and_b32_e32 v0, v0, v50
	v_and_b32_e32 v50, v1, v51
	v_cndmask_b32_e64 v1, 0, 1, s[16:17]
	v_cmp_ne_u32_e32 vcc, 0, v1
	buffer_load_dword v1, off, s[96:99], 0 offset:288 ; 4-byte Folded Reload
	v_xor_b32_e32 v51, vcc_lo, v87
	; wave barrier
	s_waitcnt vmcnt(0)
	v_xor_b32_e32 v1, vcc_hi, v1
	v_and_b32_e32 v1, v0, v1
	v_and_b32_e32 v0, v50, v51
	v_mbcnt_lo_u32_b32 v50, v0, 0
	v_mbcnt_hi_u32_b32 v50, v1, v50
	v_cmp_ne_u64_e32 vcc, 0, v[0:1]
	v_cmp_eq_u32_e64 s[16:17], 0, v50
	s_and_b64 vcc, vcc, s[16:17]
	s_and_saveexec_b64 s[16:17], vcc
	s_cbranch_execz .LBB71_8
; %bb.7:                                ;   in Loop: Header=BB71_2 Depth=1
	v_bcnt_u32_b32 v0, v0, 0
	v_bcnt_u32_b32 v0, v1, v0
	s_waitcnt lgkmcnt(0)
	v_add_u32_e32 v0, v6, v0
	ds_write_b32 v228, v0 offset:16
.LBB71_8:                               ;   in Loop: Header=BB71_2 Depth=1
	s_or_b64 exec, exec, s[16:17]
	v_cndmask_b32_e64 v0, 0, 1, s[24:25]
	; wave barrier
	v_cmp_ne_u32_e32 vcc, 0, v0
	buffer_load_dword v0, off, s[96:99], 0 offset:28 ; 4-byte Folded Reload
	buffer_load_dword v1, off, s[96:99], 0 offset:24 ; 4-byte Folded Reload
	v_readlane_b32 s16, v252, 22
	v_readlane_b32 s17, v252, 23
	v_cndmask_b32_e64 v50, 0, 1, s[16:17]
	v_readlane_b32 s16, v252, 24
	v_readlane_b32 s17, v252, 25
	s_waitcnt lgkmcnt(0)
	ds_read_b32 v6, v229 offset:16
	; wave barrier
	s_waitcnt vmcnt(1)
	v_xor_b32_e32 v0, vcc_hi, v0
	s_waitcnt vmcnt(0)
	v_xor_b32_e32 v1, vcc_lo, v1
	v_cmp_ne_u32_e32 vcc, 0, v50
	v_and_b32_e32 v0, exec_hi, v0
	v_xor_b32_e32 v50, vcc_hi, v96
	v_and_b32_e32 v0, v0, v50
	v_cndmask_b32_e64 v50, 0, 1, s[16:17]
	v_and_b32_e32 v1, exec_lo, v1
	v_xor_b32_e32 v51, vcc_lo, v88
	v_cmp_ne_u32_e32 vcc, 0, v50
	v_readlane_b32 s16, v252, 26
	v_and_b32_e32 v1, v1, v51
	v_xor_b32_e32 v50, vcc_hi, v97
	v_xor_b32_e32 v51, vcc_lo, v89
	v_readlane_b32 s17, v252, 27
	v_and_b32_e32 v0, v0, v50
	v_and_b32_e32 v50, v1, v51
	v_cndmask_b32_e64 v1, 0, 1, s[16:17]
	v_cmp_ne_u32_e32 vcc, 0, v1
	v_xor_b32_e32 v1, vcc_hi, v98
	v_xor_b32_e32 v51, vcc_lo, v91
	v_and_b32_e32 v1, v0, v1
	v_and_b32_e32 v0, v50, v51
	v_mbcnt_lo_u32_b32 v50, v0, 0
	v_mbcnt_hi_u32_b32 v50, v1, v50
	v_cmp_ne_u64_e32 vcc, 0, v[0:1]
	v_cmp_eq_u32_e64 s[16:17], 0, v50
	s_and_b64 vcc, vcc, s[16:17]
	s_and_saveexec_b64 s[16:17], vcc
	s_cbranch_execz .LBB71_10
; %bb.9:                                ;   in Loop: Header=BB71_2 Depth=1
	v_bcnt_u32_b32 v0, v0, 0
	v_bcnt_u32_b32 v0, v1, v0
	s_waitcnt lgkmcnt(0)
	v_add_u32_e32 v0, v6, v0
	ds_write_b32 v229, v0 offset:16
.LBB71_10:                              ;   in Loop: Header=BB71_2 Depth=1
	s_or_b64 exec, exec, s[16:17]
	v_cndmask_b32_e64 v0, 0, 1, s[26:27]
	; wave barrier
	v_cmp_ne_u32_e32 vcc, 0, v0
	buffer_load_dword v0, off, s[96:99], 0 offset:36 ; 4-byte Folded Reload
	buffer_load_dword v1, off, s[96:99], 0 offset:32 ; 4-byte Folded Reload
	v_readlane_b32 s16, v252, 28
	v_readlane_b32 s17, v252, 29
	v_cndmask_b32_e64 v50, 0, 1, s[16:17]
	v_readlane_b32 s16, v252, 30
	v_readlane_b32 s17, v252, 31
	s_waitcnt lgkmcnt(0)
	ds_read_b32 v6, v231 offset:16
	; wave barrier
	s_waitcnt vmcnt(1)
	v_xor_b32_e32 v0, vcc_hi, v0
	s_waitcnt vmcnt(0)
	v_xor_b32_e32 v1, vcc_lo, v1
	v_cmp_ne_u32_e32 vcc, 0, v50
	v_and_b32_e32 v0, exec_hi, v0
	v_xor_b32_e32 v50, vcc_hi, v99
	v_and_b32_e32 v0, v0, v50
	v_cndmask_b32_e64 v50, 0, 1, s[16:17]
	v_and_b32_e32 v1, exec_lo, v1
	v_xor_b32_e32 v51, vcc_lo, v92
	v_cmp_ne_u32_e32 vcc, 0, v50
	v_readlane_b32 s16, v252, 32
	v_and_b32_e32 v1, v1, v51
	v_xor_b32_e32 v50, vcc_hi, v100
	v_xor_b32_e32 v51, vcc_lo, v93
	v_readlane_b32 s17, v252, 33
	v_and_b32_e32 v0, v0, v50
	v_and_b32_e32 v50, v1, v51
	v_cndmask_b32_e64 v1, 0, 1, s[16:17]
	v_cmp_ne_u32_e32 vcc, 0, v1
	v_xor_b32_e32 v1, vcc_hi, v161
	v_xor_b32_e32 v51, vcc_lo, v102
	v_and_b32_e32 v1, v0, v1
	v_and_b32_e32 v0, v50, v51
	v_mbcnt_lo_u32_b32 v50, v0, 0
	v_mbcnt_hi_u32_b32 v50, v1, v50
	v_cmp_ne_u64_e32 vcc, 0, v[0:1]
	v_cmp_eq_u32_e64 s[16:17], 0, v50
	s_and_b64 vcc, vcc, s[16:17]
	s_and_saveexec_b64 s[16:17], vcc
	s_cbranch_execz .LBB71_12
; %bb.11:                               ;   in Loop: Header=BB71_2 Depth=1
	v_bcnt_u32_b32 v0, v0, 0
	v_bcnt_u32_b32 v0, v1, v0
	s_waitcnt lgkmcnt(0)
	v_add_u32_e32 v0, v6, v0
	ds_write_b32 v231, v0 offset:16
.LBB71_12:                              ;   in Loop: Header=BB71_2 Depth=1
	s_or_b64 exec, exec, s[16:17]
	v_cndmask_b32_e64 v0, 0, 1, s[28:29]
	; wave barrier
	v_cmp_ne_u32_e32 vcc, 0, v0
	buffer_load_dword v0, off, s[96:99], 0 offset:44 ; 4-byte Folded Reload
	buffer_load_dword v1, off, s[96:99], 0 offset:40 ; 4-byte Folded Reload
	v_readlane_b32 s16, v252, 34
	v_readlane_b32 s17, v252, 35
	v_cndmask_b32_e64 v50, 0, 1, s[16:17]
	v_readlane_b32 s16, v252, 36
	v_readlane_b32 s17, v252, 37
	s_waitcnt lgkmcnt(0)
	ds_read_b32 v6, v232 offset:16
	; wave barrier
	s_waitcnt vmcnt(1)
	v_xor_b32_e32 v0, vcc_hi, v0
	s_waitcnt vmcnt(0)
	v_xor_b32_e32 v1, vcc_lo, v1
	v_cmp_ne_u32_e32 vcc, 0, v50
	v_and_b32_e32 v0, exec_hi, v0
	v_xor_b32_e32 v50, vcc_hi, v162
	v_and_b32_e32 v0, v0, v50
	v_cndmask_b32_e64 v50, 0, 1, s[16:17]
	v_and_b32_e32 v1, exec_lo, v1
	v_xor_b32_e32 v51, vcc_lo, v103
	v_cmp_ne_u32_e32 vcc, 0, v50
	v_readlane_b32 s16, v252, 38
	v_and_b32_e32 v1, v1, v51
	v_xor_b32_e32 v50, vcc_hi, v163
	v_xor_b32_e32 v51, vcc_lo, v104
	v_readlane_b32 s17, v252, 39
	v_and_b32_e32 v0, v0, v50
	v_and_b32_e32 v50, v1, v51
	v_cndmask_b32_e64 v1, 0, 1, s[16:17]
	v_cmp_ne_u32_e32 vcc, 0, v1
	v_xor_b32_e32 v1, vcc_hi, v164
	v_xor_b32_e32 v51, vcc_lo, v105
	v_and_b32_e32 v1, v0, v1
	v_and_b32_e32 v0, v50, v51
	v_mbcnt_lo_u32_b32 v50, v0, 0
	v_mbcnt_hi_u32_b32 v50, v1, v50
	v_cmp_ne_u64_e32 vcc, 0, v[0:1]
	v_cmp_eq_u32_e64 s[16:17], 0, v50
	s_and_b64 vcc, vcc, s[16:17]
	s_and_saveexec_b64 s[16:17], vcc
	s_cbranch_execz .LBB71_14
; %bb.13:                               ;   in Loop: Header=BB71_2 Depth=1
	v_bcnt_u32_b32 v0, v0, 0
	v_bcnt_u32_b32 v0, v1, v0
	s_waitcnt lgkmcnt(0)
	v_add_u32_e32 v0, v6, v0
	ds_write_b32 v232, v0 offset:16
.LBB71_14:                              ;   in Loop: Header=BB71_2 Depth=1
	;; [unrolled: 53-line block ×12, first 2 shown]
	s_or_b64 exec, exec, s[16:17]
	; wave barrier
	s_waitcnt lgkmcnt(0)
	s_barrier
	ds_read_b32 v0, v85 offset:16
	s_waitcnt lgkmcnt(0)
	s_nop 0
	v_mov_b32_dpp v1, v0 row_shr:1 row_mask:0xf bank_mask:0xf
	v_cndmask_b32_e64 v1, v1, 0, s[4:5]
	v_add_u32_e32 v0, v1, v0
	s_nop 1
	v_mov_b32_dpp v1, v0 row_shr:2 row_mask:0xf bank_mask:0xf
	v_cndmask_b32_e64 v1, 0, v1, s[6:7]
	v_add_u32_e32 v0, v0, v1
	;; [unrolled: 4-line block ×4, first 2 shown]
	s_nop 1
	v_mov_b32_dpp v1, v0 row_bcast:15 row_mask:0xf bank_mask:0xf
	v_cndmask_b32_e64 v1, v1, 0, s[12:13]
	v_add_u32_e32 v0, v0, v1
	s_nop 1
	v_mov_b32_dpp v1, v0 row_bcast:31 row_mask:0xf bank_mask:0xf
	v_cndmask_b32_e64 v1, 0, v1, s[14:15]
	v_add_u32_e32 v0, v0, v1
	s_and_saveexec_b64 s[16:17], s[94:95]
; %bb.35:                               ;   in Loop: Header=BB71_2 Depth=1
	ds_write_b32 v3, v0
; %bb.36:                               ;   in Loop: Header=BB71_2 Depth=1
	s_or_b64 exec, exec, s[16:17]
	s_waitcnt lgkmcnt(0)
	s_barrier
	s_and_saveexec_b64 s[16:17], s[0:1]
	s_cbranch_execz .LBB71_38
; %bb.37:                               ;   in Loop: Header=BB71_2 Depth=1
	ds_read_b32 v1, v85
	v_readlane_b32 vcc_lo, v254, 62
	v_readlane_b32 vcc_hi, v254, 63
	s_waitcnt lgkmcnt(0)
	v_mov_b32_dpp v6, v1 row_shr:1 row_mask:0xf bank_mask:0xf
	v_cndmask_b32_e64 v6, v6, 0, vcc
	v_add_u32_e32 v1, v6, v1
	v_readlane_b32 vcc_lo, v255, 0
	v_readlane_b32 vcc_hi, v255, 1
	v_mov_b32_dpp v6, v1 row_shr:2 row_mask:0xf bank_mask:0xf
	v_cndmask_b32_e32 v6, 0, v6, vcc
	v_add_u32_e32 v1, v1, v6
	ds_write_b32 v85, v1
.LBB71_38:                              ;   in Loop: Header=BB71_2 Depth=1
	s_or_b64 exec, exec, s[16:17]
	v_mov_b32_e32 v1, 0
	s_waitcnt lgkmcnt(0)
	s_barrier
	s_and_saveexec_b64 s[16:17], s[2:3]
; %bb.39:                               ;   in Loop: Header=BB71_2 Depth=1
	v_add_u32_e32 v1, -4, v3
	ds_read_b32 v1, v1
; %bb.40:                               ;   in Loop: Header=BB71_2 Depth=1
	s_or_b64 exec, exec, s[16:17]
	s_waitcnt lgkmcnt(0)
	v_add_u32_e32 v0, v1, v0
	ds_bpermute_b32 v0, v101, v0
	v_readlane_b32 s16, v253, 36
	v_readlane_b32 s17, v253, 37
	v_cndmask_b32_e64 v6, 0, 1, s[16:17]
	v_readlane_b32 s16, v253, 38
	s_waitcnt lgkmcnt(0)
	v_cndmask_b32_e64 v0, v0, v1, s[92:93]
	ds_write_b32 v85, v0 offset:16
	v_cndmask_b32_e64 v0, 0, 1, s[52:53]
	s_waitcnt lgkmcnt(0)
	s_barrier
	ds_write_b32 v85, v7 offset:16
	s_waitcnt lgkmcnt(0)
	s_barrier
	v_cmp_ne_u32_e32 vcc, 0, v0
	buffer_load_dword v0, off, s[96:99], 0 offset:132 ; 4-byte Folded Reload
	buffer_load_dword v1, off, s[96:99], 0 offset:128 ; 4-byte Folded Reload
	v_readlane_b32 s17, v253, 39
	; wave barrier
	s_waitcnt vmcnt(1)
	v_xor_b32_e32 v0, vcc_hi, v0
	s_waitcnt vmcnt(0)
	v_xor_b32_e32 v1, vcc_lo, v1
	v_cmp_ne_u32_e32 vcc, 0, v6
	v_and_b32_e32 v0, exec_hi, v0
	v_xor_b32_e32 v6, vcc_hi, v250
	v_and_b32_e32 v0, v0, v6
	v_cndmask_b32_e64 v6, 0, 1, s[16:17]
	v_and_b32_e32 v1, exec_lo, v1
	v_xor_b32_e32 v50, vcc_lo, v137
	v_cmp_ne_u32_e32 vcc, 0, v6
	v_readlane_b32 s16, v253, 40
	v_and_b32_e32 v1, v1, v50
	v_xor_b32_e32 v6, vcc_hi, v251
	v_xor_b32_e32 v50, vcc_lo, v138
	v_readlane_b32 s17, v253, 41
	v_and_b32_e32 v0, v0, v6
	v_and_b32_e32 v6, v1, v50
	v_cndmask_b32_e64 v1, 0, 1, s[16:17]
	v_cmp_ne_u32_e32 vcc, 0, v1
	v_xor_b32_e32 v1, vcc_hi, v139
	v_xor_b32_e32 v50, vcc_lo, v9
	v_and_b32_e32 v1, v0, v1
	v_and_b32_e32 v0, v6, v50
	v_mbcnt_lo_u32_b32 v6, v0, 0
	v_mbcnt_hi_u32_b32 v50, v1, v6
	v_cmp_ne_u64_e32 vcc, 0, v[0:1]
	v_cmp_eq_u32_e64 s[16:17], 0, v50
	s_and_b64 vcc, vcc, s[16:17]
	s_and_saveexec_b64 s[16:17], vcc
	s_cbranch_execz .LBB71_42
; %bb.41:                               ;   in Loop: Header=BB71_2 Depth=1
	v_bcnt_u32_b32 v0, v0, 0
	v_bcnt_u32_b32 v0, v1, v0
	buffer_load_dword v1, off, s[96:99], 0 offset:292 ; 4-byte Folded Reload
	s_waitcnt vmcnt(0)
	v_add_u32_e32 v1, v90, v1
	ds_write_b32 v1, v0 offset:16
.LBB71_42:                              ;   in Loop: Header=BB71_2 Depth=1
	s_or_b64 exec, exec, s[16:17]
	v_cndmask_b32_e64 v0, 0, 1, s[54:55]
	; wave barrier
	v_cmp_ne_u32_e32 vcc, 0, v0
	buffer_load_dword v0, off, s[96:99], 0 offset:140 ; 4-byte Folded Reload
	buffer_load_dword v1, off, s[96:99], 0 offset:136 ; 4-byte Folded Reload
	v_readlane_b32 s16, v253, 42
	v_readlane_b32 s17, v253, 43
	v_cndmask_b32_e64 v6, 0, 1, s[16:17]
	v_readlane_b32 s16, v253, 44
	v_readlane_b32 s17, v253, 45
	ds_read_b32 v51, v204 offset:16
	; wave barrier
	s_waitcnt vmcnt(1)
	v_xor_b32_e32 v0, vcc_hi, v0
	s_waitcnt vmcnt(0)
	v_xor_b32_e32 v1, vcc_lo, v1
	v_cmp_ne_u32_e32 vcc, 0, v6
	v_and_b32_e32 v0, exec_hi, v0
	v_xor_b32_e32 v6, vcc_hi, v140
	v_and_b32_e32 v0, v0, v6
	v_cndmask_b32_e64 v6, 0, 1, s[16:17]
	v_and_b32_e32 v1, exec_lo, v1
	v_xor_b32_e32 v52, vcc_lo, v5
	v_cmp_ne_u32_e32 vcc, 0, v6
	v_readlane_b32 s16, v253, 46
	v_and_b32_e32 v1, v1, v52
	v_xor_b32_e32 v6, vcc_hi, v8
	v_xor_b32_e32 v52, vcc_lo, v141
	v_readlane_b32 s17, v253, 47
	v_and_b32_e32 v0, v0, v6
	v_and_b32_e32 v6, v1, v52
	v_cndmask_b32_e64 v1, 0, 1, s[16:17]
	v_cmp_ne_u32_e32 vcc, 0, v1
	v_xor_b32_e32 v1, vcc_hi, v142
	v_xor_b32_e32 v52, vcc_lo, v124
	v_and_b32_e32 v1, v0, v1
	v_and_b32_e32 v0, v6, v52
	v_mbcnt_lo_u32_b32 v6, v0, 0
	v_mbcnt_hi_u32_b32 v52, v1, v6
	v_cmp_ne_u64_e32 vcc, 0, v[0:1]
	v_cmp_eq_u32_e64 s[16:17], 0, v52
	s_and_b64 vcc, vcc, s[16:17]
	s_and_saveexec_b64 s[16:17], vcc
	s_cbranch_execz .LBB71_44
; %bb.43:                               ;   in Loop: Header=BB71_2 Depth=1
	v_bcnt_u32_b32 v0, v0, 0
	v_bcnt_u32_b32 v0, v1, v0
	s_waitcnt lgkmcnt(0)
	v_add_u32_e32 v0, v51, v0
	ds_write_b32 v204, v0 offset:16
.LBB71_44:                              ;   in Loop: Header=BB71_2 Depth=1
	s_or_b64 exec, exec, s[16:17]
	v_cndmask_b32_e64 v0, 0, 1, s[56:57]
	; wave barrier
	v_cmp_ne_u32_e32 vcc, 0, v0
	buffer_load_dword v0, off, s[96:99], 0 offset:148 ; 4-byte Folded Reload
	buffer_load_dword v1, off, s[96:99], 0 offset:144 ; 4-byte Folded Reload
	v_readlane_b32 s16, v253, 48
	v_readlane_b32 s17, v253, 49
	v_cndmask_b32_e64 v6, 0, 1, s[16:17]
	v_readlane_b32 s16, v253, 50
	v_readlane_b32 s17, v253, 51
	ds_read_b32 v53, v205 offset:16
	; wave barrier
	s_waitcnt vmcnt(1)
	v_xor_b32_e32 v0, vcc_hi, v0
	s_waitcnt vmcnt(0)
	v_xor_b32_e32 v1, vcc_lo, v1
	v_cmp_ne_u32_e32 vcc, 0, v6
	v_and_b32_e32 v0, exec_hi, v0
	v_xor_b32_e32 v6, vcc_hi, v143
	v_and_b32_e32 v0, v0, v6
	v_cndmask_b32_e64 v6, 0, 1, s[16:17]
	v_and_b32_e32 v1, exec_lo, v1
	v_xor_b32_e32 v54, vcc_lo, v225
	v_cmp_ne_u32_e32 vcc, 0, v6
	v_readlane_b32 s16, v253, 52
	v_and_b32_e32 v1, v1, v54
	v_xor_b32_e32 v6, vcc_hi, v144
	v_xor_b32_e32 v54, vcc_lo, v2
	v_readlane_b32 s17, v253, 53
	v_and_b32_e32 v0, v0, v6
	v_and_b32_e32 v6, v1, v54
	v_cndmask_b32_e64 v1, 0, 1, s[16:17]
	v_cmp_ne_u32_e32 vcc, 0, v1
	v_xor_b32_e32 v1, vcc_hi, v145
	v_xor_b32_e32 v54, vcc_lo, v10
	v_and_b32_e32 v1, v0, v1
	v_and_b32_e32 v0, v6, v54
	v_mbcnt_lo_u32_b32 v6, v0, 0
	v_mbcnt_hi_u32_b32 v54, v1, v6
	v_cmp_ne_u64_e32 vcc, 0, v[0:1]
	v_cmp_eq_u32_e64 s[16:17], 0, v54
	s_and_b64 vcc, vcc, s[16:17]
	s_and_saveexec_b64 s[16:17], vcc
	s_cbranch_execz .LBB71_46
; %bb.45:                               ;   in Loop: Header=BB71_2 Depth=1
	v_bcnt_u32_b32 v0, v0, 0
	v_bcnt_u32_b32 v0, v1, v0
	s_waitcnt lgkmcnt(0)
	v_add_u32_e32 v0, v53, v0
	ds_write_b32 v205, v0 offset:16
.LBB71_46:                              ;   in Loop: Header=BB71_2 Depth=1
	s_or_b64 exec, exec, s[16:17]
	v_cndmask_b32_e64 v0, 0, 1, s[58:59]
	; wave barrier
	v_cmp_ne_u32_e32 vcc, 0, v0
	buffer_load_dword v0, off, s[96:99], 0 offset:156 ; 4-byte Folded Reload
	buffer_load_dword v1, off, s[96:99], 0 offset:152 ; 4-byte Folded Reload
	v_readlane_b32 s16, v253, 54
	v_readlane_b32 s17, v253, 55
	v_cndmask_b32_e64 v6, 0, 1, s[16:17]
	v_readlane_b32 s16, v253, 56
	v_readlane_b32 s17, v253, 57
	ds_read_b32 v55, v208 offset:16
	; wave barrier
	s_waitcnt vmcnt(1)
	v_xor_b32_e32 v0, vcc_hi, v0
	s_waitcnt vmcnt(0)
	v_xor_b32_e32 v1, vcc_lo, v1
	v_cmp_ne_u32_e32 vcc, 0, v6
	v_and_b32_e32 v0, exec_hi, v0
	v_xor_b32_e32 v6, vcc_hi, v146
	v_and_b32_e32 v0, v0, v6
	v_cndmask_b32_e64 v6, 0, 1, s[16:17]
	v_and_b32_e32 v1, exec_lo, v1
	v_xor_b32_e32 v56, vcc_lo, v11
	v_cmp_ne_u32_e32 vcc, 0, v6
	v_readlane_b32 s16, v253, 58
	v_and_b32_e32 v1, v1, v56
	v_xor_b32_e32 v6, vcc_hi, v147
	v_xor_b32_e32 v56, vcc_lo, v12
	v_readlane_b32 s17, v253, 59
	v_and_b32_e32 v0, v0, v6
	v_and_b32_e32 v6, v1, v56
	v_cndmask_b32_e64 v1, 0, 1, s[16:17]
	v_cmp_ne_u32_e32 vcc, 0, v1
	v_xor_b32_e32 v1, vcc_hi, v148
	v_xor_b32_e32 v56, vcc_lo, v13
	v_and_b32_e32 v1, v0, v1
	v_and_b32_e32 v0, v6, v56
	v_mbcnt_lo_u32_b32 v6, v0, 0
	v_mbcnt_hi_u32_b32 v56, v1, v6
	v_cmp_ne_u64_e32 vcc, 0, v[0:1]
	v_cmp_eq_u32_e64 s[16:17], 0, v56
	s_and_b64 vcc, vcc, s[16:17]
	s_and_saveexec_b64 s[16:17], vcc
	s_cbranch_execz .LBB71_48
; %bb.47:                               ;   in Loop: Header=BB71_2 Depth=1
	v_bcnt_u32_b32 v0, v0, 0
	v_bcnt_u32_b32 v0, v1, v0
	s_waitcnt lgkmcnt(0)
	v_add_u32_e32 v0, v55, v0
	ds_write_b32 v208, v0 offset:16
.LBB71_48:                              ;   in Loop: Header=BB71_2 Depth=1
	s_or_b64 exec, exec, s[16:17]
	v_cndmask_b32_e64 v0, 0, 1, s[60:61]
	; wave barrier
	v_cmp_ne_u32_e32 vcc, 0, v0
	buffer_load_dword v0, off, s[96:99], 0 offset:164 ; 4-byte Folded Reload
	buffer_load_dword v1, off, s[96:99], 0 offset:160 ; 4-byte Folded Reload
	v_readlane_b32 s16, v253, 60
	v_readlane_b32 s17, v253, 61
	v_cndmask_b32_e64 v6, 0, 1, s[16:17]
	v_readlane_b32 s16, v253, 62
	v_readlane_b32 s17, v253, 63
	ds_read_b32 v57, v210 offset:16
	; wave barrier
	s_waitcnt vmcnt(1)
	v_xor_b32_e32 v0, vcc_hi, v0
	s_waitcnt vmcnt(0)
	v_xor_b32_e32 v1, vcc_lo, v1
	v_cmp_ne_u32_e32 vcc, 0, v6
	v_and_b32_e32 v0, exec_hi, v0
	v_xor_b32_e32 v6, vcc_hi, v149
	v_and_b32_e32 v0, v0, v6
	v_cndmask_b32_e64 v6, 0, 1, s[16:17]
	v_and_b32_e32 v1, exec_lo, v1
	v_xor_b32_e32 v58, vcc_lo, v14
	v_cmp_ne_u32_e32 vcc, 0, v6
	v_readlane_b32 s16, v254, 0
	v_and_b32_e32 v1, v1, v58
	v_xor_b32_e32 v6, vcc_hi, v150
	v_xor_b32_e32 v58, vcc_lo, v15
	v_readlane_b32 s17, v254, 1
	v_and_b32_e32 v0, v0, v6
	v_and_b32_e32 v6, v1, v58
	v_cndmask_b32_e64 v1, 0, 1, s[16:17]
	v_cmp_ne_u32_e32 vcc, 0, v1
	v_xor_b32_e32 v1, vcc_hi, v151
	v_xor_b32_e32 v58, vcc_lo, v16
	v_and_b32_e32 v1, v0, v1
	v_and_b32_e32 v0, v6, v58
	v_mbcnt_lo_u32_b32 v6, v0, 0
	v_mbcnt_hi_u32_b32 v58, v1, v6
	v_cmp_ne_u64_e32 vcc, 0, v[0:1]
	v_cmp_eq_u32_e64 s[16:17], 0, v58
	s_and_b64 vcc, vcc, s[16:17]
	s_and_saveexec_b64 s[16:17], vcc
	s_cbranch_execz .LBB71_50
; %bb.49:                               ;   in Loop: Header=BB71_2 Depth=1
	v_bcnt_u32_b32 v0, v0, 0
	v_bcnt_u32_b32 v0, v1, v0
	s_waitcnt lgkmcnt(0)
	v_add_u32_e32 v0, v57, v0
	ds_write_b32 v210, v0 offset:16
.LBB71_50:                              ;   in Loop: Header=BB71_2 Depth=1
	s_or_b64 exec, exec, s[16:17]
	v_cndmask_b32_e64 v0, 0, 1, s[62:63]
	; wave barrier
	v_cmp_ne_u32_e32 vcc, 0, v0
	buffer_load_dword v0, off, s[96:99], 0 offset:172 ; 4-byte Folded Reload
	buffer_load_dword v1, off, s[96:99], 0 offset:168 ; 4-byte Folded Reload
	v_readlane_b32 s16, v254, 2
	v_readlane_b32 s17, v254, 3
	v_cndmask_b32_e64 v6, 0, 1, s[16:17]
	v_readlane_b32 s16, v254, 4
	v_readlane_b32 s17, v254, 5
	ds_read_b32 v59, v213 offset:16
	; wave barrier
	s_waitcnt vmcnt(1)
	v_xor_b32_e32 v0, vcc_hi, v0
	s_waitcnt vmcnt(0)
	v_xor_b32_e32 v1, vcc_lo, v1
	v_cmp_ne_u32_e32 vcc, 0, v6
	v_and_b32_e32 v0, exec_hi, v0
	v_xor_b32_e32 v6, vcc_hi, v152
	v_and_b32_e32 v0, v0, v6
	v_cndmask_b32_e64 v6, 0, 1, s[16:17]
	v_and_b32_e32 v1, exec_lo, v1
	v_xor_b32_e32 v60, vcc_lo, v17
	v_cmp_ne_u32_e32 vcc, 0, v6
	v_readlane_b32 s16, v254, 6
	v_and_b32_e32 v1, v1, v60
	v_xor_b32_e32 v6, vcc_hi, v153
	v_xor_b32_e32 v60, vcc_lo, v18
	v_readlane_b32 s17, v254, 7
	v_and_b32_e32 v0, v0, v6
	v_and_b32_e32 v6, v1, v60
	v_cndmask_b32_e64 v1, 0, 1, s[16:17]
	v_cmp_ne_u32_e32 vcc, 0, v1
	v_xor_b32_e32 v1, vcc_hi, v154
	v_xor_b32_e32 v60, vcc_lo, v19
	v_and_b32_e32 v1, v0, v1
	v_and_b32_e32 v0, v6, v60
	v_mbcnt_lo_u32_b32 v6, v0, 0
	v_mbcnt_hi_u32_b32 v60, v1, v6
	v_cmp_ne_u64_e32 vcc, 0, v[0:1]
	v_cmp_eq_u32_e64 s[16:17], 0, v60
	s_and_b64 vcc, vcc, s[16:17]
	s_and_saveexec_b64 s[16:17], vcc
	s_cbranch_execz .LBB71_52
; %bb.51:                               ;   in Loop: Header=BB71_2 Depth=1
	v_bcnt_u32_b32 v0, v0, 0
	v_bcnt_u32_b32 v0, v1, v0
	s_waitcnt lgkmcnt(0)
	v_add_u32_e32 v0, v59, v0
	ds_write_b32 v213, v0 offset:16
.LBB71_52:                              ;   in Loop: Header=BB71_2 Depth=1
	s_or_b64 exec, exec, s[16:17]
	v_cndmask_b32_e64 v0, 0, 1, s[66:67]
	; wave barrier
	v_cmp_ne_u32_e32 vcc, 0, v0
	buffer_load_dword v0, off, s[96:99], 0 offset:180 ; 4-byte Folded Reload
	buffer_load_dword v1, off, s[96:99], 0 offset:176 ; 4-byte Folded Reload
	v_readlane_b32 s16, v254, 8
	v_readlane_b32 s17, v254, 9
	v_cndmask_b32_e64 v6, 0, 1, s[16:17]
	v_readlane_b32 s16, v254, 10
	v_readlane_b32 s17, v254, 11
	ds_read_b32 v61, v215 offset:16
	; wave barrier
	s_waitcnt vmcnt(1)
	v_xor_b32_e32 v0, vcc_hi, v0
	s_waitcnt vmcnt(0)
	v_xor_b32_e32 v1, vcc_lo, v1
	v_cmp_ne_u32_e32 vcc, 0, v6
	v_and_b32_e32 v0, exec_hi, v0
	v_xor_b32_e32 v6, vcc_hi, v155
	v_and_b32_e32 v0, v0, v6
	v_cndmask_b32_e64 v6, 0, 1, s[16:17]
	v_and_b32_e32 v1, exec_lo, v1
	v_xor_b32_e32 v62, vcc_lo, v20
	v_cmp_ne_u32_e32 vcc, 0, v6
	v_readlane_b32 s16, v254, 12
	v_and_b32_e32 v1, v1, v62
	v_xor_b32_e32 v6, vcc_hi, v156
	v_xor_b32_e32 v62, vcc_lo, v21
	v_readlane_b32 s17, v254, 13
	v_and_b32_e32 v0, v0, v6
	v_and_b32_e32 v6, v1, v62
	v_cndmask_b32_e64 v1, 0, 1, s[16:17]
	v_cmp_ne_u32_e32 vcc, 0, v1
	v_xor_b32_e32 v1, vcc_hi, v157
	v_xor_b32_e32 v62, vcc_lo, v22
	v_and_b32_e32 v1, v0, v1
	v_and_b32_e32 v0, v6, v62
	v_mbcnt_lo_u32_b32 v6, v0, 0
	v_mbcnt_hi_u32_b32 v62, v1, v6
	v_cmp_ne_u64_e32 vcc, 0, v[0:1]
	v_cmp_eq_u32_e64 s[16:17], 0, v62
	s_and_b64 vcc, vcc, s[16:17]
	s_and_saveexec_b64 s[16:17], vcc
	s_cbranch_execz .LBB71_54
; %bb.53:                               ;   in Loop: Header=BB71_2 Depth=1
	v_bcnt_u32_b32 v0, v0, 0
	v_bcnt_u32_b32 v0, v1, v0
	s_waitcnt lgkmcnt(0)
	v_add_u32_e32 v0, v61, v0
	ds_write_b32 v215, v0 offset:16
.LBB71_54:                              ;   in Loop: Header=BB71_2 Depth=1
	s_or_b64 exec, exec, s[16:17]
	v_cndmask_b32_e64 v0, 0, 1, s[70:71]
	; wave barrier
	v_cmp_ne_u32_e32 vcc, 0, v0
	buffer_load_dword v0, off, s[96:99], 0 offset:188 ; 4-byte Folded Reload
	buffer_load_dword v1, off, s[96:99], 0 offset:184 ; 4-byte Folded Reload
	v_readlane_b32 s16, v254, 14
	v_readlane_b32 s17, v254, 15
	v_cndmask_b32_e64 v6, 0, 1, s[16:17]
	v_readlane_b32 s16, v254, 16
	v_readlane_b32 s17, v254, 17
	ds_read_b32 v63, v218 offset:16
	; wave barrier
	s_waitcnt vmcnt(1)
	v_xor_b32_e32 v0, vcc_hi, v0
	s_waitcnt vmcnt(0)
	v_xor_b32_e32 v1, vcc_lo, v1
	v_cmp_ne_u32_e32 vcc, 0, v6
	v_and_b32_e32 v0, exec_hi, v0
	v_xor_b32_e32 v6, vcc_hi, v158
	v_and_b32_e32 v0, v0, v6
	v_cndmask_b32_e64 v6, 0, 1, s[16:17]
	v_and_b32_e32 v1, exec_lo, v1
	v_xor_b32_e32 v64, vcc_lo, v23
	v_cmp_ne_u32_e32 vcc, 0, v6
	v_readlane_b32 s16, v254, 18
	v_and_b32_e32 v1, v1, v64
	v_xor_b32_e32 v6, vcc_hi, v159
	v_xor_b32_e32 v64, vcc_lo, v24
	v_readlane_b32 s17, v254, 19
	v_and_b32_e32 v0, v0, v6
	v_and_b32_e32 v6, v1, v64
	v_cndmask_b32_e64 v1, 0, 1, s[16:17]
	v_cmp_ne_u32_e32 vcc, 0, v1
	v_xor_b32_e32 v1, vcc_hi, v160
	v_xor_b32_e32 v64, vcc_lo, v25
	v_and_b32_e32 v1, v0, v1
	v_and_b32_e32 v0, v6, v64
	v_mbcnt_lo_u32_b32 v6, v0, 0
	v_mbcnt_hi_u32_b32 v64, v1, v6
	v_cmp_ne_u64_e32 vcc, 0, v[0:1]
	v_cmp_eq_u32_e64 s[16:17], 0, v64
	s_and_b64 vcc, vcc, s[16:17]
	s_and_saveexec_b64 s[16:17], vcc
	s_cbranch_execz .LBB71_56
; %bb.55:                               ;   in Loop: Header=BB71_2 Depth=1
	v_bcnt_u32_b32 v0, v0, 0
	v_bcnt_u32_b32 v0, v1, v0
	s_waitcnt lgkmcnt(0)
	v_add_u32_e32 v0, v63, v0
	ds_write_b32 v218, v0 offset:16
.LBB71_56:                              ;   in Loop: Header=BB71_2 Depth=1
	s_or_b64 exec, exec, s[16:17]
	v_cndmask_b32_e64 v0, 0, 1, s[74:75]
	; wave barrier
	v_cmp_ne_u32_e32 vcc, 0, v0
	buffer_load_dword v0, off, s[96:99], 0 offset:196 ; 4-byte Folded Reload
	buffer_load_dword v1, off, s[96:99], 0 offset:192 ; 4-byte Folded Reload
	v_readlane_b32 s16, v254, 20
	v_readlane_b32 s17, v254, 21
	v_cndmask_b32_e64 v6, 0, 1, s[16:17]
	v_readlane_b32 s16, v254, 22
	v_readlane_b32 s17, v254, 23
	ds_read_b32 v65, v221 offset:16
	; wave barrier
	s_waitcnt vmcnt(1)
	v_xor_b32_e32 v0, vcc_hi, v0
	s_waitcnt vmcnt(0)
	v_xor_b32_e32 v1, vcc_lo, v1
	v_cmp_ne_u32_e32 vcc, 0, v6
	v_and_b32_e32 v0, exec_hi, v0
	v_xor_b32_e32 v6, vcc_hi, v192
	v_and_b32_e32 v0, v0, v6
	v_cndmask_b32_e64 v6, 0, 1, s[16:17]
	v_and_b32_e32 v1, exec_lo, v1
	v_xor_b32_e32 v66, vcc_lo, v26
	v_cmp_ne_u32_e32 vcc, 0, v6
	v_readlane_b32 s16, v254, 24
	v_and_b32_e32 v1, v1, v66
	v_xor_b32_e32 v6, vcc_hi, v193
	v_xor_b32_e32 v66, vcc_lo, v27
	v_readlane_b32 s17, v254, 25
	v_and_b32_e32 v0, v0, v6
	v_and_b32_e32 v6, v1, v66
	v_cndmask_b32_e64 v1, 0, 1, s[16:17]
	v_cmp_ne_u32_e32 vcc, 0, v1
	v_xor_b32_e32 v1, vcc_hi, v194
	v_xor_b32_e32 v66, vcc_lo, v28
	v_and_b32_e32 v1, v0, v1
	v_and_b32_e32 v0, v6, v66
	v_mbcnt_lo_u32_b32 v6, v0, 0
	v_mbcnt_hi_u32_b32 v66, v1, v6
	v_cmp_ne_u64_e32 vcc, 0, v[0:1]
	v_cmp_eq_u32_e64 s[16:17], 0, v66
	s_and_b64 vcc, vcc, s[16:17]
	s_and_saveexec_b64 s[16:17], vcc
	s_cbranch_execz .LBB71_58
; %bb.57:                               ;   in Loop: Header=BB71_2 Depth=1
	v_bcnt_u32_b32 v0, v0, 0
	v_bcnt_u32_b32 v0, v1, v0
	s_waitcnt lgkmcnt(0)
	v_add_u32_e32 v0, v65, v0
	ds_write_b32 v221, v0 offset:16
.LBB71_58:                              ;   in Loop: Header=BB71_2 Depth=1
	s_or_b64 exec, exec, s[16:17]
	v_cndmask_b32_e64 v0, 0, 1, s[76:77]
	; wave barrier
	v_cmp_ne_u32_e32 vcc, 0, v0
	buffer_load_dword v0, off, s[96:99], 0 offset:204 ; 4-byte Folded Reload
	buffer_load_dword v1, off, s[96:99], 0 offset:200 ; 4-byte Folded Reload
	v_readlane_b32 s16, v254, 26
	v_readlane_b32 s17, v254, 27
	v_cndmask_b32_e64 v6, 0, 1, s[16:17]
	v_readlane_b32 s16, v254, 28
	v_readlane_b32 s17, v254, 29
	ds_read_b32 v67, v224 offset:16
	; wave barrier
	s_waitcnt vmcnt(1)
	v_xor_b32_e32 v0, vcc_hi, v0
	s_waitcnt vmcnt(0)
	v_xor_b32_e32 v1, vcc_lo, v1
	v_cmp_ne_u32_e32 vcc, 0, v6
	v_and_b32_e32 v0, exec_hi, v0
	v_xor_b32_e32 v6, vcc_hi, v195
	v_and_b32_e32 v0, v0, v6
	v_cndmask_b32_e64 v6, 0, 1, s[16:17]
	v_and_b32_e32 v1, exec_lo, v1
	v_xor_b32_e32 v68, vcc_lo, v29
	v_cmp_ne_u32_e32 vcc, 0, v6
	v_readlane_b32 s16, v254, 30
	v_and_b32_e32 v1, v1, v68
	v_xor_b32_e32 v6, vcc_hi, v196
	v_xor_b32_e32 v68, vcc_lo, v30
	v_readlane_b32 s17, v254, 31
	v_and_b32_e32 v0, v0, v6
	v_and_b32_e32 v6, v1, v68
	v_cndmask_b32_e64 v1, 0, 1, s[16:17]
	v_cmp_ne_u32_e32 vcc, 0, v1
	v_xor_b32_e32 v1, vcc_hi, v197
	v_xor_b32_e32 v68, vcc_lo, v31
	v_and_b32_e32 v1, v0, v1
	v_and_b32_e32 v0, v6, v68
	v_mbcnt_lo_u32_b32 v6, v0, 0
	v_mbcnt_hi_u32_b32 v68, v1, v6
	v_cmp_ne_u64_e32 vcc, 0, v[0:1]
	v_cmp_eq_u32_e64 s[16:17], 0, v68
	s_and_b64 vcc, vcc, s[16:17]
	s_and_saveexec_b64 s[16:17], vcc
	s_cbranch_execz .LBB71_60
; %bb.59:                               ;   in Loop: Header=BB71_2 Depth=1
	v_bcnt_u32_b32 v0, v0, 0
	v_bcnt_u32_b32 v0, v1, v0
	s_waitcnt lgkmcnt(0)
	v_add_u32_e32 v0, v67, v0
	ds_write_b32 v224, v0 offset:16
.LBB71_60:                              ;   in Loop: Header=BB71_2 Depth=1
	s_or_b64 exec, exec, s[16:17]
	v_cndmask_b32_e64 v0, 0, 1, s[78:79]
	; wave barrier
	v_cmp_ne_u32_e32 vcc, 0, v0
	buffer_load_dword v0, off, s[96:99], 0 offset:212 ; 4-byte Folded Reload
	buffer_load_dword v1, off, s[96:99], 0 offset:208 ; 4-byte Folded Reload
	v_readlane_b32 s16, v254, 32
	v_readlane_b32 s17, v254, 33
	v_cndmask_b32_e64 v6, 0, 1, s[16:17]
	v_readlane_b32 s16, v254, 34
	v_readlane_b32 s17, v254, 35
	ds_read_b32 v69, v227 offset:16
	; wave barrier
	s_waitcnt vmcnt(1)
	v_xor_b32_e32 v0, vcc_hi, v0
	s_waitcnt vmcnt(0)
	v_xor_b32_e32 v1, vcc_lo, v1
	v_cmp_ne_u32_e32 vcc, 0, v6
	v_and_b32_e32 v0, exec_hi, v0
	v_xor_b32_e32 v6, vcc_hi, v198
	v_and_b32_e32 v0, v0, v6
	v_cndmask_b32_e64 v6, 0, 1, s[16:17]
	v_and_b32_e32 v1, exec_lo, v1
	v_xor_b32_e32 v70, vcc_lo, v32
	v_cmp_ne_u32_e32 vcc, 0, v6
	v_readlane_b32 s16, v254, 36
	v_and_b32_e32 v1, v1, v70
	v_xor_b32_e32 v6, vcc_hi, v199
	v_xor_b32_e32 v70, vcc_lo, v33
	v_readlane_b32 s17, v254, 37
	v_and_b32_e32 v0, v0, v6
	v_and_b32_e32 v6, v1, v70
	v_cndmask_b32_e64 v1, 0, 1, s[16:17]
	v_cmp_ne_u32_e32 vcc, 0, v1
	v_xor_b32_e32 v1, vcc_hi, v200
	v_xor_b32_e32 v70, vcc_lo, v34
	v_and_b32_e32 v1, v0, v1
	v_and_b32_e32 v0, v6, v70
	v_mbcnt_lo_u32_b32 v6, v0, 0
	v_mbcnt_hi_u32_b32 v70, v1, v6
	v_cmp_ne_u64_e32 vcc, 0, v[0:1]
	v_cmp_eq_u32_e64 s[16:17], 0, v70
	s_and_b64 vcc, vcc, s[16:17]
	s_and_saveexec_b64 s[16:17], vcc
	s_cbranch_execz .LBB71_62
; %bb.61:                               ;   in Loop: Header=BB71_2 Depth=1
	v_bcnt_u32_b32 v0, v0, 0
	v_bcnt_u32_b32 v0, v1, v0
	s_waitcnt lgkmcnt(0)
	v_add_u32_e32 v0, v69, v0
	ds_write_b32 v227, v0 offset:16
.LBB71_62:                              ;   in Loop: Header=BB71_2 Depth=1
	s_or_b64 exec, exec, s[16:17]
	v_cndmask_b32_e64 v0, 0, 1, s[80:81]
	; wave barrier
	v_cmp_ne_u32_e32 vcc, 0, v0
	buffer_load_dword v0, off, s[96:99], 0 offset:220 ; 4-byte Folded Reload
	buffer_load_dword v1, off, s[96:99], 0 offset:216 ; 4-byte Folded Reload
	v_readlane_b32 s16, v254, 38
	v_readlane_b32 s17, v254, 39
	v_cndmask_b32_e64 v6, 0, 1, s[16:17]
	v_readlane_b32 s16, v254, 40
	v_readlane_b32 s17, v254, 41
	ds_read_b32 v71, v230 offset:16
	; wave barrier
	s_waitcnt vmcnt(1)
	v_xor_b32_e32 v0, vcc_hi, v0
	s_waitcnt vmcnt(0)
	v_xor_b32_e32 v1, vcc_lo, v1
	v_cmp_ne_u32_e32 vcc, 0, v6
	v_and_b32_e32 v0, exec_hi, v0
	v_xor_b32_e32 v6, vcc_hi, v201
	v_and_b32_e32 v0, v0, v6
	v_cndmask_b32_e64 v6, 0, 1, s[16:17]
	v_and_b32_e32 v1, exec_lo, v1
	v_xor_b32_e32 v72, vcc_lo, v35
	v_cmp_ne_u32_e32 vcc, 0, v6
	v_readlane_b32 s16, v254, 42
	v_and_b32_e32 v1, v1, v72
	v_xor_b32_e32 v6, vcc_hi, v202
	v_xor_b32_e32 v72, vcc_lo, v36
	v_readlane_b32 s17, v254, 43
	v_and_b32_e32 v0, v0, v6
	v_and_b32_e32 v6, v1, v72
	v_cndmask_b32_e64 v1, 0, 1, s[16:17]
	v_cmp_ne_u32_e32 vcc, 0, v1
	v_xor_b32_e32 v1, vcc_hi, v203
	v_xor_b32_e32 v72, vcc_lo, v37
	v_and_b32_e32 v1, v0, v1
	v_and_b32_e32 v0, v6, v72
	v_mbcnt_lo_u32_b32 v6, v0, 0
	v_mbcnt_hi_u32_b32 v72, v1, v6
	v_cmp_ne_u64_e32 vcc, 0, v[0:1]
	v_cmp_eq_u32_e64 s[16:17], 0, v72
	s_and_b64 vcc, vcc, s[16:17]
	s_and_saveexec_b64 s[16:17], vcc
	s_cbranch_execz .LBB71_64
; %bb.63:                               ;   in Loop: Header=BB71_2 Depth=1
	v_bcnt_u32_b32 v0, v0, 0
	v_bcnt_u32_b32 v0, v1, v0
	s_waitcnt lgkmcnt(0)
	v_add_u32_e32 v0, v71, v0
	ds_write_b32 v230, v0 offset:16
.LBB71_64:                              ;   in Loop: Header=BB71_2 Depth=1
	s_or_b64 exec, exec, s[16:17]
	v_cndmask_b32_e64 v0, 0, 1, s[82:83]
	; wave barrier
	v_cmp_ne_u32_e32 vcc, 0, v0
	buffer_load_dword v0, off, s[96:99], 0 offset:228 ; 4-byte Folded Reload
	buffer_load_dword v1, off, s[96:99], 0 offset:224 ; 4-byte Folded Reload
	v_readlane_b32 s16, v254, 44
	v_readlane_b32 s17, v254, 45
	v_cndmask_b32_e64 v79, 0, 1, s[16:17]
	v_readlane_b32 s16, v254, 46
	v_readlane_b32 s17, v254, 47
	ds_read_b32 v6, v233 offset:16
	; wave barrier
	s_waitcnt vmcnt(1)
	v_xor_b32_e32 v0, vcc_hi, v0
	s_waitcnt vmcnt(0)
	v_xor_b32_e32 v1, vcc_lo, v1
	v_cmp_ne_u32_e32 vcc, 0, v79
	v_and_b32_e32 v0, exec_hi, v0
	v_xor_b32_e32 v79, vcc_hi, v206
	v_and_b32_e32 v0, v0, v79
	v_cndmask_b32_e64 v79, 0, 1, s[16:17]
	v_and_b32_e32 v1, exec_lo, v1
	v_xor_b32_e32 v80, vcc_lo, v38
	v_cmp_ne_u32_e32 vcc, 0, v79
	v_readlane_b32 s16, v254, 48
	v_and_b32_e32 v1, v1, v80
	v_xor_b32_e32 v79, vcc_hi, v207
	v_xor_b32_e32 v80, vcc_lo, v39
	v_readlane_b32 s17, v254, 49
	v_and_b32_e32 v0, v0, v79
	v_and_b32_e32 v79, v1, v80
	v_cndmask_b32_e64 v1, 0, 1, s[16:17]
	v_cmp_ne_u32_e32 vcc, 0, v1
	v_xor_b32_e32 v1, vcc_hi, v209
	v_xor_b32_e32 v80, vcc_lo, v40
	v_and_b32_e32 v1, v0, v1
	v_and_b32_e32 v0, v79, v80
	v_mbcnt_lo_u32_b32 v79, v0, 0
	v_mbcnt_hi_u32_b32 v79, v1, v79
	v_cmp_ne_u64_e32 vcc, 0, v[0:1]
	v_cmp_eq_u32_e64 s[16:17], 0, v79
	s_and_b64 vcc, vcc, s[16:17]
	s_and_saveexec_b64 s[16:17], vcc
	s_cbranch_execz .LBB71_66
; %bb.65:                               ;   in Loop: Header=BB71_2 Depth=1
	v_bcnt_u32_b32 v0, v0, 0
	v_bcnt_u32_b32 v0, v1, v0
	s_waitcnt lgkmcnt(0)
	v_add_u32_e32 v0, v6, v0
	ds_write_b32 v233, v0 offset:16
.LBB71_66:                              ;   in Loop: Header=BB71_2 Depth=1
	s_or_b64 exec, exec, s[16:17]
	v_cndmask_b32_e64 v0, 0, 1, s[84:85]
	; wave barrier
	v_cmp_ne_u32_e32 vcc, 0, v0
	buffer_load_dword v0, off, s[96:99], 0 offset:236 ; 4-byte Folded Reload
	buffer_load_dword v1, off, s[96:99], 0 offset:232 ; 4-byte Folded Reload
	v_readlane_b32 s16, v254, 50
	v_readlane_b32 s17, v254, 51
	v_cndmask_b32_e64 v81, 0, 1, s[16:17]
	v_readlane_b32 s16, v254, 52
	v_readlane_b32 s17, v254, 53
	ds_read_b32 v80, v236 offset:16
	; wave barrier
	s_waitcnt vmcnt(1)
	v_xor_b32_e32 v0, vcc_hi, v0
	s_waitcnt vmcnt(0)
	v_xor_b32_e32 v1, vcc_lo, v1
	v_cmp_ne_u32_e32 vcc, 0, v81
	v_and_b32_e32 v0, exec_hi, v0
	v_xor_b32_e32 v81, vcc_hi, v211
	v_and_b32_e32 v0, v0, v81
	v_cndmask_b32_e64 v81, 0, 1, s[16:17]
	v_and_b32_e32 v1, exec_lo, v1
	v_xor_b32_e32 v82, vcc_lo, v41
	v_cmp_ne_u32_e32 vcc, 0, v81
	v_readlane_b32 s16, v254, 54
	v_and_b32_e32 v1, v1, v82
	v_xor_b32_e32 v81, vcc_hi, v212
	v_xor_b32_e32 v82, vcc_lo, v42
	v_readlane_b32 s17, v254, 55
	v_and_b32_e32 v0, v0, v81
	v_and_b32_e32 v81, v1, v82
	v_cndmask_b32_e64 v1, 0, 1, s[16:17]
	v_cmp_ne_u32_e32 vcc, 0, v1
	v_xor_b32_e32 v1, vcc_hi, v214
	v_xor_b32_e32 v82, vcc_lo, v43
	v_and_b32_e32 v1, v0, v1
	v_and_b32_e32 v0, v81, v82
	v_mbcnt_lo_u32_b32 v81, v0, 0
	v_mbcnt_hi_u32_b32 v81, v1, v81
	v_cmp_ne_u64_e32 vcc, 0, v[0:1]
	v_cmp_eq_u32_e64 s[16:17], 0, v81
	s_and_b64 vcc, vcc, s[16:17]
	s_and_saveexec_b64 s[16:17], vcc
	s_cbranch_execz .LBB71_68
; %bb.67:                               ;   in Loop: Header=BB71_2 Depth=1
	v_bcnt_u32_b32 v0, v0, 0
	v_bcnt_u32_b32 v0, v1, v0
	s_waitcnt lgkmcnt(0)
	v_add_u32_e32 v0, v80, v0
	ds_write_b32 v236, v0 offset:16
.LBB71_68:                              ;   in Loop: Header=BB71_2 Depth=1
	s_or_b64 exec, exec, s[16:17]
	v_cndmask_b32_e64 v0, 0, 1, s[86:87]
	; wave barrier
	v_cmp_ne_u32_e32 vcc, 0, v0
	buffer_load_dword v0, off, s[96:99], 0 offset:244 ; 4-byte Folded Reload
	buffer_load_dword v1, off, s[96:99], 0 offset:240 ; 4-byte Folded Reload
	v_readlane_b32 s16, v254, 56
	v_readlane_b32 s17, v254, 57
	v_cndmask_b32_e64 v83, 0, 1, s[16:17]
	v_readlane_b32 s16, v254, 58
	v_readlane_b32 s17, v254, 59
	ds_read_b32 v82, v239 offset:16
	; wave barrier
	s_waitcnt vmcnt(1)
	v_xor_b32_e32 v0, vcc_hi, v0
	s_waitcnt vmcnt(0)
	v_xor_b32_e32 v1, vcc_lo, v1
	v_cmp_ne_u32_e32 vcc, 0, v83
	v_and_b32_e32 v0, exec_hi, v0
	v_xor_b32_e32 v83, vcc_hi, v216
	v_and_b32_e32 v0, v0, v83
	v_cndmask_b32_e64 v83, 0, 1, s[16:17]
	v_and_b32_e32 v1, exec_lo, v1
	v_xor_b32_e32 v84, vcc_lo, v44
	v_cmp_ne_u32_e32 vcc, 0, v83
	v_and_b32_e32 v1, v1, v84
	v_xor_b32_e32 v83, vcc_hi, v217
	v_xor_b32_e32 v84, vcc_lo, v45
	v_and_b32_e32 v0, v0, v83
	v_and_b32_e32 v83, v1, v84
	v_cndmask_b32_e64 v1, 0, 1, s[64:65]
	v_cmp_ne_u32_e32 vcc, 0, v1
	v_xor_b32_e32 v1, vcc_hi, v219
	v_xor_b32_e32 v84, vcc_lo, v46
	v_and_b32_e32 v1, v0, v1
	v_and_b32_e32 v0, v83, v84
	v_mbcnt_lo_u32_b32 v83, v0, 0
	v_mbcnt_hi_u32_b32 v83, v1, v83
	v_cmp_ne_u64_e32 vcc, 0, v[0:1]
	v_cmp_eq_u32_e64 s[16:17], 0, v83
	s_and_b64 vcc, vcc, s[16:17]
	s_and_saveexec_b64 s[16:17], vcc
	s_cbranch_execz .LBB71_70
; %bb.69:                               ;   in Loop: Header=BB71_2 Depth=1
	v_bcnt_u32_b32 v0, v0, 0
	v_bcnt_u32_b32 v0, v1, v0
	s_waitcnt lgkmcnt(0)
	v_add_u32_e32 v0, v82, v0
	ds_write_b32 v239, v0 offset:16
.LBB71_70:                              ;   in Loop: Header=BB71_2 Depth=1
	s_or_b64 exec, exec, s[16:17]
	v_cndmask_b32_e64 v0, 0, 1, s[88:89]
	; wave barrier
	v_cmp_ne_u32_e32 vcc, 0, v0
	buffer_load_dword v0, off, s[96:99], 0 offset:252 ; 4-byte Folded Reload
	buffer_load_dword v1, off, s[96:99], 0 offset:248 ; 4-byte Folded Reload
	v_cndmask_b32_e64 v94, 0, 1, s[68:69]
	ds_read_b32 v84, v243 offset:16
	; wave barrier
	s_waitcnt vmcnt(1)
	v_xor_b32_e32 v0, vcc_hi, v0
	s_waitcnt vmcnt(0)
	v_xor_b32_e32 v1, vcc_lo, v1
	v_cmp_ne_u32_e32 vcc, 0, v94
	v_and_b32_e32 v0, exec_hi, v0
	v_xor_b32_e32 v94, vcc_hi, v220
	v_and_b32_e32 v0, v0, v94
	v_cndmask_b32_e64 v94, 0, 1, s[72:73]
	v_and_b32_e32 v1, exec_lo, v1
	v_xor_b32_e32 v95, vcc_lo, v47
	v_cmp_ne_u32_e32 vcc, 0, v94
	v_and_b32_e32 v1, v1, v95
	v_xor_b32_e32 v94, vcc_hi, v222
	v_xor_b32_e32 v95, vcc_lo, v48
	v_and_b32_e32 v0, v0, v94
	v_and_b32_e32 v94, v1, v95
	v_cndmask_b32_e64 v1, 0, 1, s[90:91]
	v_cmp_ne_u32_e32 vcc, 0, v1
	v_xor_b32_e32 v1, vcc_hi, v223
	v_xor_b32_e32 v95, vcc_lo, v49
	v_and_b32_e32 v1, v0, v1
	v_and_b32_e32 v0, v94, v95
	v_mbcnt_lo_u32_b32 v94, v0, 0
	v_mbcnt_hi_u32_b32 v94, v1, v94
	v_cmp_ne_u64_e32 vcc, 0, v[0:1]
	v_cmp_eq_u32_e64 s[16:17], 0, v94
	s_and_b64 vcc, vcc, s[16:17]
	s_and_saveexec_b64 s[16:17], vcc
	s_cbranch_execz .LBB71_72
; %bb.71:                               ;   in Loop: Header=BB71_2 Depth=1
	v_bcnt_u32_b32 v0, v0, 0
	v_bcnt_u32_b32 v0, v1, v0
	s_waitcnt lgkmcnt(0)
	v_add_u32_e32 v0, v84, v0
	ds_write_b32 v243, v0 offset:16
.LBB71_72:                              ;   in Loop: Header=BB71_2 Depth=1
	s_or_b64 exec, exec, s[16:17]
	; wave barrier
	s_waitcnt lgkmcnt(0)
	s_barrier
	ds_read_b32 v0, v85 offset:16
	s_waitcnt lgkmcnt(0)
	s_nop 0
	v_mov_b32_dpp v1, v0 row_shr:1 row_mask:0xf bank_mask:0xf
	v_cndmask_b32_e64 v1, v1, 0, s[4:5]
	v_add_u32_e32 v0, v1, v0
	s_nop 1
	v_mov_b32_dpp v1, v0 row_shr:2 row_mask:0xf bank_mask:0xf
	v_cndmask_b32_e64 v1, 0, v1, s[6:7]
	v_add_u32_e32 v0, v0, v1
	;; [unrolled: 4-line block ×4, first 2 shown]
	s_nop 1
	v_mov_b32_dpp v1, v0 row_bcast:15 row_mask:0xf bank_mask:0xf
	v_cndmask_b32_e64 v1, v1, 0, s[12:13]
	v_add_u32_e32 v0, v0, v1
	s_nop 1
	v_mov_b32_dpp v1, v0 row_bcast:31 row_mask:0xf bank_mask:0xf
	v_cndmask_b32_e64 v1, 0, v1, s[14:15]
	v_add_u32_e32 v0, v0, v1
	s_and_saveexec_b64 s[16:17], s[94:95]
; %bb.73:                               ;   in Loop: Header=BB71_2 Depth=1
	ds_write_b32 v3, v0
; %bb.74:                               ;   in Loop: Header=BB71_2 Depth=1
	s_or_b64 exec, exec, s[16:17]
	s_waitcnt lgkmcnt(0)
	s_barrier
	s_and_saveexec_b64 s[16:17], s[0:1]
	s_cbranch_execz .LBB71_76
; %bb.75:                               ;   in Loop: Header=BB71_2 Depth=1
	ds_read_b32 v1, v85
	v_readlane_b32 vcc_lo, v254, 62
	v_readlane_b32 vcc_hi, v254, 63
	s_waitcnt lgkmcnt(0)
	v_mov_b32_dpp v95, v1 row_shr:1 row_mask:0xf bank_mask:0xf
	v_cndmask_b32_e64 v95, v95, 0, vcc
	v_add_u32_e32 v1, v95, v1
	v_readlane_b32 vcc_lo, v255, 0
	v_readlane_b32 vcc_hi, v255, 1
	v_mov_b32_dpp v95, v1 row_shr:2 row_mask:0xf bank_mask:0xf
	v_cndmask_b32_e32 v95, 0, v95, vcc
	v_add_u32_e32 v1, v1, v95
	ds_write_b32 v85, v1
.LBB71_76:                              ;   in Loop: Header=BB71_2 Depth=1
	s_or_b64 exec, exec, s[16:17]
	v_mov_b32_e32 v1, 0
	s_waitcnt lgkmcnt(0)
	s_barrier
	s_and_saveexec_b64 s[16:17], s[2:3]
	s_cbranch_execz .LBB71_1
; %bb.77:                               ;   in Loop: Header=BB71_2 Depth=1
	v_add_u32_e32 v1, -4, v3
	ds_read_b32 v1, v1
	s_branch .LBB71_1
.LBB71_78:
	buffer_load_dword v0, off, s[96:99], 0 offset:292 ; 4-byte Folded Reload
	v_readlane_b32 s0, v254, 60
	v_readlane_b32 s4, v252, 0
	;; [unrolled: 1-line block ×5, first 2 shown]
	s_lshl_b64 s[0:1], s[0:1], 2
	s_mov_b64 s[2:3], s[6:7]
	s_add_u32 s0, s2, s0
	s_addc_u32 s1, s3, s1
	v_readlane_b32 s5, v252, 1
	s_waitcnt vmcnt(0)
	v_add_u32_e32 v0, v90, v0
	ds_read_b32 v1, v243 offset:16
	ds_read_b32 v12, v0 offset:16
	;; [unrolled: 1-line block ×16, first 2 shown]
	s_waitcnt lgkmcnt(13)
	v_add3_u32 v2, v83, v82, v0
	s_waitcnt lgkmcnt(11)
	v_add3_u32 v0, v79, v6, v5
	;; [unrolled: 2-line block ×5, first 2 shown]
	buffer_load_dword v16, off, s[96:99], 0 offset:300 ; 4-byte Folded Reload
	v_add3_u32 v3, v94, v84, v1
	v_add3_u32 v1, v81, v80, v4
	;; [unrolled: 1-line block ×6, first 2 shown]
	s_waitcnt lgkmcnt(1)
	v_add3_u32 v14, v54, v53, v17
	s_waitcnt lgkmcnt(0)
	v_add3_u32 v13, v52, v51, v18
	v_add_u32_e32 v12, v12, v50
	v_add3_u32 v7, v72, v71, v7
	v_add3_u32 v11, v64, v63, v11
	s_waitcnt vmcnt(0)
	v_lshlrev_b32_e32 v16, 2, v16
	global_store_dwordx4 v16, v[12:15], s[0:1]
	global_store_dwordx4 v16, v[8:11], s[0:1] offset:16
	global_store_dwordx4 v16, v[4:7], s[0:1] offset:32
	;; [unrolled: 1-line block ×3, first 2 shown]
	s_endpgm
	.section	.rodata,"a",@progbits
	.p2align	6, 0x0
	.amdhsa_kernel _Z11rank_kernelIhLj4ELb0EL18RadixRankAlgorithm2ELj256ELj16ELj10EEvPKT_Pi
		.amdhsa_group_segment_fixed_size 1040
		.amdhsa_private_segment_fixed_size 308
		.amdhsa_kernarg_size 272
		.amdhsa_user_sgpr_count 6
		.amdhsa_user_sgpr_private_segment_buffer 1
		.amdhsa_user_sgpr_dispatch_ptr 0
		.amdhsa_user_sgpr_queue_ptr 0
		.amdhsa_user_sgpr_kernarg_segment_ptr 1
		.amdhsa_user_sgpr_dispatch_id 0
		.amdhsa_user_sgpr_flat_scratch_init 0
		.amdhsa_user_sgpr_private_segment_size 0
		.amdhsa_uses_dynamic_stack 0
		.amdhsa_system_sgpr_private_segment_wavefront_offset 1
		.amdhsa_system_sgpr_workgroup_id_x 1
		.amdhsa_system_sgpr_workgroup_id_y 0
		.amdhsa_system_sgpr_workgroup_id_z 0
		.amdhsa_system_sgpr_workgroup_info 0
		.amdhsa_system_vgpr_workitem_id 2
		.amdhsa_next_free_vgpr 256
		.amdhsa_next_free_sgpr 100
		.amdhsa_reserve_vcc 1
		.amdhsa_reserve_flat_scratch 0
		.amdhsa_float_round_mode_32 0
		.amdhsa_float_round_mode_16_64 0
		.amdhsa_float_denorm_mode_32 3
		.amdhsa_float_denorm_mode_16_64 3
		.amdhsa_dx10_clamp 1
		.amdhsa_ieee_mode 1
		.amdhsa_fp16_overflow 0
		.amdhsa_exception_fp_ieee_invalid_op 0
		.amdhsa_exception_fp_denorm_src 0
		.amdhsa_exception_fp_ieee_div_zero 0
		.amdhsa_exception_fp_ieee_overflow 0
		.amdhsa_exception_fp_ieee_underflow 0
		.amdhsa_exception_fp_ieee_inexact 0
		.amdhsa_exception_int_div_zero 0
	.end_amdhsa_kernel
	.section	.text._Z11rank_kernelIhLj4ELb0EL18RadixRankAlgorithm2ELj256ELj16ELj10EEvPKT_Pi,"axG",@progbits,_Z11rank_kernelIhLj4ELb0EL18RadixRankAlgorithm2ELj256ELj16ELj10EEvPKT_Pi,comdat
.Lfunc_end71:
	.size	_Z11rank_kernelIhLj4ELb0EL18RadixRankAlgorithm2ELj256ELj16ELj10EEvPKT_Pi, .Lfunc_end71-_Z11rank_kernelIhLj4ELb0EL18RadixRankAlgorithm2ELj256ELj16ELj10EEvPKT_Pi
                                        ; -- End function
	.set _Z11rank_kernelIhLj4ELb0EL18RadixRankAlgorithm2ELj256ELj16ELj10EEvPKT_Pi.num_vgpr, 256
	.set _Z11rank_kernelIhLj4ELb0EL18RadixRankAlgorithm2ELj256ELj16ELj10EEvPKT_Pi.num_agpr, 0
	.set _Z11rank_kernelIhLj4ELb0EL18RadixRankAlgorithm2ELj256ELj16ELj10EEvPKT_Pi.numbered_sgpr, 100
	.set _Z11rank_kernelIhLj4ELb0EL18RadixRankAlgorithm2ELj256ELj16ELj10EEvPKT_Pi.num_named_barrier, 0
	.set _Z11rank_kernelIhLj4ELb0EL18RadixRankAlgorithm2ELj256ELj16ELj10EEvPKT_Pi.private_seg_size, 308
	.set _Z11rank_kernelIhLj4ELb0EL18RadixRankAlgorithm2ELj256ELj16ELj10EEvPKT_Pi.uses_vcc, 1
	.set _Z11rank_kernelIhLj4ELb0EL18RadixRankAlgorithm2ELj256ELj16ELj10EEvPKT_Pi.uses_flat_scratch, 0
	.set _Z11rank_kernelIhLj4ELb0EL18RadixRankAlgorithm2ELj256ELj16ELj10EEvPKT_Pi.has_dyn_sized_stack, 0
	.set _Z11rank_kernelIhLj4ELb0EL18RadixRankAlgorithm2ELj256ELj16ELj10EEvPKT_Pi.has_recursion, 0
	.set _Z11rank_kernelIhLj4ELb0EL18RadixRankAlgorithm2ELj256ELj16ELj10EEvPKT_Pi.has_indirect_call, 0
	.section	.AMDGPU.csdata,"",@progbits
; Kernel info:
; codeLenInByte = 16232
; TotalNumSgprs: 104
; NumVgprs: 256
; ScratchSize: 308
; MemoryBound: 0
; FloatMode: 240
; IeeeMode: 1
; LDSByteSize: 1040 bytes/workgroup (compile time only)
; SGPRBlocks: 12
; VGPRBlocks: 63
; NumSGPRsForWavesPerEU: 104
; NumVGPRsForWavesPerEU: 256
; Occupancy: 1
; WaveLimiterHint : 0
; COMPUTE_PGM_RSRC2:SCRATCH_EN: 1
; COMPUTE_PGM_RSRC2:USER_SGPR: 6
; COMPUTE_PGM_RSRC2:TRAP_HANDLER: 0
; COMPUTE_PGM_RSRC2:TGID_X_EN: 1
; COMPUTE_PGM_RSRC2:TGID_Y_EN: 0
; COMPUTE_PGM_RSRC2:TGID_Z_EN: 0
; COMPUTE_PGM_RSRC2:TIDIG_COMP_CNT: 2
	.section	.text._Z11rank_kernelIhLj4ELb0EL18RadixRankAlgorithm0ELj256ELj32ELj10EEvPKT_Pi,"axG",@progbits,_Z11rank_kernelIhLj4ELb0EL18RadixRankAlgorithm0ELj256ELj32ELj10EEvPKT_Pi,comdat
	.protected	_Z11rank_kernelIhLj4ELb0EL18RadixRankAlgorithm0ELj256ELj32ELj10EEvPKT_Pi ; -- Begin function _Z11rank_kernelIhLj4ELb0EL18RadixRankAlgorithm0ELj256ELj32ELj10EEvPKT_Pi
	.globl	_Z11rank_kernelIhLj4ELb0EL18RadixRankAlgorithm0ELj256ELj32ELj10EEvPKT_Pi
	.p2align	8
	.type	_Z11rank_kernelIhLj4ELb0EL18RadixRankAlgorithm0ELj256ELj32ELj10EEvPKT_Pi,@function
_Z11rank_kernelIhLj4ELb0EL18RadixRankAlgorithm0ELj256ELj32ELj10EEvPKT_Pi: ; @_Z11rank_kernelIhLj4ELb0EL18RadixRankAlgorithm0ELj256ELj32ELj10EEvPKT_Pi
; %bb.0:
	s_load_dwordx4 s[24:27], s[4:5], 0x0
	s_lshl_b32 s28, s6, 13
	v_lshlrev_b32_e32 v9, 5, v0
	v_mbcnt_lo_u32_b32 v10, -1, 0
	v_mbcnt_hi_u32_b32 v10, -1, v10
	s_waitcnt lgkmcnt(0)
	s_add_u32 s0, s24, s28
	s_addc_u32 s1, s25, 0
	global_load_dwordx4 v[1:4], v9, s[0:1]
	global_load_dwordx4 v[5:8], v9, s[0:1] offset:16
	v_and_b32_e32 v11, 15, v10
	v_cmp_eq_u32_e64 s[0:1], 0, v11
	v_cmp_lt_u32_e64 s[2:3], 1, v11
	v_cmp_lt_u32_e64 s[4:5], 3, v11
	;; [unrolled: 1-line block ×3, first 2 shown]
	v_and_b32_e32 v11, 16, v10
	v_cmp_eq_u32_e64 s[8:9], 0, v11
	v_or_b32_e32 v11, 63, v0
	v_cmp_eq_u32_e64 s[12:13], v0, v11
	v_subrev_co_u32_e64 v11, s[18:19], 1, v10
	v_and_b32_e32 v12, 64, v10
	v_cmp_lt_i32_e32 vcc, v11, v12
	v_cndmask_b32_e32 v11, v11, v10, vcc
	v_lshlrev_b32_e32 v41, 2, v11
	v_lshrrev_b32_e32 v11, 4, v0
	s_mov_b32 s29, 0
	v_cmp_lt_u32_e64 s[10:11], 31, v10
	v_and_b32_e32 v43, 12, v11
	v_mul_i32_i24_e32 v11, 0xffffffe4, v0
	v_and_b32_e32 v10, 3, v10
	v_mov_b32_e32 v36, 0
	v_cmp_gt_u32_e64 s[14:15], 4, v0
	v_cmp_lt_u32_e64 s[16:17], 63, v0
	v_cmp_eq_u32_e64 s[20:21], 0, v10
	v_cmp_lt_u32_e64 s[22:23], 1, v10
	v_lshlrev_b32_e32 v45, 2, v0
	v_or_b32_e32 v46, 0xffffff00, v0
	s_movk_i32 s33, 0x6ff
	s_movk_i32 s34, 0x700
	v_add_u32_e32 v48, v9, v11
	s_mov_b32 s35, s29
	s_branch .LBB72_2
.LBB72_1:                               ;   in Loop: Header=BB72_2 Depth=1
	s_add_i32 s35, s35, 1
	s_cmp_eq_u32 s35, 10
	s_cbranch_scc1 .LBB72_12
.LBB72_2:                               ; =>This Loop Header: Depth=1
                                        ;     Child Loop BB72_4 Depth 2
                                        ;       Child Loop BB72_5 Depth 3
	s_mov_b32 s36, 28
	s_mov_b64 s[24:25], -1
	s_branch .LBB72_4
.LBB72_3:                               ;   in Loop: Header=BB72_4 Depth=2
	s_or_b64 exec, exec, s[30:31]
	s_waitcnt lgkmcnt(0)
	v_add_u32_e32 v80, v81, v80
	ds_bpermute_b32 v80, v41, v80
	ds_read_b32 v88, v36 offset:8204
	ds_read2_b64 v[82:85], v9 offset1:1
	ds_read_b64 v[86:87], v9 offset:16
	ds_read_b32 v89, v9 offset:24
	s_mov_b32 s36, 24
	s_andn2_b64 vcc, exec, s[24:25]
	s_mov_b64 s[24:25], 0
	s_waitcnt lgkmcnt(4)
	v_cndmask_b32_e64 v80, v80, v81, s[18:19]
	s_waitcnt lgkmcnt(3)
	v_lshl_add_u32 v80, v88, 16, v80
	s_waitcnt lgkmcnt(2)
	v_add_u32_e32 v81, v80, v82
	v_add_u32_e32 v82, v83, v81
	;; [unrolled: 1-line block ×3, first 2 shown]
	ds_write2_b64 v9, v[80:81], v[82:83] offset1:1
	v_add_u32_e32 v80, v85, v83
	s_waitcnt lgkmcnt(2)
	v_add_u32_e32 v81, v86, v80
	v_add_u32_e32 v82, v87, v81
	s_waitcnt lgkmcnt(1)
	v_add_u32_e32 v83, v89, v82
	ds_write2_b64 v9, v[80:81], v[82:83] offset0:2 offset1:3
	s_waitcnt lgkmcnt(0)
	s_barrier
	s_cbranch_vccz .LBB72_1
.LBB72_4:                               ;   Parent Loop BB72_2 Depth=1
                                        ; =>  This Loop Header: Depth=2
                                        ;       Child Loop BB72_5 Depth 3
	s_xor_b64 s[24:25], s[24:25], -1
	s_mov_b64 s[30:31], 0
	v_mov_b32_e32 v10, v46
	v_mov_b32_e32 v11, v45
.LBB72_5:                               ;   Parent Loop BB72_2 Depth=1
                                        ;     Parent Loop BB72_4 Depth=2
                                        ; =>    This Inner Loop Header: Depth=3
	v_add_u32_e32 v10, 0x100, v10
	v_cmp_lt_u32_e32 vcc, s33, v10
	ds_write_b32 v11, v36
	s_or_b64 s[30:31], vcc, s[30:31]
	v_add_u32_e32 v11, 0x400, v11
	s_andn2_b64 exec, exec, s[30:31]
	s_cbranch_execnz .LBB72_5
; %bb.6:                                ;   in Loop: Header=BB72_4 Depth=2
	s_or_b64 exec, exec, s[30:31]
	s_waitcnt vmcnt(1)
	v_lshlrev_b32_sdwa v10, s36, v1 dst_sel:DWORD dst_unused:UNUSED_PAD src0_sel:DWORD src1_sel:BYTE_0
	v_lshrrev_b32_e32 v11, 20, v10
	v_and_or_b32 v11, v11, s34, v0
	v_alignbit_b32 v10, v11, v10, 31
	v_lshlrev_b32_e32 v14, 1, v10
	ds_read_u16 v12, v14
	v_lshlrev_b32_sdwa v10, s36, v1 dst_sel:DWORD dst_unused:UNUSED_PAD src0_sel:DWORD src1_sel:BYTE_1
	v_lshrrev_b32_e32 v11, 20, v10
	v_and_or_b32 v11, v11, s34, v0
	v_alignbit_b32 v10, v11, v10, 31
	s_waitcnt lgkmcnt(0)
	v_add_u16_e32 v11, 1, v12
	ds_write_b16 v14, v11
	v_lshlrev_b32_e32 v17, 1, v10
	ds_read_u16 v16, v17
	v_lshlrev_b32_sdwa v10, s36, v1 dst_sel:DWORD dst_unused:UNUSED_PAD src0_sel:DWORD src1_sel:BYTE_2
	v_lshrrev_b32_e32 v11, 20, v10
	v_and_or_b32 v11, v11, s34, v0
	v_alignbit_b32 v10, v11, v10, 31
	s_waitcnt lgkmcnt(0)
	v_add_u16_e32 v13, 1, v16
	ds_write_b16 v17, v13
	v_lshlrev_b32_e32 v21, 1, v10
	ds_read_u16 v19, v21
	v_lshlrev_b32_sdwa v10, s36, v1 dst_sel:DWORD dst_unused:UNUSED_PAD src0_sel:DWORD src1_sel:BYTE_3
	v_lshrrev_b32_e32 v11, 20, v10
	v_and_or_b32 v11, v11, s34, v0
	v_alignbit_b32 v10, v11, v10, 31
	s_waitcnt lgkmcnt(0)
	v_add_u16_e32 v13, 1, v19
	ds_write_b16 v21, v13
	v_lshlrev_b32_e32 v56, 1, v10
	ds_read_u16 v24, v56
	v_lshlrev_b32_sdwa v10, s36, v2 dst_sel:DWORD dst_unused:UNUSED_PAD src0_sel:DWORD src1_sel:BYTE_0
	s_waitcnt lgkmcnt(0)
	v_add_u16_e32 v11, 1, v24
	ds_write_b16 v56, v11
	v_lshrrev_b32_e32 v11, 20, v10
	v_and_or_b32 v11, v11, s34, v0
	v_alignbit_b32 v10, v11, v10, 31
	v_lshlrev_b32_e32 v28, 1, v10
	ds_read_u16 v10, v28
	s_waitcnt lgkmcnt(0)
	v_add_u16_e32 v11, 1, v10
	ds_write_b16 v28, v11
	v_lshlrev_b32_sdwa v11, s36, v2 dst_sel:DWORD dst_unused:UNUSED_PAD src0_sel:DWORD src1_sel:BYTE_1
	v_lshrrev_b32_e32 v13, 20, v11
	v_and_or_b32 v13, v13, s34, v0
	v_alignbit_b32 v11, v13, v11, 31
	v_lshlrev_b32_e32 v30, 1, v11
	ds_read_u16 v11, v30
	s_waitcnt lgkmcnt(0)
	v_add_u16_e32 v13, 1, v11
	ds_write_b16 v30, v13
	v_lshlrev_b32_sdwa v13, s36, v2 dst_sel:DWORD dst_unused:UNUSED_PAD src0_sel:DWORD src1_sel:BYTE_2
	v_lshrrev_b32_e32 v15, 20, v13
	v_and_or_b32 v15, v15, s34, v0
	v_alignbit_b32 v13, v15, v13, 31
	v_lshlrev_b32_e32 v32, 1, v13
	ds_read_u16 v13, v32
	s_waitcnt lgkmcnt(0)
	v_add_u16_e32 v15, 1, v13
	ds_write_b16 v32, v15
	v_lshlrev_b32_sdwa v15, s36, v2 dst_sel:DWORD dst_unused:UNUSED_PAD src0_sel:DWORD src1_sel:BYTE_3
	v_lshrrev_b32_e32 v18, 20, v15
	v_and_or_b32 v18, v18, s34, v0
	v_alignbit_b32 v15, v18, v15, 31
	v_lshlrev_b32_e32 v35, 1, v15
	ds_read_u16 v15, v35
	s_waitcnt lgkmcnt(0)
	v_add_u16_e32 v18, 1, v15
	ds_write_b16 v35, v18
	v_lshlrev_b32_sdwa v18, s36, v3 dst_sel:DWORD dst_unused:UNUSED_PAD src0_sel:DWORD src1_sel:BYTE_0
	v_lshrrev_b32_e32 v20, 20, v18
	v_and_or_b32 v20, v20, s34, v0
	v_alignbit_b32 v18, v20, v18, 31
	v_lshlrev_b32_e32 v20, 1, v18
	ds_read_u16 v18, v20
	s_waitcnt lgkmcnt(0)
	v_add_u16_e32 v22, 1, v18
	ds_write_b16 v20, v22
	v_lshlrev_b32_sdwa v22, s36, v3 dst_sel:DWORD dst_unused:UNUSED_PAD src0_sel:DWORD src1_sel:BYTE_1
	v_lshrrev_b32_e32 v23, 20, v22
	v_and_or_b32 v23, v23, s34, v0
	v_alignbit_b32 v22, v23, v22, 31
	v_lshlrev_b32_e32 v23, 1, v22
	ds_read_u16 v22, v23
	s_waitcnt lgkmcnt(0)
	v_add_u16_e32 v25, 1, v22
	ds_write_b16 v23, v25
	v_lshlrev_b32_sdwa v25, s36, v3 dst_sel:DWORD dst_unused:UNUSED_PAD src0_sel:DWORD src1_sel:BYTE_2
	v_lshrrev_b32_e32 v26, 20, v25
	v_and_or_b32 v26, v26, s34, v0
	v_alignbit_b32 v25, v26, v25, 31
	v_lshlrev_b32_e32 v26, 1, v25
	ds_read_u16 v25, v26
	s_waitcnt lgkmcnt(0)
	v_add_u16_e32 v27, 1, v25
	ds_write_b16 v26, v27
	v_lshlrev_b32_sdwa v27, s36, v3 dst_sel:DWORD dst_unused:UNUSED_PAD src0_sel:DWORD src1_sel:BYTE_3
	v_lshrrev_b32_e32 v29, 20, v27
	v_and_or_b32 v29, v29, s34, v0
	v_alignbit_b32 v27, v29, v27, 31
	v_lshlrev_b32_e32 v29, 1, v27
	ds_read_u16 v27, v29
	s_waitcnt lgkmcnt(0)
	v_add_u16_e32 v31, 1, v27
	ds_write_b16 v29, v31
	v_lshlrev_b32_sdwa v31, s36, v4 dst_sel:DWORD dst_unused:UNUSED_PAD src0_sel:DWORD src1_sel:BYTE_0
	v_lshrrev_b32_e32 v33, 20, v31
	v_and_or_b32 v33, v33, s34, v0
	v_alignbit_b32 v31, v33, v31, 31
	v_lshlrev_b32_e32 v33, 1, v31
	ds_read_u16 v31, v33
	s_waitcnt lgkmcnt(0)
	v_add_u16_e32 v34, 1, v31
	ds_write_b16 v33, v34
	v_lshlrev_b32_sdwa v34, s36, v4 dst_sel:DWORD dst_unused:UNUSED_PAD src0_sel:DWORD src1_sel:BYTE_1
	v_lshrrev_b32_e32 v37, 20, v34
	v_and_or_b32 v37, v37, s34, v0
	v_alignbit_b32 v34, v37, v34, 31
	v_lshlrev_b32_e32 v37, 1, v34
	ds_read_u16 v34, v37
	s_waitcnt lgkmcnt(0)
	v_add_u16_e32 v38, 1, v34
	ds_write_b16 v37, v38
	v_lshlrev_b32_sdwa v38, s36, v4 dst_sel:DWORD dst_unused:UNUSED_PAD src0_sel:DWORD src1_sel:BYTE_2
	v_lshrrev_b32_e32 v39, 20, v38
	v_and_or_b32 v39, v39, s34, v0
	v_alignbit_b32 v38, v39, v38, 31
	v_lshlrev_b32_e32 v39, 1, v38
	ds_read_u16 v38, v39
	s_waitcnt lgkmcnt(0)
	v_add_u16_e32 v40, 1, v38
	ds_write_b16 v39, v40
	v_lshlrev_b32_sdwa v40, s36, v4 dst_sel:DWORD dst_unused:UNUSED_PAD src0_sel:DWORD src1_sel:BYTE_3
	v_lshrrev_b32_e32 v42, 20, v40
	v_and_or_b32 v42, v42, s34, v0
	v_alignbit_b32 v40, v42, v40, 31
	v_lshlrev_b32_e32 v42, 1, v40
	ds_read_u16 v40, v42
	s_waitcnt lgkmcnt(0)
	v_add_u16_e32 v44, 1, v40
	ds_write_b16 v42, v44
	s_waitcnt vmcnt(0)
	v_lshlrev_b32_sdwa v44, s36, v5 dst_sel:DWORD dst_unused:UNUSED_PAD src0_sel:DWORD src1_sel:BYTE_0
	v_lshrrev_b32_e32 v47, 20, v44
	v_and_or_b32 v47, v47, s34, v0
	v_alignbit_b32 v44, v47, v44, 31
	v_lshlrev_b32_e32 v47, 1, v44
	ds_read_u16 v44, v47
	s_waitcnt lgkmcnt(0)
	v_add_u16_e32 v49, 1, v44
	ds_write_b16 v47, v49
	v_lshlrev_b32_sdwa v49, s36, v5 dst_sel:DWORD dst_unused:UNUSED_PAD src0_sel:DWORD src1_sel:BYTE_1
	v_lshrrev_b32_e32 v50, 20, v49
	v_and_or_b32 v50, v50, s34, v0
	v_alignbit_b32 v49, v50, v49, 31
	v_lshlrev_b32_e32 v50, 1, v49
	ds_read_u16 v49, v50
	s_waitcnt lgkmcnt(0)
	v_add_u16_e32 v51, 1, v49
	ds_write_b16 v50, v51
	v_lshlrev_b32_sdwa v51, s36, v5 dst_sel:DWORD dst_unused:UNUSED_PAD src0_sel:DWORD src1_sel:BYTE_2
	v_lshrrev_b32_e32 v52, 20, v51
	v_and_or_b32 v52, v52, s34, v0
	v_alignbit_b32 v51, v52, v51, 31
	v_lshlrev_b32_e32 v52, 1, v51
	ds_read_u16 v51, v52
	s_waitcnt lgkmcnt(0)
	v_add_u16_e32 v53, 1, v51
	ds_write_b16 v52, v53
	v_lshlrev_b32_sdwa v53, s36, v5 dst_sel:DWORD dst_unused:UNUSED_PAD src0_sel:DWORD src1_sel:BYTE_3
	v_lshrrev_b32_e32 v54, 20, v53
	v_and_or_b32 v54, v54, s34, v0
	v_alignbit_b32 v53, v54, v53, 31
	v_lshlrev_b32_e32 v54, 1, v53
	ds_read_u16 v53, v54
	s_waitcnt lgkmcnt(0)
	v_add_u16_e32 v55, 1, v53
	ds_write_b16 v54, v55
	v_lshlrev_b32_sdwa v55, s36, v6 dst_sel:DWORD dst_unused:UNUSED_PAD src0_sel:DWORD src1_sel:BYTE_0
	v_lshrrev_b32_e32 v57, 20, v55
	v_and_or_b32 v57, v57, s34, v0
	v_alignbit_b32 v55, v57, v55, 31
	v_lshlrev_b32_e32 v57, 1, v55
	ds_read_u16 v55, v57
	s_waitcnt lgkmcnt(0)
	v_add_u16_e32 v58, 1, v55
	ds_write_b16 v57, v58
	v_lshlrev_b32_sdwa v58, s36, v6 dst_sel:DWORD dst_unused:UNUSED_PAD src0_sel:DWORD src1_sel:BYTE_1
	v_lshrrev_b32_e32 v59, 20, v58
	v_and_or_b32 v59, v59, s34, v0
	v_alignbit_b32 v58, v59, v58, 31
	v_lshlrev_b32_e32 v59, 1, v58
	ds_read_u16 v58, v59
	s_waitcnt lgkmcnt(0)
	v_add_u16_e32 v60, 1, v58
	ds_write_b16 v59, v60
	v_lshlrev_b32_sdwa v60, s36, v6 dst_sel:DWORD dst_unused:UNUSED_PAD src0_sel:DWORD src1_sel:BYTE_2
	v_lshrrev_b32_e32 v61, 20, v60
	v_and_or_b32 v61, v61, s34, v0
	v_alignbit_b32 v60, v61, v60, 31
	v_lshlrev_b32_e32 v61, 1, v60
	ds_read_u16 v60, v61
	s_waitcnt lgkmcnt(0)
	v_add_u16_e32 v62, 1, v60
	ds_write_b16 v61, v62
	v_lshlrev_b32_sdwa v62, s36, v6 dst_sel:DWORD dst_unused:UNUSED_PAD src0_sel:DWORD src1_sel:BYTE_3
	v_lshrrev_b32_e32 v63, 20, v62
	v_and_or_b32 v63, v63, s34, v0
	v_alignbit_b32 v62, v63, v62, 31
	v_lshlrev_b32_e32 v63, 1, v62
	ds_read_u16 v62, v63
	s_waitcnt lgkmcnt(0)
	v_add_u16_e32 v64, 1, v62
	ds_write_b16 v63, v64
	;; [unrolled: 36-line block ×4, first 2 shown]
	s_waitcnt lgkmcnt(0)
	s_barrier
	ds_read2_b64 v[80:83], v9 offset1:1
	ds_read2_b64 v[84:87], v9 offset0:2 offset1:3
	s_waitcnt lgkmcnt(1)
	v_add_u32_e32 v80, v81, v80
	v_add3_u32 v80, v80, v82, v83
	s_waitcnt lgkmcnt(0)
	v_add3_u32 v80, v80, v84, v85
	v_add3_u32 v80, v80, v86, v87
	s_nop 1
	v_mov_b32_dpp v81, v80 row_shr:1 row_mask:0xf bank_mask:0xf
	v_cndmask_b32_e64 v81, v81, 0, s[0:1]
	v_add_u32_e32 v80, v81, v80
	s_nop 1
	v_mov_b32_dpp v81, v80 row_shr:2 row_mask:0xf bank_mask:0xf
	v_cndmask_b32_e64 v81, 0, v81, s[2:3]
	v_add_u32_e32 v80, v80, v81
	;; [unrolled: 4-line block ×4, first 2 shown]
	s_nop 1
	v_mov_b32_dpp v81, v80 row_bcast:15 row_mask:0xf bank_mask:0xf
	v_cndmask_b32_e64 v81, v81, 0, s[8:9]
	v_add_u32_e32 v80, v80, v81
	s_nop 1
	v_mov_b32_dpp v81, v80 row_bcast:31 row_mask:0xf bank_mask:0xf
	v_cndmask_b32_e64 v81, 0, v81, s[10:11]
	v_add_u32_e32 v80, v80, v81
	s_and_saveexec_b64 s[30:31], s[12:13]
; %bb.7:                                ;   in Loop: Header=BB72_4 Depth=2
	ds_write_b32 v43, v80 offset:8192
; %bb.8:                                ;   in Loop: Header=BB72_4 Depth=2
	s_or_b64 exec, exec, s[30:31]
	s_waitcnt lgkmcnt(0)
	s_barrier
	s_and_saveexec_b64 s[30:31], s[14:15]
	s_cbranch_execz .LBB72_10
; %bb.9:                                ;   in Loop: Header=BB72_4 Depth=2
	ds_read_b32 v81, v48 offset:8192
	s_waitcnt lgkmcnt(0)
	s_nop 0
	v_mov_b32_dpp v82, v81 row_shr:1 row_mask:0xf bank_mask:0xf
	v_cndmask_b32_e64 v82, v82, 0, s[20:21]
	v_add_u32_e32 v81, v82, v81
	s_nop 1
	v_mov_b32_dpp v82, v81 row_shr:2 row_mask:0xf bank_mask:0xf
	v_cndmask_b32_e64 v82, 0, v82, s[22:23]
	v_add_u32_e32 v81, v81, v82
	ds_write_b32 v48, v81 offset:8192
.LBB72_10:                              ;   in Loop: Header=BB72_4 Depth=2
	s_or_b64 exec, exec, s[30:31]
	v_mov_b32_e32 v81, 0
	s_waitcnt lgkmcnt(0)
	s_barrier
	s_and_saveexec_b64 s[30:31], s[16:17]
	s_cbranch_execz .LBB72_3
; %bb.11:                               ;   in Loop: Header=BB72_4 Depth=2
	ds_read_b32 v81, v43 offset:8188
	s_branch .LBB72_3
.LBB72_12:
	ds_read_u16 v0, v56
	ds_read_u16 v8, v28
	;; [unrolled: 1-line block ×8, first 2 shown]
	s_waitcnt lgkmcnt(7)
	v_add_u32_sdwa v3, v0, v24 dst_sel:DWORD dst_unused:UNUSED_PAD src0_sel:DWORD src1_sel:WORD_0
	s_waitcnt lgkmcnt(5)
	v_add_u32_sdwa v2, v1, v19 dst_sel:DWORD dst_unused:UNUSED_PAD src0_sel:DWORD src1_sel:WORD_0
	;; [unrolled: 2-line block ×4, first 2 shown]
	s_lshl_b64 s[0:1], s[28:29], 2
	ds_read_u16 v4, v79
	ds_read_u16 v5, v77
	s_add_u32 s0, s26, s0
	s_addc_u32 s1, s27, s1
	v_lshlrev_b32_e32 v9, 2, v9
	global_store_dwordx4 v9, v[0:3], s[0:1]
	ds_read_u16 v0, v75
	ds_read_u16 v6, v73
	s_waitcnt lgkmcnt(3)
	v_add_u32_sdwa v3, v4, v78 dst_sel:DWORD dst_unused:UNUSED_PAD src0_sel:DWORD src1_sel:WORD_0
	ds_read_u16 v4, v71
	s_waitcnt lgkmcnt(3)
	v_add_u32_sdwa v2, v5, v76 dst_sel:DWORD dst_unused:UNUSED_PAD src0_sel:DWORD src1_sel:WORD_0
	ds_read_u16 v5, v69
	ds_read_u16 v12, v67
	s_waitcnt lgkmcnt(4)
	v_add_u32_sdwa v1, v0, v74 dst_sel:DWORD dst_unused:UNUSED_PAD src0_sel:DWORD src1_sel:WORD_0
	s_waitcnt lgkmcnt(3)
	v_add_u32_sdwa v0, v6, v72 dst_sel:DWORD dst_unused:UNUSED_PAD src0_sel:DWORD src1_sel:WORD_0
	s_waitcnt lgkmcnt(2)
	v_add_u32_sdwa v7, v4, v70 dst_sel:DWORD dst_unused:UNUSED_PAD src0_sel:DWORD src1_sel:WORD_0
	ds_read_u16 v4, v65
	ds_read_u16 v16, v63
	s_waitcnt lgkmcnt(3)
	v_add_u32_sdwa v6, v5, v68 dst_sel:DWORD dst_unused:UNUSED_PAD src0_sel:DWORD src1_sel:WORD_0
	s_waitcnt lgkmcnt(2)
	v_add_u32_sdwa v5, v12, v66 dst_sel:DWORD dst_unused:UNUSED_PAD src0_sel:DWORD src1_sel:WORD_0
	ds_read_u16 v12, v61
	v_add_u32_sdwa v14, v14, v15 dst_sel:DWORD dst_unused:UNUSED_PAD src0_sel:DWORD src1_sel:WORD_0
	s_waitcnt lgkmcnt(1)
	v_add_u32_sdwa v61, v16, v62 dst_sel:DWORD dst_unused:UNUSED_PAD src0_sel:DWORD src1_sel:WORD_0
	ds_read_u16 v16, v59
	ds_read_u16 v19, v57
	v_add_u32_sdwa v13, v17, v13 dst_sel:DWORD dst_unused:UNUSED_PAD src0_sel:DWORD src1_sel:WORD_0
	s_waitcnt lgkmcnt(2)
	v_add_u32_sdwa v60, v12, v60 dst_sel:DWORD dst_unused:UNUSED_PAD src0_sel:DWORD src1_sel:WORD_0
	ds_read_u16 v12, v54
	ds_read_u16 v21, v52
	s_waitcnt lgkmcnt(3)
	v_add_u32_sdwa v59, v16, v58 dst_sel:DWORD dst_unused:UNUSED_PAD src0_sel:DWORD src1_sel:WORD_0
	ds_read_u16 v16, v50
	s_waitcnt lgkmcnt(3)
	v_add_u32_sdwa v58, v19, v55 dst_sel:DWORD dst_unused:UNUSED_PAD src0_sel:DWORD src1_sel:WORD_0
	s_waitcnt lgkmcnt(2)
	v_add_u32_sdwa v52, v12, v53 dst_sel:DWORD dst_unused:UNUSED_PAD src0_sel:DWORD src1_sel:WORD_0
	;; [unrolled: 2-line block ×3, first 2 shown]
	ds_read_u16 v12, v47
	ds_read_u16 v19, v42
	;; [unrolled: 1-line block ×3, first 2 shown]
	s_waitcnt lgkmcnt(3)
	v_add_u32_sdwa v50, v16, v49 dst_sel:DWORD dst_unused:UNUSED_PAD src0_sel:DWORD src1_sel:WORD_0
	ds_read_u16 v16, v37
	s_waitcnt lgkmcnt(3)
	v_add_u32_sdwa v49, v12, v44 dst_sel:DWORD dst_unused:UNUSED_PAD src0_sel:DWORD src1_sel:WORD_0
	ds_read_u16 v12, v33
	s_waitcnt lgkmcnt(3)
	v_add_u32_sdwa v36, v19, v40 dst_sel:DWORD dst_unused:UNUSED_PAD src0_sel:DWORD src1_sel:WORD_0
	v_add_u32_sdwa v4, v4, v64 dst_sel:DWORD dst_unused:UNUSED_PAD src0_sel:DWORD src1_sel:WORD_0
	s_waitcnt lgkmcnt(1)
	v_add_u32_sdwa v34, v16, v34 dst_sel:DWORD dst_unused:UNUSED_PAD src0_sel:DWORD src1_sel:WORD_0
	ds_read_u16 v16, v29
	ds_read_u16 v19, v26
	;; [unrolled: 1-line block ×4, first 2 shown]
	s_waitcnt lgkmcnt(4)
	v_add_u32_sdwa v33, v12, v31 dst_sel:DWORD dst_unused:UNUSED_PAD src0_sel:DWORD src1_sel:WORD_0
	v_add_u32_sdwa v12, v28, v11 dst_sel:DWORD dst_unused:UNUSED_PAD src0_sel:DWORD src1_sel:WORD_0
	;; [unrolled: 1-line block ×4, first 2 shown]
	s_waitcnt lgkmcnt(3)
	v_add_u32_sdwa v21, v16, v27 dst_sel:DWORD dst_unused:UNUSED_PAD src0_sel:DWORD src1_sel:WORD_0
	s_waitcnt lgkmcnt(2)
	v_add_u32_sdwa v20, v19, v25 dst_sel:DWORD dst_unused:UNUSED_PAD src0_sel:DWORD src1_sel:WORD_0
	;; [unrolled: 2-line block ×4, first 2 shown]
	global_store_dwordx4 v9, v[11:14], s[0:1] offset:16
	global_store_dwordx4 v9, v[18:21], s[0:1] offset:32
	;; [unrolled: 1-line block ×7, first 2 shown]
	s_endpgm
	.section	.rodata,"a",@progbits
	.p2align	6, 0x0
	.amdhsa_kernel _Z11rank_kernelIhLj4ELb0EL18RadixRankAlgorithm0ELj256ELj32ELj10EEvPKT_Pi
		.amdhsa_group_segment_fixed_size 8208
		.amdhsa_private_segment_fixed_size 0
		.amdhsa_kernarg_size 16
		.amdhsa_user_sgpr_count 6
		.amdhsa_user_sgpr_private_segment_buffer 1
		.amdhsa_user_sgpr_dispatch_ptr 0
		.amdhsa_user_sgpr_queue_ptr 0
		.amdhsa_user_sgpr_kernarg_segment_ptr 1
		.amdhsa_user_sgpr_dispatch_id 0
		.amdhsa_user_sgpr_flat_scratch_init 0
		.amdhsa_user_sgpr_private_segment_size 0
		.amdhsa_uses_dynamic_stack 0
		.amdhsa_system_sgpr_private_segment_wavefront_offset 0
		.amdhsa_system_sgpr_workgroup_id_x 1
		.amdhsa_system_sgpr_workgroup_id_y 0
		.amdhsa_system_sgpr_workgroup_id_z 0
		.amdhsa_system_sgpr_workgroup_info 0
		.amdhsa_system_vgpr_workitem_id 0
		.amdhsa_next_free_vgpr 90
		.amdhsa_next_free_sgpr 77
		.amdhsa_reserve_vcc 1
		.amdhsa_reserve_flat_scratch 0
		.amdhsa_float_round_mode_32 0
		.amdhsa_float_round_mode_16_64 0
		.amdhsa_float_denorm_mode_32 3
		.amdhsa_float_denorm_mode_16_64 3
		.amdhsa_dx10_clamp 1
		.amdhsa_ieee_mode 1
		.amdhsa_fp16_overflow 0
		.amdhsa_exception_fp_ieee_invalid_op 0
		.amdhsa_exception_fp_denorm_src 0
		.amdhsa_exception_fp_ieee_div_zero 0
		.amdhsa_exception_fp_ieee_overflow 0
		.amdhsa_exception_fp_ieee_underflow 0
		.amdhsa_exception_fp_ieee_inexact 0
		.amdhsa_exception_int_div_zero 0
	.end_amdhsa_kernel
	.section	.text._Z11rank_kernelIhLj4ELb0EL18RadixRankAlgorithm0ELj256ELj32ELj10EEvPKT_Pi,"axG",@progbits,_Z11rank_kernelIhLj4ELb0EL18RadixRankAlgorithm0ELj256ELj32ELj10EEvPKT_Pi,comdat
.Lfunc_end72:
	.size	_Z11rank_kernelIhLj4ELb0EL18RadixRankAlgorithm0ELj256ELj32ELj10EEvPKT_Pi, .Lfunc_end72-_Z11rank_kernelIhLj4ELb0EL18RadixRankAlgorithm0ELj256ELj32ELj10EEvPKT_Pi
                                        ; -- End function
	.set _Z11rank_kernelIhLj4ELb0EL18RadixRankAlgorithm0ELj256ELj32ELj10EEvPKT_Pi.num_vgpr, 90
	.set _Z11rank_kernelIhLj4ELb0EL18RadixRankAlgorithm0ELj256ELj32ELj10EEvPKT_Pi.num_agpr, 0
	.set _Z11rank_kernelIhLj4ELb0EL18RadixRankAlgorithm0ELj256ELj32ELj10EEvPKT_Pi.numbered_sgpr, 37
	.set _Z11rank_kernelIhLj4ELb0EL18RadixRankAlgorithm0ELj256ELj32ELj10EEvPKT_Pi.num_named_barrier, 0
	.set _Z11rank_kernelIhLj4ELb0EL18RadixRankAlgorithm0ELj256ELj32ELj10EEvPKT_Pi.private_seg_size, 0
	.set _Z11rank_kernelIhLj4ELb0EL18RadixRankAlgorithm0ELj256ELj32ELj10EEvPKT_Pi.uses_vcc, 1
	.set _Z11rank_kernelIhLj4ELb0EL18RadixRankAlgorithm0ELj256ELj32ELj10EEvPKT_Pi.uses_flat_scratch, 0
	.set _Z11rank_kernelIhLj4ELb0EL18RadixRankAlgorithm0ELj256ELj32ELj10EEvPKT_Pi.has_dyn_sized_stack, 0
	.set _Z11rank_kernelIhLj4ELb0EL18RadixRankAlgorithm0ELj256ELj32ELj10EEvPKT_Pi.has_recursion, 0
	.set _Z11rank_kernelIhLj4ELb0EL18RadixRankAlgorithm0ELj256ELj32ELj10EEvPKT_Pi.has_indirect_call, 0
	.section	.AMDGPU.csdata,"",@progbits
; Kernel info:
; codeLenInByte = 3324
; TotalNumSgprs: 41
; NumVgprs: 90
; ScratchSize: 0
; MemoryBound: 0
; FloatMode: 240
; IeeeMode: 1
; LDSByteSize: 8208 bytes/workgroup (compile time only)
; SGPRBlocks: 10
; VGPRBlocks: 22
; NumSGPRsForWavesPerEU: 81
; NumVGPRsForWavesPerEU: 90
; Occupancy: 2
; WaveLimiterHint : 0
; COMPUTE_PGM_RSRC2:SCRATCH_EN: 0
; COMPUTE_PGM_RSRC2:USER_SGPR: 6
; COMPUTE_PGM_RSRC2:TRAP_HANDLER: 0
; COMPUTE_PGM_RSRC2:TGID_X_EN: 1
; COMPUTE_PGM_RSRC2:TGID_Y_EN: 0
; COMPUTE_PGM_RSRC2:TGID_Z_EN: 0
; COMPUTE_PGM_RSRC2:TIDIG_COMP_CNT: 0
	.section	.text._Z11rank_kernelIhLj4ELb0EL18RadixRankAlgorithm1ELj256ELj32ELj10EEvPKT_Pi,"axG",@progbits,_Z11rank_kernelIhLj4ELb0EL18RadixRankAlgorithm1ELj256ELj32ELj10EEvPKT_Pi,comdat
	.protected	_Z11rank_kernelIhLj4ELb0EL18RadixRankAlgorithm1ELj256ELj32ELj10EEvPKT_Pi ; -- Begin function _Z11rank_kernelIhLj4ELb0EL18RadixRankAlgorithm1ELj256ELj32ELj10EEvPKT_Pi
	.globl	_Z11rank_kernelIhLj4ELb0EL18RadixRankAlgorithm1ELj256ELj32ELj10EEvPKT_Pi
	.p2align	8
	.type	_Z11rank_kernelIhLj4ELb0EL18RadixRankAlgorithm1ELj256ELj32ELj10EEvPKT_Pi,@function
_Z11rank_kernelIhLj4ELb0EL18RadixRankAlgorithm1ELj256ELj32ELj10EEvPKT_Pi: ; @_Z11rank_kernelIhLj4ELb0EL18RadixRankAlgorithm1ELj256ELj32ELj10EEvPKT_Pi
; %bb.0:
	s_load_dwordx4 s[24:27], s[4:5], 0x0
	s_lshl_b32 s28, s6, 13
	v_lshlrev_b32_e32 v17, 5, v0
	v_mbcnt_lo_u32_b32 v9, -1, 0
	v_mbcnt_hi_u32_b32 v9, -1, v9
	s_waitcnt lgkmcnt(0)
	s_add_u32 s0, s24, s28
	s_addc_u32 s1, s25, 0
	global_load_dwordx4 v[1:4], v17, s[0:1]
	global_load_dwordx4 v[5:8], v17, s[0:1] offset:16
	v_and_b32_e32 v10, 15, v9
	v_cmp_eq_u32_e64 s[0:1], 0, v10
	v_cmp_lt_u32_e64 s[2:3], 1, v10
	v_cmp_lt_u32_e64 s[4:5], 3, v10
	;; [unrolled: 1-line block ×3, first 2 shown]
	v_and_b32_e32 v10, 16, v9
	v_cmp_eq_u32_e64 s[8:9], 0, v10
	v_or_b32_e32 v10, 63, v0
	v_cmp_eq_u32_e64 s[12:13], v0, v10
	v_subrev_co_u32_e64 v10, s[18:19], 1, v9
	v_and_b32_e32 v11, 64, v9
	v_cmp_lt_i32_e32 vcc, v10, v11
	v_cndmask_b32_e32 v10, v10, v9, vcc
	v_lshlrev_b32_e32 v49, 2, v10
	v_lshrrev_b32_e32 v10, 4, v0
	s_mov_b32 s29, 0
	v_cmp_lt_u32_e64 s[10:11], 31, v9
	v_and_b32_e32 v51, 12, v10
	v_mul_i32_i24_e32 v10, 0xffffffe4, v0
	v_and_b32_e32 v9, 3, v9
	v_mov_b32_e32 v44, 0
	v_cmp_gt_u32_e64 s[14:15], 4, v0
	v_cmp_lt_u32_e64 s[16:17], 63, v0
	v_cmp_eq_u32_e64 s[20:21], 0, v9
	v_cmp_lt_u32_e64 s[22:23], 1, v9
	v_lshlrev_b32_e32 v53, 2, v0
	v_or_b32_e32 v54, 0xffffff00, v0
	s_movk_i32 s33, 0x6ff
	s_movk_i32 s34, 0x700
	v_add_u32_e32 v56, v17, v10
	s_mov_b32 s35, s29
	s_branch .LBB73_2
.LBB73_1:                               ;   in Loop: Header=BB73_2 Depth=1
	s_add_i32 s35, s35, 1
	s_cmp_eq_u32 s35, 10
	s_cbranch_scc1 .LBB73_12
.LBB73_2:                               ; =>This Loop Header: Depth=1
                                        ;     Child Loop BB73_4 Depth 2
                                        ;       Child Loop BB73_5 Depth 3
	s_mov_b32 s36, 28
	s_mov_b64 s[24:25], -1
	s_branch .LBB73_4
.LBB73_3:                               ;   in Loop: Header=BB73_4 Depth=2
	s_or_b64 exec, exec, s[30:31]
	s_waitcnt lgkmcnt(0)
	v_add_u32_e32 v12, v88, v12
	ds_bpermute_b32 v12, v49, v12
	ds_read_b32 v89, v44 offset:8204
	s_mov_b32 s36, 24
	s_andn2_b64 vcc, exec, s[24:25]
	s_mov_b64 s[24:25], 0
	s_waitcnt lgkmcnt(1)
	v_cndmask_b32_e64 v12, v12, v88, s[18:19]
	s_waitcnt lgkmcnt(0)
	v_lshl_add_u32 v12, v89, 16, v12
	v_add_u32_e32 v13, v12, v13
	v_add_u32_e32 v14, v13, v14
	;; [unrolled: 1-line block ×7, first 2 shown]
	ds_write2_b64 v17, v[12:13], v[14:15] offset1:1
	ds_write2_b64 v17, v[88:89], v[9:10] offset0:2 offset1:3
	s_waitcnt lgkmcnt(0)
	s_barrier
	s_cbranch_vccz .LBB73_1
.LBB73_4:                               ;   Parent Loop BB73_2 Depth=1
                                        ; =>  This Loop Header: Depth=2
                                        ;       Child Loop BB73_5 Depth 3
	s_xor_b64 s[24:25], s[24:25], -1
	s_mov_b64 s[30:31], 0
	v_mov_b32_e32 v9, v54
	v_mov_b32_e32 v10, v53
.LBB73_5:                               ;   Parent Loop BB73_2 Depth=1
                                        ;     Parent Loop BB73_4 Depth=2
                                        ; =>    This Inner Loop Header: Depth=3
	v_add_u32_e32 v9, 0x100, v9
	v_cmp_lt_u32_e32 vcc, s33, v9
	ds_write_b32 v10, v44
	s_or_b64 s[30:31], vcc, s[30:31]
	v_add_u32_e32 v10, 0x400, v10
	s_andn2_b64 exec, exec, s[30:31]
	s_cbranch_execnz .LBB73_5
; %bb.6:                                ;   in Loop: Header=BB73_4 Depth=2
	s_or_b64 exec, exec, s[30:31]
	s_waitcnt vmcnt(1)
	v_lshlrev_b32_sdwa v9, s36, v1 dst_sel:DWORD dst_unused:UNUSED_PAD src0_sel:DWORD src1_sel:BYTE_0
	v_lshrrev_b32_e32 v10, 20, v9
	v_and_or_b32 v10, v10, s34, v0
	v_alignbit_b32 v9, v10, v9, 31
	v_lshlrev_b32_e32 v22, 1, v9
	ds_read_u16 v20, v22
	v_lshlrev_b32_sdwa v9, s36, v1 dst_sel:DWORD dst_unused:UNUSED_PAD src0_sel:DWORD src1_sel:BYTE_1
	v_lshrrev_b32_e32 v10, 20, v9
	v_and_or_b32 v10, v10, s34, v0
	v_alignbit_b32 v9, v10, v9, 31
	s_waitcnt lgkmcnt(0)
	v_add_u16_e32 v10, 1, v20
	ds_write_b16 v22, v10
	v_lshlrev_b32_e32 v25, 1, v9
	ds_read_u16 v24, v25
	v_lshlrev_b32_sdwa v9, s36, v1 dst_sel:DWORD dst_unused:UNUSED_PAD src0_sel:DWORD src1_sel:BYTE_2
	v_lshrrev_b32_e32 v10, 20, v9
	v_and_or_b32 v10, v10, s34, v0
	v_alignbit_b32 v9, v10, v9, 31
	s_waitcnt lgkmcnt(0)
	v_add_u16_e32 v11, 1, v24
	ds_write_b16 v25, v11
	v_lshlrev_b32_e32 v29, 1, v9
	ds_read_u16 v27, v29
	v_lshlrev_b32_sdwa v9, s36, v1 dst_sel:DWORD dst_unused:UNUSED_PAD src0_sel:DWORD src1_sel:BYTE_3
	v_lshrrev_b32_e32 v10, 20, v9
	v_and_or_b32 v10, v10, s34, v0
	v_alignbit_b32 v9, v10, v9, 31
	s_waitcnt lgkmcnt(0)
	v_add_u16_e32 v11, 1, v27
	ds_write_b16 v29, v11
	v_lshlrev_b32_e32 v64, 1, v9
	ds_read_u16 v32, v64
	v_lshlrev_b32_sdwa v9, s36, v2 dst_sel:DWORD dst_unused:UNUSED_PAD src0_sel:DWORD src1_sel:BYTE_0
	s_waitcnt lgkmcnt(0)
	v_add_u16_e32 v10, 1, v32
	ds_write_b16 v64, v10
	v_lshrrev_b32_e32 v10, 20, v9
	v_and_or_b32 v10, v10, s34, v0
	v_alignbit_b32 v9, v10, v9, 31
	v_lshlrev_b32_e32 v36, 1, v9
	ds_read_u16 v18, v36
	s_waitcnt lgkmcnt(0)
	v_add_u16_e32 v9, 1, v18
	ds_write_b16 v36, v9
	v_lshlrev_b32_sdwa v9, s36, v2 dst_sel:DWORD dst_unused:UNUSED_PAD src0_sel:DWORD src1_sel:BYTE_1
	v_lshrrev_b32_e32 v10, 20, v9
	v_and_or_b32 v10, v10, s34, v0
	v_alignbit_b32 v9, v10, v9, 31
	v_lshlrev_b32_e32 v38, 1, v9
	ds_read_u16 v19, v38
	s_waitcnt lgkmcnt(0)
	v_add_u16_e32 v9, 1, v19
	ds_write_b16 v38, v9
	v_lshlrev_b32_sdwa v9, s36, v2 dst_sel:DWORD dst_unused:UNUSED_PAD src0_sel:DWORD src1_sel:BYTE_2
	v_lshrrev_b32_e32 v10, 20, v9
	v_and_or_b32 v10, v10, s34, v0
	v_alignbit_b32 v9, v10, v9, 31
	v_lshlrev_b32_e32 v40, 1, v9
	ds_read_u16 v21, v40
	s_waitcnt lgkmcnt(0)
	v_add_u16_e32 v9, 1, v21
	ds_write_b16 v40, v9
	v_lshlrev_b32_sdwa v9, s36, v2 dst_sel:DWORD dst_unused:UNUSED_PAD src0_sel:DWORD src1_sel:BYTE_3
	v_lshrrev_b32_e32 v10, 20, v9
	v_and_or_b32 v10, v10, s34, v0
	v_alignbit_b32 v9, v10, v9, 31
	v_lshlrev_b32_e32 v43, 1, v9
	ds_read_u16 v23, v43
	s_waitcnt lgkmcnt(0)
	v_add_u16_e32 v9, 1, v23
	ds_write_b16 v43, v9
	v_lshlrev_b32_sdwa v9, s36, v3 dst_sel:DWORD dst_unused:UNUSED_PAD src0_sel:DWORD src1_sel:BYTE_0
	v_lshrrev_b32_e32 v10, 20, v9
	v_and_or_b32 v10, v10, s34, v0
	v_alignbit_b32 v9, v10, v9, 31
	v_lshlrev_b32_e32 v28, 1, v9
	ds_read_u16 v26, v28
	s_waitcnt lgkmcnt(0)
	v_add_u16_e32 v9, 1, v26
	ds_write_b16 v28, v9
	v_lshlrev_b32_sdwa v9, s36, v3 dst_sel:DWORD dst_unused:UNUSED_PAD src0_sel:DWORD src1_sel:BYTE_1
	v_lshrrev_b32_e32 v10, 20, v9
	v_and_or_b32 v10, v10, s34, v0
	v_alignbit_b32 v9, v10, v9, 31
	v_lshlrev_b32_e32 v31, 1, v9
	ds_read_u16 v30, v31
	s_waitcnt lgkmcnt(0)
	v_add_u16_e32 v9, 1, v30
	ds_write_b16 v31, v9
	v_lshlrev_b32_sdwa v9, s36, v3 dst_sel:DWORD dst_unused:UNUSED_PAD src0_sel:DWORD src1_sel:BYTE_2
	v_lshrrev_b32_e32 v10, 20, v9
	v_and_or_b32 v10, v10, s34, v0
	v_alignbit_b32 v9, v10, v9, 31
	v_lshlrev_b32_e32 v34, 1, v9
	ds_read_u16 v33, v34
	s_waitcnt lgkmcnt(0)
	v_add_u16_e32 v9, 1, v33
	ds_write_b16 v34, v9
	v_lshlrev_b32_sdwa v9, s36, v3 dst_sel:DWORD dst_unused:UNUSED_PAD src0_sel:DWORD src1_sel:BYTE_3
	v_lshrrev_b32_e32 v10, 20, v9
	v_and_or_b32 v10, v10, s34, v0
	v_alignbit_b32 v9, v10, v9, 31
	v_lshlrev_b32_e32 v37, 1, v9
	ds_read_u16 v35, v37
	s_waitcnt lgkmcnt(0)
	v_add_u16_e32 v9, 1, v35
	ds_write_b16 v37, v9
	v_lshlrev_b32_sdwa v9, s36, v4 dst_sel:DWORD dst_unused:UNUSED_PAD src0_sel:DWORD src1_sel:BYTE_0
	v_lshrrev_b32_e32 v10, 20, v9
	v_and_or_b32 v10, v10, s34, v0
	v_alignbit_b32 v9, v10, v9, 31
	v_lshlrev_b32_e32 v41, 1, v9
	ds_read_u16 v39, v41
	s_waitcnt lgkmcnt(0)
	v_add_u16_e32 v9, 1, v39
	ds_write_b16 v41, v9
	v_lshlrev_b32_sdwa v9, s36, v4 dst_sel:DWORD dst_unused:UNUSED_PAD src0_sel:DWORD src1_sel:BYTE_1
	v_lshrrev_b32_e32 v10, 20, v9
	v_and_or_b32 v10, v10, s34, v0
	v_alignbit_b32 v9, v10, v9, 31
	v_lshlrev_b32_e32 v45, 1, v9
	ds_read_u16 v42, v45
	s_waitcnt lgkmcnt(0)
	v_add_u16_e32 v9, 1, v42
	ds_write_b16 v45, v9
	v_lshlrev_b32_sdwa v9, s36, v4 dst_sel:DWORD dst_unused:UNUSED_PAD src0_sel:DWORD src1_sel:BYTE_2
	v_lshrrev_b32_e32 v10, 20, v9
	v_and_or_b32 v10, v10, s34, v0
	v_alignbit_b32 v9, v10, v9, 31
	v_lshlrev_b32_e32 v47, 1, v9
	ds_read_u16 v46, v47
	s_waitcnt lgkmcnt(0)
	v_add_u16_e32 v9, 1, v46
	ds_write_b16 v47, v9
	v_lshlrev_b32_sdwa v9, s36, v4 dst_sel:DWORD dst_unused:UNUSED_PAD src0_sel:DWORD src1_sel:BYTE_3
	v_lshrrev_b32_e32 v10, 20, v9
	v_and_or_b32 v10, v10, s34, v0
	v_alignbit_b32 v9, v10, v9, 31
	v_lshlrev_b32_e32 v50, 1, v9
	ds_read_u16 v48, v50
	s_waitcnt lgkmcnt(0)
	v_add_u16_e32 v9, 1, v48
	ds_write_b16 v50, v9
	s_waitcnt vmcnt(0)
	v_lshlrev_b32_sdwa v9, s36, v5 dst_sel:DWORD dst_unused:UNUSED_PAD src0_sel:DWORD src1_sel:BYTE_0
	v_lshrrev_b32_e32 v10, 20, v9
	v_and_or_b32 v10, v10, s34, v0
	v_alignbit_b32 v9, v10, v9, 31
	v_lshlrev_b32_e32 v55, 1, v9
	ds_read_u16 v52, v55
	s_waitcnt lgkmcnt(0)
	v_add_u16_e32 v9, 1, v52
	ds_write_b16 v55, v9
	v_lshlrev_b32_sdwa v9, s36, v5 dst_sel:DWORD dst_unused:UNUSED_PAD src0_sel:DWORD src1_sel:BYTE_1
	v_lshrrev_b32_e32 v10, 20, v9
	v_and_or_b32 v10, v10, s34, v0
	v_alignbit_b32 v9, v10, v9, 31
	v_lshlrev_b32_e32 v58, 1, v9
	ds_read_u16 v57, v58
	s_waitcnt lgkmcnt(0)
	v_add_u16_e32 v9, 1, v57
	ds_write_b16 v58, v9
	v_lshlrev_b32_sdwa v9, s36, v5 dst_sel:DWORD dst_unused:UNUSED_PAD src0_sel:DWORD src1_sel:BYTE_2
	v_lshrrev_b32_e32 v10, 20, v9
	v_and_or_b32 v10, v10, s34, v0
	v_alignbit_b32 v9, v10, v9, 31
	v_lshlrev_b32_e32 v60, 1, v9
	ds_read_u16 v59, v60
	s_waitcnt lgkmcnt(0)
	v_add_u16_e32 v9, 1, v59
	ds_write_b16 v60, v9
	v_lshlrev_b32_sdwa v9, s36, v5 dst_sel:DWORD dst_unused:UNUSED_PAD src0_sel:DWORD src1_sel:BYTE_3
	v_lshrrev_b32_e32 v10, 20, v9
	v_and_or_b32 v10, v10, s34, v0
	v_alignbit_b32 v9, v10, v9, 31
	v_lshlrev_b32_e32 v62, 1, v9
	ds_read_u16 v61, v62
	s_waitcnt lgkmcnt(0)
	v_add_u16_e32 v9, 1, v61
	ds_write_b16 v62, v9
	v_lshlrev_b32_sdwa v9, s36, v6 dst_sel:DWORD dst_unused:UNUSED_PAD src0_sel:DWORD src1_sel:BYTE_0
	v_lshrrev_b32_e32 v10, 20, v9
	v_and_or_b32 v10, v10, s34, v0
	v_alignbit_b32 v9, v10, v9, 31
	v_lshlrev_b32_e32 v65, 1, v9
	ds_read_u16 v63, v65
	s_waitcnt lgkmcnt(0)
	v_add_u16_e32 v9, 1, v63
	ds_write_b16 v65, v9
	v_lshlrev_b32_sdwa v9, s36, v6 dst_sel:DWORD dst_unused:UNUSED_PAD src0_sel:DWORD src1_sel:BYTE_1
	v_lshrrev_b32_e32 v10, 20, v9
	v_and_or_b32 v10, v10, s34, v0
	v_alignbit_b32 v9, v10, v9, 31
	v_lshlrev_b32_e32 v67, 1, v9
	ds_read_u16 v66, v67
	s_waitcnt lgkmcnt(0)
	v_add_u16_e32 v9, 1, v66
	ds_write_b16 v67, v9
	v_lshlrev_b32_sdwa v9, s36, v6 dst_sel:DWORD dst_unused:UNUSED_PAD src0_sel:DWORD src1_sel:BYTE_2
	v_lshrrev_b32_e32 v10, 20, v9
	v_and_or_b32 v10, v10, s34, v0
	v_alignbit_b32 v9, v10, v9, 31
	v_lshlrev_b32_e32 v69, 1, v9
	ds_read_u16 v68, v69
	s_waitcnt lgkmcnt(0)
	v_add_u16_e32 v9, 1, v68
	ds_write_b16 v69, v9
	v_lshlrev_b32_sdwa v9, s36, v6 dst_sel:DWORD dst_unused:UNUSED_PAD src0_sel:DWORD src1_sel:BYTE_3
	v_lshrrev_b32_e32 v10, 20, v9
	v_and_or_b32 v10, v10, s34, v0
	v_alignbit_b32 v9, v10, v9, 31
	v_lshlrev_b32_e32 v71, 1, v9
	ds_read_u16 v70, v71
	s_waitcnt lgkmcnt(0)
	v_add_u16_e32 v9, 1, v70
	ds_write_b16 v71, v9
	;; [unrolled: 36-line block ×4, first 2 shown]
	s_waitcnt lgkmcnt(0)
	s_barrier
	ds_read2_b64 v[13:16], v17 offset1:1
	ds_read2_b64 v[9:12], v17 offset0:2 offset1:3
	s_waitcnt lgkmcnt(1)
	v_add_u32_e32 v88, v14, v13
	v_add3_u32 v88, v88, v15, v16
	s_waitcnt lgkmcnt(0)
	v_add3_u32 v88, v88, v9, v10
	v_add3_u32 v12, v88, v11, v12
	s_nop 1
	v_mov_b32_dpp v88, v12 row_shr:1 row_mask:0xf bank_mask:0xf
	v_cndmask_b32_e64 v88, v88, 0, s[0:1]
	v_add_u32_e32 v12, v88, v12
	s_nop 1
	v_mov_b32_dpp v88, v12 row_shr:2 row_mask:0xf bank_mask:0xf
	v_cndmask_b32_e64 v88, 0, v88, s[2:3]
	v_add_u32_e32 v12, v12, v88
	;; [unrolled: 4-line block ×4, first 2 shown]
	s_nop 1
	v_mov_b32_dpp v88, v12 row_bcast:15 row_mask:0xf bank_mask:0xf
	v_cndmask_b32_e64 v88, v88, 0, s[8:9]
	v_add_u32_e32 v12, v12, v88
	s_nop 1
	v_mov_b32_dpp v88, v12 row_bcast:31 row_mask:0xf bank_mask:0xf
	v_cndmask_b32_e64 v88, 0, v88, s[10:11]
	v_add_u32_e32 v12, v12, v88
	s_and_saveexec_b64 s[30:31], s[12:13]
; %bb.7:                                ;   in Loop: Header=BB73_4 Depth=2
	ds_write_b32 v51, v12 offset:8192
; %bb.8:                                ;   in Loop: Header=BB73_4 Depth=2
	s_or_b64 exec, exec, s[30:31]
	s_waitcnt lgkmcnt(0)
	s_barrier
	s_and_saveexec_b64 s[30:31], s[14:15]
	s_cbranch_execz .LBB73_10
; %bb.9:                                ;   in Loop: Header=BB73_4 Depth=2
	ds_read_b32 v88, v56 offset:8192
	s_waitcnt lgkmcnt(0)
	s_nop 0
	v_mov_b32_dpp v89, v88 row_shr:1 row_mask:0xf bank_mask:0xf
	v_cndmask_b32_e64 v89, v89, 0, s[20:21]
	v_add_u32_e32 v88, v89, v88
	s_nop 1
	v_mov_b32_dpp v89, v88 row_shr:2 row_mask:0xf bank_mask:0xf
	v_cndmask_b32_e64 v89, 0, v89, s[22:23]
	v_add_u32_e32 v88, v88, v89
	ds_write_b32 v56, v88 offset:8192
.LBB73_10:                              ;   in Loop: Header=BB73_4 Depth=2
	s_or_b64 exec, exec, s[30:31]
	v_mov_b32_e32 v88, 0
	s_waitcnt lgkmcnt(0)
	s_barrier
	s_and_saveexec_b64 s[30:31], s[16:17]
	s_cbranch_execz .LBB73_3
; %bb.11:                               ;   in Loop: Header=BB73_4 Depth=2
	ds_read_b32 v88, v51 offset:8188
	s_branch .LBB73_3
.LBB73_12:
	ds_read_u16 v0, v64
	ds_read_u16 v16, v36
	;; [unrolled: 1-line block ×8, first 2 shown]
	s_waitcnt lgkmcnt(7)
	v_add_u32_sdwa v3, v0, v32 dst_sel:DWORD dst_unused:UNUSED_PAD src0_sel:DWORD src1_sel:WORD_0
	s_waitcnt lgkmcnt(5)
	v_add_u32_sdwa v2, v1, v27 dst_sel:DWORD dst_unused:UNUSED_PAD src0_sel:DWORD src1_sel:WORD_0
	;; [unrolled: 2-line block ×4, first 2 shown]
	s_lshl_b64 s[0:1], s[28:29], 2
	ds_read_u16 v4, v87
	ds_read_u16 v5, v85
	s_add_u32 s0, s26, s0
	s_addc_u32 s1, s27, s1
	v_lshlrev_b32_e32 v17, 2, v17
	global_store_dwordx4 v17, v[0:3], s[0:1]
	ds_read_u16 v0, v83
	ds_read_u16 v6, v81
	s_waitcnt lgkmcnt(3)
	v_add_u32_sdwa v3, v4, v86 dst_sel:DWORD dst_unused:UNUSED_PAD src0_sel:DWORD src1_sel:WORD_0
	ds_read_u16 v4, v79
	s_waitcnt lgkmcnt(3)
	v_add_u32_sdwa v2, v5, v84 dst_sel:DWORD dst_unused:UNUSED_PAD src0_sel:DWORD src1_sel:WORD_0
	ds_read_u16 v5, v77
	ds_read_u16 v8, v75
	s_waitcnt lgkmcnt(4)
	v_add_u32_sdwa v1, v0, v82 dst_sel:DWORD dst_unused:UNUSED_PAD src0_sel:DWORD src1_sel:WORD_0
	s_waitcnt lgkmcnt(3)
	v_add_u32_sdwa v0, v6, v80 dst_sel:DWORD dst_unused:UNUSED_PAD src0_sel:DWORD src1_sel:WORD_0
	;; [unrolled: 2-line block ×3, first 2 shown]
	ds_read_u16 v4, v73
	ds_read_u16 v9, v71
	s_waitcnt lgkmcnt(3)
	v_add_u32_sdwa v6, v5, v76 dst_sel:DWORD dst_unused:UNUSED_PAD src0_sel:DWORD src1_sel:WORD_0
	s_waitcnt lgkmcnt(2)
	v_add_u32_sdwa v5, v8, v74 dst_sel:DWORD dst_unused:UNUSED_PAD src0_sel:DWORD src1_sel:WORD_0
	ds_read_u16 v8, v69
	v_add_u32_sdwa v22, v22, v23 dst_sel:DWORD dst_unused:UNUSED_PAD src0_sel:DWORD src1_sel:WORD_0
	s_waitcnt lgkmcnt(1)
	v_add_u32_sdwa v11, v9, v70 dst_sel:DWORD dst_unused:UNUSED_PAD src0_sel:DWORD src1_sel:WORD_0
	ds_read_u16 v9, v67
	ds_read_u16 v12, v65
	;; [unrolled: 1-line block ×4, first 2 shown]
	s_waitcnt lgkmcnt(4)
	v_add_u32_sdwa v10, v8, v68 dst_sel:DWORD dst_unused:UNUSED_PAD src0_sel:DWORD src1_sel:WORD_0
	v_add_u32_sdwa v21, v25, v21 dst_sel:DWORD dst_unused:UNUSED_PAD src0_sel:DWORD src1_sel:WORD_0
	;; [unrolled: 1-line block ×3, first 2 shown]
	s_waitcnt lgkmcnt(2)
	v_add_u32_sdwa v8, v12, v63 dst_sel:DWORD dst_unused:UNUSED_PAD src0_sel:DWORD src1_sel:WORD_0
	ds_read_u16 v12, v58
	ds_read_u16 v20, v55
	;; [unrolled: 1-line block ×4, first 2 shown]
	s_waitcnt lgkmcnt(5)
	v_add_u32_sdwa v15, v13, v61 dst_sel:DWORD dst_unused:UNUSED_PAD src0_sel:DWORD src1_sel:WORD_0
	ds_read_u16 v29, v45
	v_add_u32_sdwa v9, v9, v66 dst_sel:DWORD dst_unused:UNUSED_PAD src0_sel:DWORD src1_sel:WORD_0
	s_waitcnt lgkmcnt(4)
	v_add_u32_sdwa v13, v12, v57 dst_sel:DWORD dst_unused:UNUSED_PAD src0_sel:DWORD src1_sel:WORD_0
	s_waitcnt lgkmcnt(3)
	v_add_u32_sdwa v12, v20, v52 dst_sel:DWORD dst_unused:UNUSED_PAD src0_sel:DWORD src1_sel:WORD_0
	ds_read_u16 v20, v41
	s_waitcnt lgkmcnt(3)
	v_add_u32_sdwa v44, v24, v48 dst_sel:DWORD dst_unused:UNUSED_PAD src0_sel:DWORD src1_sel:WORD_0
	s_waitcnt lgkmcnt(2)
	v_add_u32_sdwa v43, v27, v46 dst_sel:DWORD dst_unused:UNUSED_PAD src0_sel:DWORD src1_sel:WORD_0
	ds_read_u16 v24, v37
	ds_read_u16 v27, v34
	;; [unrolled: 1-line block ×4, first 2 shown]
	v_add_u32_sdwa v14, v14, v59 dst_sel:DWORD dst_unused:UNUSED_PAD src0_sel:DWORD src1_sel:WORD_0
	s_waitcnt lgkmcnt(4)
	v_add_u32_sdwa v41, v20, v39 dst_sel:DWORD dst_unused:UNUSED_PAD src0_sel:DWORD src1_sel:WORD_0
	v_add_u32_sdwa v20, v36, v19 dst_sel:DWORD dst_unused:UNUSED_PAD src0_sel:DWORD src1_sel:WORD_0
	;; [unrolled: 1-line block ×4, first 2 shown]
	s_waitcnt lgkmcnt(3)
	v_add_u32_sdwa v29, v24, v35 dst_sel:DWORD dst_unused:UNUSED_PAD src0_sel:DWORD src1_sel:WORD_0
	s_waitcnt lgkmcnt(2)
	v_add_u32_sdwa v28, v27, v33 dst_sel:DWORD dst_unused:UNUSED_PAD src0_sel:DWORD src1_sel:WORD_0
	;; [unrolled: 2-line block ×4, first 2 shown]
	global_store_dwordx4 v17, v[19:22], s[0:1] offset:16
	global_store_dwordx4 v17, v[26:29], s[0:1] offset:32
	;; [unrolled: 1-line block ×7, first 2 shown]
	s_endpgm
	.section	.rodata,"a",@progbits
	.p2align	6, 0x0
	.amdhsa_kernel _Z11rank_kernelIhLj4ELb0EL18RadixRankAlgorithm1ELj256ELj32ELj10EEvPKT_Pi
		.amdhsa_group_segment_fixed_size 8208
		.amdhsa_private_segment_fixed_size 0
		.amdhsa_kernarg_size 16
		.amdhsa_user_sgpr_count 6
		.amdhsa_user_sgpr_private_segment_buffer 1
		.amdhsa_user_sgpr_dispatch_ptr 0
		.amdhsa_user_sgpr_queue_ptr 0
		.amdhsa_user_sgpr_kernarg_segment_ptr 1
		.amdhsa_user_sgpr_dispatch_id 0
		.amdhsa_user_sgpr_flat_scratch_init 0
		.amdhsa_user_sgpr_private_segment_size 0
		.amdhsa_uses_dynamic_stack 0
		.amdhsa_system_sgpr_private_segment_wavefront_offset 0
		.amdhsa_system_sgpr_workgroup_id_x 1
		.amdhsa_system_sgpr_workgroup_id_y 0
		.amdhsa_system_sgpr_workgroup_id_z 0
		.amdhsa_system_sgpr_workgroup_info 0
		.amdhsa_system_vgpr_workitem_id 0
		.amdhsa_next_free_vgpr 90
		.amdhsa_next_free_sgpr 77
		.amdhsa_reserve_vcc 1
		.amdhsa_reserve_flat_scratch 0
		.amdhsa_float_round_mode_32 0
		.amdhsa_float_round_mode_16_64 0
		.amdhsa_float_denorm_mode_32 3
		.amdhsa_float_denorm_mode_16_64 3
		.amdhsa_dx10_clamp 1
		.amdhsa_ieee_mode 1
		.amdhsa_fp16_overflow 0
		.amdhsa_exception_fp_ieee_invalid_op 0
		.amdhsa_exception_fp_denorm_src 0
		.amdhsa_exception_fp_ieee_div_zero 0
		.amdhsa_exception_fp_ieee_overflow 0
		.amdhsa_exception_fp_ieee_underflow 0
		.amdhsa_exception_fp_ieee_inexact 0
		.amdhsa_exception_int_div_zero 0
	.end_amdhsa_kernel
	.section	.text._Z11rank_kernelIhLj4ELb0EL18RadixRankAlgorithm1ELj256ELj32ELj10EEvPKT_Pi,"axG",@progbits,_Z11rank_kernelIhLj4ELb0EL18RadixRankAlgorithm1ELj256ELj32ELj10EEvPKT_Pi,comdat
.Lfunc_end73:
	.size	_Z11rank_kernelIhLj4ELb0EL18RadixRankAlgorithm1ELj256ELj32ELj10EEvPKT_Pi, .Lfunc_end73-_Z11rank_kernelIhLj4ELb0EL18RadixRankAlgorithm1ELj256ELj32ELj10EEvPKT_Pi
                                        ; -- End function
	.set _Z11rank_kernelIhLj4ELb0EL18RadixRankAlgorithm1ELj256ELj32ELj10EEvPKT_Pi.num_vgpr, 90
	.set _Z11rank_kernelIhLj4ELb0EL18RadixRankAlgorithm1ELj256ELj32ELj10EEvPKT_Pi.num_agpr, 0
	.set _Z11rank_kernelIhLj4ELb0EL18RadixRankAlgorithm1ELj256ELj32ELj10EEvPKT_Pi.numbered_sgpr, 37
	.set _Z11rank_kernelIhLj4ELb0EL18RadixRankAlgorithm1ELj256ELj32ELj10EEvPKT_Pi.num_named_barrier, 0
	.set _Z11rank_kernelIhLj4ELb0EL18RadixRankAlgorithm1ELj256ELj32ELj10EEvPKT_Pi.private_seg_size, 0
	.set _Z11rank_kernelIhLj4ELb0EL18RadixRankAlgorithm1ELj256ELj32ELj10EEvPKT_Pi.uses_vcc, 1
	.set _Z11rank_kernelIhLj4ELb0EL18RadixRankAlgorithm1ELj256ELj32ELj10EEvPKT_Pi.uses_flat_scratch, 0
	.set _Z11rank_kernelIhLj4ELb0EL18RadixRankAlgorithm1ELj256ELj32ELj10EEvPKT_Pi.has_dyn_sized_stack, 0
	.set _Z11rank_kernelIhLj4ELb0EL18RadixRankAlgorithm1ELj256ELj32ELj10EEvPKT_Pi.has_recursion, 0
	.set _Z11rank_kernelIhLj4ELb0EL18RadixRankAlgorithm1ELj256ELj32ELj10EEvPKT_Pi.has_indirect_call, 0
	.section	.AMDGPU.csdata,"",@progbits
; Kernel info:
; codeLenInByte = 3280
; TotalNumSgprs: 41
; NumVgprs: 90
; ScratchSize: 0
; MemoryBound: 0
; FloatMode: 240
; IeeeMode: 1
; LDSByteSize: 8208 bytes/workgroup (compile time only)
; SGPRBlocks: 10
; VGPRBlocks: 22
; NumSGPRsForWavesPerEU: 81
; NumVGPRsForWavesPerEU: 90
; Occupancy: 2
; WaveLimiterHint : 0
; COMPUTE_PGM_RSRC2:SCRATCH_EN: 0
; COMPUTE_PGM_RSRC2:USER_SGPR: 6
; COMPUTE_PGM_RSRC2:TRAP_HANDLER: 0
; COMPUTE_PGM_RSRC2:TGID_X_EN: 1
; COMPUTE_PGM_RSRC2:TGID_Y_EN: 0
; COMPUTE_PGM_RSRC2:TGID_Z_EN: 0
; COMPUTE_PGM_RSRC2:TIDIG_COMP_CNT: 0
	.section	.text._Z11rank_kernelIhLj4ELb0EL18RadixRankAlgorithm2ELj256ELj32ELj10EEvPKT_Pi,"axG",@progbits,_Z11rank_kernelIhLj4ELb0EL18RadixRankAlgorithm2ELj256ELj32ELj10EEvPKT_Pi,comdat
	.protected	_Z11rank_kernelIhLj4ELb0EL18RadixRankAlgorithm2ELj256ELj32ELj10EEvPKT_Pi ; -- Begin function _Z11rank_kernelIhLj4ELb0EL18RadixRankAlgorithm2ELj256ELj32ELj10EEvPKT_Pi
	.globl	_Z11rank_kernelIhLj4ELb0EL18RadixRankAlgorithm2ELj256ELj32ELj10EEvPKT_Pi
	.p2align	8
	.type	_Z11rank_kernelIhLj4ELb0EL18RadixRankAlgorithm2ELj256ELj32ELj10EEvPKT_Pi,@function
_Z11rank_kernelIhLj4ELb0EL18RadixRankAlgorithm2ELj256ELj32ELj10EEvPKT_Pi: ; @_Z11rank_kernelIhLj4ELb0EL18RadixRankAlgorithm2ELj256ELj32ELj10EEvPKT_Pi
; %bb.0:
	s_load_dwordx4 s[24:27], s[4:5], 0x0
	s_load_dword s2, s[4:5], 0x1c
	s_lshl_b32 s28, s6, 13
	v_lshlrev_b32_e32 v13, 5, v0
	v_lshlrev_b32_e32 v17, 2, v0
	s_waitcnt lgkmcnt(0)
	s_add_u32 s0, s24, s28
	s_addc_u32 s1, s25, 0
	global_load_dwordx4 v[3:6], v13, s[0:1]
	global_load_dwordx4 v[7:10], v13, s[0:1] offset:16
	s_lshr_b32 s0, s2, 16
	s_and_b32 s1, s2, 0xffff
	v_mad_u32_u24 v1, v2, s0, v1
	v_mad_u64_u32 v[1:2], s[0:1], v1, s1, v[0:1]
	v_mbcnt_lo_u32_b32 v2, -1, 0
	v_mbcnt_hi_u32_b32 v2, -1, v2
	v_and_b32_e32 v12, 15, v2
	v_cmp_eq_u32_e64 s[0:1], 0, v12
	v_cmp_lt_u32_e64 s[2:3], 1, v12
	v_cmp_lt_u32_e64 s[4:5], 3, v12
	;; [unrolled: 1-line block ×3, first 2 shown]
	v_and_b32_e32 v12, 16, v2
	v_cmp_eq_u32_e64 s[8:9], 0, v12
	v_or_b32_e32 v12, 63, v0
	v_cmp_eq_u32_e64 s[12:13], v0, v12
	v_cmp_gt_u32_e64 s[14:15], 4, v0
	v_cmp_lt_u32_e64 s[16:17], 63, v0
	v_subrev_co_u32_e64 v12, s[18:19], 1, v2
	v_and_b32_e32 v14, 64, v2
	v_lshrrev_b32_e32 v0, 4, v0
	v_cmp_lt_i32_e32 vcc, v12, v14
	v_and_b32_e32 v19, 12, v0
	v_and_b32_e32 v0, 3, v2
	s_mov_b32 s29, 0
	v_cndmask_b32_e32 v12, v12, v2, vcc
	v_cmp_eq_u32_e64 s[20:21], 0, v0
	v_cmp_lt_u32_e64 s[22:23], 1, v0
	v_lshrrev_b32_e32 v0, 4, v1
	v_mov_b32_e32 v11, 0
	v_cmp_lt_u32_e64 s[10:11], 31, v2
	v_lshlrev_b32_e32 v18, 2, v12
	v_add_u32_e32 v20, -4, v19
	v_and_b32_e32 v2, 0xffffffc, v0
	s_mov_b32 s33, s29
	s_branch .LBB74_2
.LBB74_1:                               ;   in Loop: Header=BB74_2 Depth=1
	s_add_i32 s33, s33, 1
	s_cmp_eq_u32 s33, 10
	s_cbranch_scc1 .LBB74_74
.LBB74_2:                               ; =>This Loop Header: Depth=1
                                        ;     Child Loop BB74_4 Depth 2
	s_mov_b64 s[30:31], -1
	s_mov_b32 s34, 28
	s_branch .LBB74_4
.LBB74_3:                               ;   in Loop: Header=BB74_4 Depth=2
	s_or_b64 exec, exec, s[24:25]
	s_waitcnt lgkmcnt(0)
	v_add_u32_e32 v0, v1, v0
	ds_bpermute_b32 v0, v18, v0
	s_xor_b64 s[24:25], s[30:31], -1
	s_mov_b32 s34, 24
	s_andn2_b64 vcc, exec, s[24:25]
	s_mov_b64 s[30:31], 0
	s_waitcnt lgkmcnt(0)
	v_cndmask_b32_e64 v0, v0, v1, s[18:19]
	ds_write_b32 v17, v0 offset:16
	s_waitcnt lgkmcnt(0)
	s_barrier
	s_cbranch_vccz .LBB74_1
.LBB74_4:                               ;   Parent Loop BB74_2 Depth=1
                                        ; =>  This Inner Loop Header: Depth=2
	s_waitcnt vmcnt(1)
	v_lshlrev_b32_sdwa v0, s34, v3 dst_sel:DWORD dst_unused:UNUSED_PAD src0_sel:DWORD src1_sel:BYTE_0
	v_lshrrev_b32_e32 v0, 28, v0
	v_and_b32_e32 v1, 1, v0
	v_add_co_u32_e32 v12, vcc, -1, v1
	v_addc_co_u32_e64 v14, s[24:25], 0, -1, vcc
	v_cmp_ne_u32_e32 vcc, 0, v1
	v_xor_b32_e32 v12, vcc_lo, v12
	v_xor_b32_e32 v1, vcc_hi, v14
	v_and_b32_e32 v14, exec_lo, v12
	v_lshlrev_b32_e32 v12, 30, v0
	v_cmp_gt_i64_e32 vcc, 0, v[11:12]
	v_not_b32_e32 v12, v12
	v_ashrrev_i32_e32 v12, 31, v12
	v_xor_b32_e32 v15, vcc_hi, v12
	v_xor_b32_e32 v12, vcc_lo, v12
	v_and_b32_e32 v14, v14, v12
	v_lshlrev_b32_e32 v12, 29, v0
	v_cmp_gt_i64_e32 vcc, 0, v[11:12]
	v_not_b32_e32 v12, v12
	v_and_b32_e32 v1, exec_hi, v1
	v_ashrrev_i32_e32 v12, 31, v12
	v_and_b32_e32 v1, v1, v15
	v_xor_b32_e32 v15, vcc_hi, v12
	v_xor_b32_e32 v12, vcc_lo, v12
	v_and_b32_e32 v14, v14, v12
	v_lshlrev_b32_e32 v12, 28, v0
	v_mul_u32_u24_e32 v16, 20, v0
	v_cmp_gt_i64_e32 vcc, 0, v[11:12]
	v_not_b32_e32 v0, v12
	v_ashrrev_i32_e32 v0, 31, v0
	v_xor_b32_e32 v12, vcc_hi, v0
	v_xor_b32_e32 v0, vcc_lo, v0
	v_and_b32_e32 v1, v1, v15
	v_and_b32_e32 v0, v14, v0
	;; [unrolled: 1-line block ×3, first 2 shown]
	v_mbcnt_lo_u32_b32 v12, v0, 0
	v_mbcnt_hi_u32_b32 v14, v1, v12
	v_cmp_ne_u64_e32 vcc, 0, v[0:1]
	v_cmp_eq_u32_e64 s[24:25], 0, v14
	s_and_b64 s[36:37], vcc, s[24:25]
	ds_write_b32 v17, v11 offset:16
	s_waitcnt vmcnt(0) lgkmcnt(0)
	s_barrier
	; wave barrier
	s_and_saveexec_b64 s[24:25], s[36:37]
; %bb.5:                                ;   in Loop: Header=BB74_4 Depth=2
	v_bcnt_u32_b32 v0, v0, 0
	v_bcnt_u32_b32 v0, v1, v0
	v_add_u32_e32 v1, v2, v16
	ds_write_b32 v1, v0 offset:16
; %bb.6:                                ;   in Loop: Header=BB74_4 Depth=2
	s_or_b64 exec, exec, s[24:25]
	v_lshlrev_b32_sdwa v0, s34, v3 dst_sel:DWORD dst_unused:UNUSED_PAD src0_sel:DWORD src1_sel:BYTE_1
	v_lshrrev_b32_e32 v0, 28, v0
	v_mad_u32_u24 v1, v0, 20, v2
	; wave barrier
	ds_read_b32 v15, v1 offset:16
	v_and_b32_e32 v1, 1, v0
	v_add_co_u32_e32 v12, vcc, -1, v1
	v_addc_co_u32_e64 v21, s[24:25], 0, -1, vcc
	v_cmp_ne_u32_e32 vcc, 0, v1
	v_xor_b32_e32 v12, vcc_lo, v12
	v_xor_b32_e32 v1, vcc_hi, v21
	v_and_b32_e32 v21, exec_lo, v12
	v_lshlrev_b32_e32 v12, 30, v0
	v_cmp_gt_i64_e32 vcc, 0, v[11:12]
	v_not_b32_e32 v12, v12
	v_ashrrev_i32_e32 v12, 31, v12
	v_xor_b32_e32 v22, vcc_hi, v12
	v_xor_b32_e32 v12, vcc_lo, v12
	v_and_b32_e32 v21, v21, v12
	v_lshlrev_b32_e32 v12, 29, v0
	v_cmp_gt_i64_e32 vcc, 0, v[11:12]
	v_not_b32_e32 v12, v12
	v_and_b32_e32 v1, exec_hi, v1
	v_ashrrev_i32_e32 v12, 31, v12
	v_and_b32_e32 v1, v1, v22
	v_xor_b32_e32 v22, vcc_hi, v12
	v_xor_b32_e32 v12, vcc_lo, v12
	v_and_b32_e32 v21, v21, v12
	v_lshlrev_b32_e32 v12, 28, v0
	v_mul_u32_u24_e32 v23, 20, v0
	v_cmp_gt_i64_e32 vcc, 0, v[11:12]
	v_not_b32_e32 v0, v12
	v_ashrrev_i32_e32 v0, 31, v0
	v_xor_b32_e32 v12, vcc_hi, v0
	v_xor_b32_e32 v0, vcc_lo, v0
	v_and_b32_e32 v1, v1, v22
	v_and_b32_e32 v0, v21, v0
	;; [unrolled: 1-line block ×3, first 2 shown]
	v_mbcnt_lo_u32_b32 v12, v0, 0
	v_mbcnt_hi_u32_b32 v21, v1, v12
	v_cmp_ne_u64_e32 vcc, 0, v[0:1]
	v_cmp_eq_u32_e64 s[24:25], 0, v21
	s_and_b64 s[36:37], vcc, s[24:25]
	; wave barrier
	s_and_saveexec_b64 s[24:25], s[36:37]
	s_cbranch_execz .LBB74_8
; %bb.7:                                ;   in Loop: Header=BB74_4 Depth=2
	v_bcnt_u32_b32 v0, v0, 0
	v_bcnt_u32_b32 v0, v1, v0
	s_waitcnt lgkmcnt(0)
	v_add_u32_e32 v0, v15, v0
	v_add_u32_e32 v1, v2, v23
	ds_write_b32 v1, v0 offset:16
.LBB74_8:                               ;   in Loop: Header=BB74_4 Depth=2
	s_or_b64 exec, exec, s[24:25]
	v_lshlrev_b32_sdwa v0, s34, v3 dst_sel:DWORD dst_unused:UNUSED_PAD src0_sel:DWORD src1_sel:BYTE_2
	v_lshrrev_b32_e32 v0, 28, v0
	v_mad_u32_u24 v1, v0, 20, v2
	; wave barrier
	ds_read_b32 v22, v1 offset:16
	v_and_b32_e32 v1, 1, v0
	v_add_co_u32_e32 v12, vcc, -1, v1
	v_addc_co_u32_e64 v24, s[24:25], 0, -1, vcc
	v_cmp_ne_u32_e32 vcc, 0, v1
	v_xor_b32_e32 v12, vcc_lo, v12
	v_xor_b32_e32 v1, vcc_hi, v24
	v_and_b32_e32 v24, exec_lo, v12
	v_lshlrev_b32_e32 v12, 30, v0
	v_cmp_gt_i64_e32 vcc, 0, v[11:12]
	v_not_b32_e32 v12, v12
	v_ashrrev_i32_e32 v12, 31, v12
	v_xor_b32_e32 v25, vcc_hi, v12
	v_xor_b32_e32 v12, vcc_lo, v12
	v_and_b32_e32 v24, v24, v12
	v_lshlrev_b32_e32 v12, 29, v0
	v_cmp_gt_i64_e32 vcc, 0, v[11:12]
	v_not_b32_e32 v12, v12
	v_and_b32_e32 v1, exec_hi, v1
	v_ashrrev_i32_e32 v12, 31, v12
	v_and_b32_e32 v1, v1, v25
	v_xor_b32_e32 v25, vcc_hi, v12
	v_xor_b32_e32 v12, vcc_lo, v12
	v_and_b32_e32 v24, v24, v12
	v_lshlrev_b32_e32 v12, 28, v0
	v_mul_u32_u24_e32 v26, 20, v0
	v_cmp_gt_i64_e32 vcc, 0, v[11:12]
	v_not_b32_e32 v0, v12
	v_ashrrev_i32_e32 v0, 31, v0
	v_xor_b32_e32 v12, vcc_hi, v0
	v_xor_b32_e32 v0, vcc_lo, v0
	v_and_b32_e32 v1, v1, v25
	v_and_b32_e32 v0, v24, v0
	;; [unrolled: 1-line block ×3, first 2 shown]
	v_mbcnt_lo_u32_b32 v12, v0, 0
	v_mbcnt_hi_u32_b32 v24, v1, v12
	v_cmp_ne_u64_e32 vcc, 0, v[0:1]
	v_cmp_eq_u32_e64 s[24:25], 0, v24
	s_and_b64 s[36:37], vcc, s[24:25]
	; wave barrier
	s_and_saveexec_b64 s[24:25], s[36:37]
	s_cbranch_execz .LBB74_10
; %bb.9:                                ;   in Loop: Header=BB74_4 Depth=2
	v_bcnt_u32_b32 v0, v0, 0
	v_bcnt_u32_b32 v0, v1, v0
	s_waitcnt lgkmcnt(0)
	v_add_u32_e32 v0, v22, v0
	v_add_u32_e32 v1, v2, v26
	ds_write_b32 v1, v0 offset:16
.LBB74_10:                              ;   in Loop: Header=BB74_4 Depth=2
	s_or_b64 exec, exec, s[24:25]
	v_lshlrev_b32_sdwa v0, s34, v3 dst_sel:DWORD dst_unused:UNUSED_PAD src0_sel:DWORD src1_sel:BYTE_3
	v_lshrrev_b32_e32 v0, 28, v0
	v_mad_u32_u24 v1, v0, 20, v2
	; wave barrier
	ds_read_b32 v25, v1 offset:16
	v_and_b32_e32 v1, 1, v0
	v_add_co_u32_e32 v12, vcc, -1, v1
	v_addc_co_u32_e64 v27, s[24:25], 0, -1, vcc
	v_cmp_ne_u32_e32 vcc, 0, v1
	v_xor_b32_e32 v12, vcc_lo, v12
	v_xor_b32_e32 v1, vcc_hi, v27
	v_and_b32_e32 v27, exec_lo, v12
	v_lshlrev_b32_e32 v12, 30, v0
	v_cmp_gt_i64_e32 vcc, 0, v[11:12]
	v_not_b32_e32 v12, v12
	v_ashrrev_i32_e32 v12, 31, v12
	v_xor_b32_e32 v28, vcc_hi, v12
	v_xor_b32_e32 v12, vcc_lo, v12
	v_and_b32_e32 v27, v27, v12
	v_lshlrev_b32_e32 v12, 29, v0
	v_cmp_gt_i64_e32 vcc, 0, v[11:12]
	v_not_b32_e32 v12, v12
	v_and_b32_e32 v1, exec_hi, v1
	v_ashrrev_i32_e32 v12, 31, v12
	v_and_b32_e32 v1, v1, v28
	v_xor_b32_e32 v28, vcc_hi, v12
	v_xor_b32_e32 v12, vcc_lo, v12
	v_and_b32_e32 v27, v27, v12
	v_lshlrev_b32_e32 v12, 28, v0
	v_mul_u32_u24_e32 v29, 20, v0
	v_cmp_gt_i64_e32 vcc, 0, v[11:12]
	v_not_b32_e32 v0, v12
	v_ashrrev_i32_e32 v0, 31, v0
	v_xor_b32_e32 v12, vcc_hi, v0
	v_xor_b32_e32 v0, vcc_lo, v0
	v_and_b32_e32 v1, v1, v28
	v_and_b32_e32 v0, v27, v0
	;; [unrolled: 1-line block ×3, first 2 shown]
	v_mbcnt_lo_u32_b32 v12, v0, 0
	v_mbcnt_hi_u32_b32 v27, v1, v12
	v_cmp_ne_u64_e32 vcc, 0, v[0:1]
	v_cmp_eq_u32_e64 s[24:25], 0, v27
	s_and_b64 s[36:37], vcc, s[24:25]
	; wave barrier
	s_and_saveexec_b64 s[24:25], s[36:37]
	s_cbranch_execz .LBB74_12
; %bb.11:                               ;   in Loop: Header=BB74_4 Depth=2
	v_bcnt_u32_b32 v0, v0, 0
	v_bcnt_u32_b32 v0, v1, v0
	s_waitcnt lgkmcnt(0)
	v_add_u32_e32 v0, v25, v0
	v_add_u32_e32 v1, v2, v29
	ds_write_b32 v1, v0 offset:16
.LBB74_12:                              ;   in Loop: Header=BB74_4 Depth=2
	s_or_b64 exec, exec, s[24:25]
	v_lshlrev_b32_sdwa v0, s34, v4 dst_sel:DWORD dst_unused:UNUSED_PAD src0_sel:DWORD src1_sel:BYTE_0
	v_lshrrev_b32_e32 v0, 28, v0
	v_mad_u32_u24 v1, v0, 20, v2
	; wave barrier
	ds_read_b32 v28, v1 offset:16
	v_and_b32_e32 v1, 1, v0
	v_add_co_u32_e32 v12, vcc, -1, v1
	v_addc_co_u32_e64 v31, s[24:25], 0, -1, vcc
	v_cmp_ne_u32_e32 vcc, 0, v1
	v_xor_b32_e32 v12, vcc_lo, v12
	v_xor_b32_e32 v1, vcc_hi, v31
	v_and_b32_e32 v31, exec_lo, v12
	v_lshlrev_b32_e32 v12, 30, v0
	v_cmp_gt_i64_e32 vcc, 0, v[11:12]
	v_not_b32_e32 v12, v12
	v_ashrrev_i32_e32 v12, 31, v12
	v_xor_b32_e32 v32, vcc_hi, v12
	v_xor_b32_e32 v12, vcc_lo, v12
	v_and_b32_e32 v31, v31, v12
	v_lshlrev_b32_e32 v12, 29, v0
	v_cmp_gt_i64_e32 vcc, 0, v[11:12]
	v_not_b32_e32 v12, v12
	v_and_b32_e32 v1, exec_hi, v1
	v_ashrrev_i32_e32 v12, 31, v12
	v_and_b32_e32 v1, v1, v32
	v_xor_b32_e32 v32, vcc_hi, v12
	v_xor_b32_e32 v12, vcc_lo, v12
	v_and_b32_e32 v31, v31, v12
	v_lshlrev_b32_e32 v12, 28, v0
	v_mul_u32_u24_e32 v30, 20, v0
	v_cmp_gt_i64_e32 vcc, 0, v[11:12]
	v_not_b32_e32 v0, v12
	v_ashrrev_i32_e32 v0, 31, v0
	v_xor_b32_e32 v12, vcc_hi, v0
	v_xor_b32_e32 v0, vcc_lo, v0
	v_and_b32_e32 v1, v1, v32
	v_and_b32_e32 v0, v31, v0
	;; [unrolled: 1-line block ×3, first 2 shown]
	v_mbcnt_lo_u32_b32 v12, v0, 0
	v_mbcnt_hi_u32_b32 v31, v1, v12
	v_cmp_ne_u64_e32 vcc, 0, v[0:1]
	v_cmp_eq_u32_e64 s[24:25], 0, v31
	s_and_b64 s[36:37], vcc, s[24:25]
	; wave barrier
	s_and_saveexec_b64 s[24:25], s[36:37]
	s_cbranch_execz .LBB74_14
; %bb.13:                               ;   in Loop: Header=BB74_4 Depth=2
	v_bcnt_u32_b32 v0, v0, 0
	v_bcnt_u32_b32 v0, v1, v0
	s_waitcnt lgkmcnt(0)
	v_add_u32_e32 v0, v28, v0
	v_add_u32_e32 v1, v2, v30
	ds_write_b32 v1, v0 offset:16
.LBB74_14:                              ;   in Loop: Header=BB74_4 Depth=2
	s_or_b64 exec, exec, s[24:25]
	v_lshlrev_b32_sdwa v0, s34, v4 dst_sel:DWORD dst_unused:UNUSED_PAD src0_sel:DWORD src1_sel:BYTE_1
	v_lshrrev_b32_e32 v0, 28, v0
	v_mad_u32_u24 v1, v0, 20, v2
	; wave barrier
	ds_read_b32 v32, v1 offset:16
	v_and_b32_e32 v1, 1, v0
	v_add_co_u32_e32 v12, vcc, -1, v1
	v_addc_co_u32_e64 v34, s[24:25], 0, -1, vcc
	v_cmp_ne_u32_e32 vcc, 0, v1
	v_xor_b32_e32 v12, vcc_lo, v12
	v_xor_b32_e32 v1, vcc_hi, v34
	v_and_b32_e32 v34, exec_lo, v12
	v_lshlrev_b32_e32 v12, 30, v0
	v_cmp_gt_i64_e32 vcc, 0, v[11:12]
	v_not_b32_e32 v12, v12
	v_ashrrev_i32_e32 v12, 31, v12
	v_xor_b32_e32 v35, vcc_hi, v12
	v_xor_b32_e32 v12, vcc_lo, v12
	v_and_b32_e32 v34, v34, v12
	v_lshlrev_b32_e32 v12, 29, v0
	v_cmp_gt_i64_e32 vcc, 0, v[11:12]
	v_not_b32_e32 v12, v12
	v_and_b32_e32 v1, exec_hi, v1
	v_ashrrev_i32_e32 v12, 31, v12
	v_and_b32_e32 v1, v1, v35
	v_xor_b32_e32 v35, vcc_hi, v12
	v_xor_b32_e32 v12, vcc_lo, v12
	v_and_b32_e32 v34, v34, v12
	v_lshlrev_b32_e32 v12, 28, v0
	v_mul_u32_u24_e32 v33, 20, v0
	v_cmp_gt_i64_e32 vcc, 0, v[11:12]
	v_not_b32_e32 v0, v12
	v_ashrrev_i32_e32 v0, 31, v0
	v_xor_b32_e32 v12, vcc_hi, v0
	v_xor_b32_e32 v0, vcc_lo, v0
	v_and_b32_e32 v1, v1, v35
	v_and_b32_e32 v0, v34, v0
	;; [unrolled: 1-line block ×3, first 2 shown]
	v_mbcnt_lo_u32_b32 v12, v0, 0
	v_mbcnt_hi_u32_b32 v34, v1, v12
	v_cmp_ne_u64_e32 vcc, 0, v[0:1]
	v_cmp_eq_u32_e64 s[24:25], 0, v34
	s_and_b64 s[36:37], vcc, s[24:25]
	; wave barrier
	s_and_saveexec_b64 s[24:25], s[36:37]
	s_cbranch_execz .LBB74_16
; %bb.15:                               ;   in Loop: Header=BB74_4 Depth=2
	v_bcnt_u32_b32 v0, v0, 0
	v_bcnt_u32_b32 v0, v1, v0
	s_waitcnt lgkmcnt(0)
	v_add_u32_e32 v0, v32, v0
	v_add_u32_e32 v1, v2, v33
	ds_write_b32 v1, v0 offset:16
.LBB74_16:                              ;   in Loop: Header=BB74_4 Depth=2
	s_or_b64 exec, exec, s[24:25]
	v_lshlrev_b32_sdwa v0, s34, v4 dst_sel:DWORD dst_unused:UNUSED_PAD src0_sel:DWORD src1_sel:BYTE_2
	v_lshrrev_b32_e32 v0, 28, v0
	v_mad_u32_u24 v1, v0, 20, v2
	; wave barrier
	ds_read_b32 v35, v1 offset:16
	v_and_b32_e32 v1, 1, v0
	v_add_co_u32_e32 v12, vcc, -1, v1
	v_addc_co_u32_e64 v37, s[24:25], 0, -1, vcc
	v_cmp_ne_u32_e32 vcc, 0, v1
	v_xor_b32_e32 v12, vcc_lo, v12
	v_xor_b32_e32 v1, vcc_hi, v37
	v_and_b32_e32 v37, exec_lo, v12
	v_lshlrev_b32_e32 v12, 30, v0
	v_cmp_gt_i64_e32 vcc, 0, v[11:12]
	v_not_b32_e32 v12, v12
	v_ashrrev_i32_e32 v12, 31, v12
	v_xor_b32_e32 v38, vcc_hi, v12
	v_xor_b32_e32 v12, vcc_lo, v12
	v_and_b32_e32 v37, v37, v12
	v_lshlrev_b32_e32 v12, 29, v0
	v_cmp_gt_i64_e32 vcc, 0, v[11:12]
	v_not_b32_e32 v12, v12
	v_and_b32_e32 v1, exec_hi, v1
	v_ashrrev_i32_e32 v12, 31, v12
	v_and_b32_e32 v1, v1, v38
	v_xor_b32_e32 v38, vcc_hi, v12
	v_xor_b32_e32 v12, vcc_lo, v12
	v_and_b32_e32 v37, v37, v12
	v_lshlrev_b32_e32 v12, 28, v0
	v_mul_u32_u24_e32 v36, 20, v0
	v_cmp_gt_i64_e32 vcc, 0, v[11:12]
	v_not_b32_e32 v0, v12
	v_ashrrev_i32_e32 v0, 31, v0
	v_xor_b32_e32 v12, vcc_hi, v0
	v_xor_b32_e32 v0, vcc_lo, v0
	v_and_b32_e32 v1, v1, v38
	v_and_b32_e32 v0, v37, v0
	;; [unrolled: 1-line block ×3, first 2 shown]
	v_mbcnt_lo_u32_b32 v12, v0, 0
	v_mbcnt_hi_u32_b32 v37, v1, v12
	v_cmp_ne_u64_e32 vcc, 0, v[0:1]
	v_cmp_eq_u32_e64 s[24:25], 0, v37
	s_and_b64 s[36:37], vcc, s[24:25]
	; wave barrier
	s_and_saveexec_b64 s[24:25], s[36:37]
	s_cbranch_execz .LBB74_18
; %bb.17:                               ;   in Loop: Header=BB74_4 Depth=2
	v_bcnt_u32_b32 v0, v0, 0
	v_bcnt_u32_b32 v0, v1, v0
	s_waitcnt lgkmcnt(0)
	v_add_u32_e32 v0, v35, v0
	v_add_u32_e32 v1, v2, v36
	ds_write_b32 v1, v0 offset:16
.LBB74_18:                              ;   in Loop: Header=BB74_4 Depth=2
	s_or_b64 exec, exec, s[24:25]
	v_lshlrev_b32_sdwa v0, s34, v4 dst_sel:DWORD dst_unused:UNUSED_PAD src0_sel:DWORD src1_sel:BYTE_3
	v_lshrrev_b32_e32 v0, 28, v0
	v_mad_u32_u24 v1, v0, 20, v2
	; wave barrier
	ds_read_b32 v38, v1 offset:16
	v_and_b32_e32 v1, 1, v0
	v_add_co_u32_e32 v12, vcc, -1, v1
	v_addc_co_u32_e64 v39, s[24:25], 0, -1, vcc
	v_cmp_ne_u32_e32 vcc, 0, v1
	v_xor_b32_e32 v12, vcc_lo, v12
	v_xor_b32_e32 v1, vcc_hi, v39
	v_and_b32_e32 v39, exec_lo, v12
	v_lshlrev_b32_e32 v12, 30, v0
	v_cmp_gt_i64_e32 vcc, 0, v[11:12]
	v_not_b32_e32 v12, v12
	v_ashrrev_i32_e32 v12, 31, v12
	v_xor_b32_e32 v41, vcc_hi, v12
	v_xor_b32_e32 v12, vcc_lo, v12
	v_and_b32_e32 v39, v39, v12
	v_lshlrev_b32_e32 v12, 29, v0
	v_cmp_gt_i64_e32 vcc, 0, v[11:12]
	v_not_b32_e32 v12, v12
	v_and_b32_e32 v1, exec_hi, v1
	v_ashrrev_i32_e32 v12, 31, v12
	v_and_b32_e32 v1, v1, v41
	v_xor_b32_e32 v41, vcc_hi, v12
	v_xor_b32_e32 v12, vcc_lo, v12
	v_and_b32_e32 v39, v39, v12
	v_lshlrev_b32_e32 v12, 28, v0
	v_mul_u32_u24_e32 v40, 20, v0
	v_cmp_gt_i64_e32 vcc, 0, v[11:12]
	v_not_b32_e32 v0, v12
	v_ashrrev_i32_e32 v0, 31, v0
	v_xor_b32_e32 v12, vcc_hi, v0
	v_xor_b32_e32 v0, vcc_lo, v0
	v_and_b32_e32 v1, v1, v41
	v_and_b32_e32 v0, v39, v0
	;; [unrolled: 1-line block ×3, first 2 shown]
	v_mbcnt_lo_u32_b32 v12, v0, 0
	v_mbcnt_hi_u32_b32 v41, v1, v12
	v_cmp_ne_u64_e32 vcc, 0, v[0:1]
	v_cmp_eq_u32_e64 s[24:25], 0, v41
	s_and_b64 s[36:37], vcc, s[24:25]
	; wave barrier
	s_and_saveexec_b64 s[24:25], s[36:37]
	s_cbranch_execz .LBB74_20
; %bb.19:                               ;   in Loop: Header=BB74_4 Depth=2
	v_bcnt_u32_b32 v0, v0, 0
	v_bcnt_u32_b32 v0, v1, v0
	s_waitcnt lgkmcnt(0)
	v_add_u32_e32 v0, v38, v0
	v_add_u32_e32 v1, v2, v40
	ds_write_b32 v1, v0 offset:16
.LBB74_20:                              ;   in Loop: Header=BB74_4 Depth=2
	s_or_b64 exec, exec, s[24:25]
	v_lshlrev_b32_sdwa v0, s34, v5 dst_sel:DWORD dst_unused:UNUSED_PAD src0_sel:DWORD src1_sel:BYTE_0
	v_lshrrev_b32_e32 v0, 28, v0
	v_mad_u32_u24 v1, v0, 20, v2
	; wave barrier
	ds_read_b32 v39, v1 offset:16
	v_and_b32_e32 v1, 1, v0
	v_add_co_u32_e32 v12, vcc, -1, v1
	v_addc_co_u32_e64 v43, s[24:25], 0, -1, vcc
	v_cmp_ne_u32_e32 vcc, 0, v1
	v_xor_b32_e32 v12, vcc_lo, v12
	v_xor_b32_e32 v1, vcc_hi, v43
	v_and_b32_e32 v43, exec_lo, v12
	v_lshlrev_b32_e32 v12, 30, v0
	v_cmp_gt_i64_e32 vcc, 0, v[11:12]
	v_not_b32_e32 v12, v12
	v_ashrrev_i32_e32 v12, 31, v12
	v_xor_b32_e32 v44, vcc_hi, v12
	v_xor_b32_e32 v12, vcc_lo, v12
	v_and_b32_e32 v43, v43, v12
	v_lshlrev_b32_e32 v12, 29, v0
	v_cmp_gt_i64_e32 vcc, 0, v[11:12]
	v_not_b32_e32 v12, v12
	v_and_b32_e32 v1, exec_hi, v1
	v_ashrrev_i32_e32 v12, 31, v12
	v_and_b32_e32 v1, v1, v44
	v_xor_b32_e32 v44, vcc_hi, v12
	v_xor_b32_e32 v12, vcc_lo, v12
	v_and_b32_e32 v43, v43, v12
	v_lshlrev_b32_e32 v12, 28, v0
	v_mul_u32_u24_e32 v42, 20, v0
	v_cmp_gt_i64_e32 vcc, 0, v[11:12]
	v_not_b32_e32 v0, v12
	v_ashrrev_i32_e32 v0, 31, v0
	v_xor_b32_e32 v12, vcc_hi, v0
	v_xor_b32_e32 v0, vcc_lo, v0
	v_and_b32_e32 v1, v1, v44
	v_and_b32_e32 v0, v43, v0
	;; [unrolled: 1-line block ×3, first 2 shown]
	v_mbcnt_lo_u32_b32 v12, v0, 0
	v_mbcnt_hi_u32_b32 v43, v1, v12
	v_cmp_ne_u64_e32 vcc, 0, v[0:1]
	v_cmp_eq_u32_e64 s[24:25], 0, v43
	s_and_b64 s[36:37], vcc, s[24:25]
	; wave barrier
	s_and_saveexec_b64 s[24:25], s[36:37]
	s_cbranch_execz .LBB74_22
; %bb.21:                               ;   in Loop: Header=BB74_4 Depth=2
	v_bcnt_u32_b32 v0, v0, 0
	v_bcnt_u32_b32 v0, v1, v0
	s_waitcnt lgkmcnt(0)
	v_add_u32_e32 v0, v39, v0
	v_add_u32_e32 v1, v2, v42
	ds_write_b32 v1, v0 offset:16
.LBB74_22:                              ;   in Loop: Header=BB74_4 Depth=2
	s_or_b64 exec, exec, s[24:25]
	v_lshlrev_b32_sdwa v0, s34, v5 dst_sel:DWORD dst_unused:UNUSED_PAD src0_sel:DWORD src1_sel:BYTE_1
	v_lshrrev_b32_e32 v0, 28, v0
	v_mad_u32_u24 v1, v0, 20, v2
	; wave barrier
	ds_read_b32 v44, v1 offset:16
	v_and_b32_e32 v1, 1, v0
	v_add_co_u32_e32 v12, vcc, -1, v1
	v_addc_co_u32_e64 v46, s[24:25], 0, -1, vcc
	v_cmp_ne_u32_e32 vcc, 0, v1
	v_xor_b32_e32 v12, vcc_lo, v12
	v_xor_b32_e32 v1, vcc_hi, v46
	v_and_b32_e32 v46, exec_lo, v12
	v_lshlrev_b32_e32 v12, 30, v0
	v_cmp_gt_i64_e32 vcc, 0, v[11:12]
	v_not_b32_e32 v12, v12
	v_ashrrev_i32_e32 v12, 31, v12
	v_xor_b32_e32 v47, vcc_hi, v12
	v_xor_b32_e32 v12, vcc_lo, v12
	v_and_b32_e32 v46, v46, v12
	v_lshlrev_b32_e32 v12, 29, v0
	v_cmp_gt_i64_e32 vcc, 0, v[11:12]
	v_not_b32_e32 v12, v12
	v_and_b32_e32 v1, exec_hi, v1
	v_ashrrev_i32_e32 v12, 31, v12
	v_and_b32_e32 v1, v1, v47
	v_xor_b32_e32 v47, vcc_hi, v12
	v_xor_b32_e32 v12, vcc_lo, v12
	v_and_b32_e32 v46, v46, v12
	v_lshlrev_b32_e32 v12, 28, v0
	v_mul_u32_u24_e32 v45, 20, v0
	v_cmp_gt_i64_e32 vcc, 0, v[11:12]
	v_not_b32_e32 v0, v12
	v_ashrrev_i32_e32 v0, 31, v0
	v_xor_b32_e32 v12, vcc_hi, v0
	v_xor_b32_e32 v0, vcc_lo, v0
	v_and_b32_e32 v1, v1, v47
	v_and_b32_e32 v0, v46, v0
	;; [unrolled: 1-line block ×3, first 2 shown]
	v_mbcnt_lo_u32_b32 v12, v0, 0
	v_mbcnt_hi_u32_b32 v46, v1, v12
	v_cmp_ne_u64_e32 vcc, 0, v[0:1]
	v_cmp_eq_u32_e64 s[24:25], 0, v46
	s_and_b64 s[36:37], vcc, s[24:25]
	; wave barrier
	s_and_saveexec_b64 s[24:25], s[36:37]
	s_cbranch_execz .LBB74_24
; %bb.23:                               ;   in Loop: Header=BB74_4 Depth=2
	v_bcnt_u32_b32 v0, v0, 0
	v_bcnt_u32_b32 v0, v1, v0
	s_waitcnt lgkmcnt(0)
	v_add_u32_e32 v0, v44, v0
	v_add_u32_e32 v1, v2, v45
	ds_write_b32 v1, v0 offset:16
.LBB74_24:                              ;   in Loop: Header=BB74_4 Depth=2
	s_or_b64 exec, exec, s[24:25]
	v_lshlrev_b32_sdwa v0, s34, v5 dst_sel:DWORD dst_unused:UNUSED_PAD src0_sel:DWORD src1_sel:BYTE_2
	v_lshrrev_b32_e32 v0, 28, v0
	v_mad_u32_u24 v1, v0, 20, v2
	; wave barrier
	ds_read_b32 v47, v1 offset:16
	v_and_b32_e32 v1, 1, v0
	v_add_co_u32_e32 v12, vcc, -1, v1
	v_addc_co_u32_e64 v49, s[24:25], 0, -1, vcc
	v_cmp_ne_u32_e32 vcc, 0, v1
	v_xor_b32_e32 v12, vcc_lo, v12
	v_xor_b32_e32 v1, vcc_hi, v49
	v_and_b32_e32 v49, exec_lo, v12
	v_lshlrev_b32_e32 v12, 30, v0
	v_cmp_gt_i64_e32 vcc, 0, v[11:12]
	v_not_b32_e32 v12, v12
	v_ashrrev_i32_e32 v12, 31, v12
	v_xor_b32_e32 v50, vcc_hi, v12
	v_xor_b32_e32 v12, vcc_lo, v12
	v_and_b32_e32 v49, v49, v12
	v_lshlrev_b32_e32 v12, 29, v0
	v_cmp_gt_i64_e32 vcc, 0, v[11:12]
	v_not_b32_e32 v12, v12
	v_and_b32_e32 v1, exec_hi, v1
	v_ashrrev_i32_e32 v12, 31, v12
	v_and_b32_e32 v1, v1, v50
	v_xor_b32_e32 v50, vcc_hi, v12
	v_xor_b32_e32 v12, vcc_lo, v12
	v_and_b32_e32 v49, v49, v12
	v_lshlrev_b32_e32 v12, 28, v0
	v_mul_u32_u24_e32 v48, 20, v0
	v_cmp_gt_i64_e32 vcc, 0, v[11:12]
	v_not_b32_e32 v0, v12
	v_ashrrev_i32_e32 v0, 31, v0
	v_xor_b32_e32 v12, vcc_hi, v0
	v_xor_b32_e32 v0, vcc_lo, v0
	v_and_b32_e32 v1, v1, v50
	v_and_b32_e32 v0, v49, v0
	;; [unrolled: 1-line block ×3, first 2 shown]
	v_mbcnt_lo_u32_b32 v12, v0, 0
	v_mbcnt_hi_u32_b32 v49, v1, v12
	v_cmp_ne_u64_e32 vcc, 0, v[0:1]
	v_cmp_eq_u32_e64 s[24:25], 0, v49
	s_and_b64 s[36:37], vcc, s[24:25]
	; wave barrier
	s_and_saveexec_b64 s[24:25], s[36:37]
	s_cbranch_execz .LBB74_26
; %bb.25:                               ;   in Loop: Header=BB74_4 Depth=2
	v_bcnt_u32_b32 v0, v0, 0
	v_bcnt_u32_b32 v0, v1, v0
	s_waitcnt lgkmcnt(0)
	v_add_u32_e32 v0, v47, v0
	v_add_u32_e32 v1, v2, v48
	ds_write_b32 v1, v0 offset:16
.LBB74_26:                              ;   in Loop: Header=BB74_4 Depth=2
	s_or_b64 exec, exec, s[24:25]
	v_lshlrev_b32_sdwa v0, s34, v5 dst_sel:DWORD dst_unused:UNUSED_PAD src0_sel:DWORD src1_sel:BYTE_3
	v_lshrrev_b32_e32 v0, 28, v0
	v_mad_u32_u24 v1, v0, 20, v2
	; wave barrier
	ds_read_b32 v50, v1 offset:16
	v_and_b32_e32 v1, 1, v0
	v_add_co_u32_e32 v12, vcc, -1, v1
	v_addc_co_u32_e64 v52, s[24:25], 0, -1, vcc
	v_cmp_ne_u32_e32 vcc, 0, v1
	v_xor_b32_e32 v12, vcc_lo, v12
	v_xor_b32_e32 v1, vcc_hi, v52
	v_and_b32_e32 v52, exec_lo, v12
	v_lshlrev_b32_e32 v12, 30, v0
	v_cmp_gt_i64_e32 vcc, 0, v[11:12]
	v_not_b32_e32 v12, v12
	v_ashrrev_i32_e32 v12, 31, v12
	v_xor_b32_e32 v53, vcc_hi, v12
	v_xor_b32_e32 v12, vcc_lo, v12
	v_and_b32_e32 v52, v52, v12
	v_lshlrev_b32_e32 v12, 29, v0
	v_cmp_gt_i64_e32 vcc, 0, v[11:12]
	v_not_b32_e32 v12, v12
	v_and_b32_e32 v1, exec_hi, v1
	v_ashrrev_i32_e32 v12, 31, v12
	v_and_b32_e32 v1, v1, v53
	v_xor_b32_e32 v53, vcc_hi, v12
	v_xor_b32_e32 v12, vcc_lo, v12
	v_and_b32_e32 v52, v52, v12
	v_lshlrev_b32_e32 v12, 28, v0
	v_mul_u32_u24_e32 v51, 20, v0
	v_cmp_gt_i64_e32 vcc, 0, v[11:12]
	v_not_b32_e32 v0, v12
	v_ashrrev_i32_e32 v0, 31, v0
	v_xor_b32_e32 v12, vcc_hi, v0
	v_xor_b32_e32 v0, vcc_lo, v0
	v_and_b32_e32 v1, v1, v53
	v_and_b32_e32 v0, v52, v0
	;; [unrolled: 1-line block ×3, first 2 shown]
	v_mbcnt_lo_u32_b32 v12, v0, 0
	v_mbcnt_hi_u32_b32 v52, v1, v12
	v_cmp_ne_u64_e32 vcc, 0, v[0:1]
	v_cmp_eq_u32_e64 s[24:25], 0, v52
	s_and_b64 s[36:37], vcc, s[24:25]
	; wave barrier
	s_and_saveexec_b64 s[24:25], s[36:37]
	s_cbranch_execz .LBB74_28
; %bb.27:                               ;   in Loop: Header=BB74_4 Depth=2
	v_bcnt_u32_b32 v0, v0, 0
	v_bcnt_u32_b32 v0, v1, v0
	s_waitcnt lgkmcnt(0)
	v_add_u32_e32 v0, v50, v0
	v_add_u32_e32 v1, v2, v51
	ds_write_b32 v1, v0 offset:16
.LBB74_28:                              ;   in Loop: Header=BB74_4 Depth=2
	s_or_b64 exec, exec, s[24:25]
	v_lshlrev_b32_sdwa v0, s34, v6 dst_sel:DWORD dst_unused:UNUSED_PAD src0_sel:DWORD src1_sel:BYTE_0
	v_lshrrev_b32_e32 v0, 28, v0
	v_mad_u32_u24 v1, v0, 20, v2
	; wave barrier
	ds_read_b32 v53, v1 offset:16
	v_and_b32_e32 v1, 1, v0
	v_add_co_u32_e32 v12, vcc, -1, v1
	v_addc_co_u32_e64 v55, s[24:25], 0, -1, vcc
	v_cmp_ne_u32_e32 vcc, 0, v1
	v_xor_b32_e32 v12, vcc_lo, v12
	v_xor_b32_e32 v1, vcc_hi, v55
	v_and_b32_e32 v55, exec_lo, v12
	v_lshlrev_b32_e32 v12, 30, v0
	v_cmp_gt_i64_e32 vcc, 0, v[11:12]
	v_not_b32_e32 v12, v12
	v_ashrrev_i32_e32 v12, 31, v12
	v_xor_b32_e32 v56, vcc_hi, v12
	v_xor_b32_e32 v12, vcc_lo, v12
	v_and_b32_e32 v55, v55, v12
	v_lshlrev_b32_e32 v12, 29, v0
	v_cmp_gt_i64_e32 vcc, 0, v[11:12]
	v_not_b32_e32 v12, v12
	v_and_b32_e32 v1, exec_hi, v1
	v_ashrrev_i32_e32 v12, 31, v12
	v_and_b32_e32 v1, v1, v56
	v_xor_b32_e32 v56, vcc_hi, v12
	v_xor_b32_e32 v12, vcc_lo, v12
	v_and_b32_e32 v55, v55, v12
	v_lshlrev_b32_e32 v12, 28, v0
	v_mul_u32_u24_e32 v54, 20, v0
	v_cmp_gt_i64_e32 vcc, 0, v[11:12]
	v_not_b32_e32 v0, v12
	v_ashrrev_i32_e32 v0, 31, v0
	v_xor_b32_e32 v12, vcc_hi, v0
	v_xor_b32_e32 v0, vcc_lo, v0
	v_and_b32_e32 v1, v1, v56
	v_and_b32_e32 v0, v55, v0
	;; [unrolled: 1-line block ×3, first 2 shown]
	v_mbcnt_lo_u32_b32 v12, v0, 0
	v_mbcnt_hi_u32_b32 v55, v1, v12
	v_cmp_ne_u64_e32 vcc, 0, v[0:1]
	v_cmp_eq_u32_e64 s[24:25], 0, v55
	s_and_b64 s[36:37], vcc, s[24:25]
	; wave barrier
	s_and_saveexec_b64 s[24:25], s[36:37]
	s_cbranch_execz .LBB74_30
; %bb.29:                               ;   in Loop: Header=BB74_4 Depth=2
	v_bcnt_u32_b32 v0, v0, 0
	v_bcnt_u32_b32 v0, v1, v0
	s_waitcnt lgkmcnt(0)
	v_add_u32_e32 v0, v53, v0
	v_add_u32_e32 v1, v2, v54
	ds_write_b32 v1, v0 offset:16
.LBB74_30:                              ;   in Loop: Header=BB74_4 Depth=2
	s_or_b64 exec, exec, s[24:25]
	v_lshlrev_b32_sdwa v0, s34, v6 dst_sel:DWORD dst_unused:UNUSED_PAD src0_sel:DWORD src1_sel:BYTE_1
	v_lshrrev_b32_e32 v0, 28, v0
	v_mad_u32_u24 v1, v0, 20, v2
	; wave barrier
	ds_read_b32 v56, v1 offset:16
	v_and_b32_e32 v1, 1, v0
	v_add_co_u32_e32 v12, vcc, -1, v1
	v_addc_co_u32_e64 v58, s[24:25], 0, -1, vcc
	v_cmp_ne_u32_e32 vcc, 0, v1
	v_xor_b32_e32 v12, vcc_lo, v12
	v_xor_b32_e32 v1, vcc_hi, v58
	v_and_b32_e32 v58, exec_lo, v12
	v_lshlrev_b32_e32 v12, 30, v0
	v_cmp_gt_i64_e32 vcc, 0, v[11:12]
	v_not_b32_e32 v12, v12
	v_ashrrev_i32_e32 v12, 31, v12
	v_xor_b32_e32 v59, vcc_hi, v12
	v_xor_b32_e32 v12, vcc_lo, v12
	v_and_b32_e32 v58, v58, v12
	v_lshlrev_b32_e32 v12, 29, v0
	v_cmp_gt_i64_e32 vcc, 0, v[11:12]
	v_not_b32_e32 v12, v12
	v_and_b32_e32 v1, exec_hi, v1
	v_ashrrev_i32_e32 v12, 31, v12
	v_and_b32_e32 v1, v1, v59
	v_xor_b32_e32 v59, vcc_hi, v12
	v_xor_b32_e32 v12, vcc_lo, v12
	v_and_b32_e32 v58, v58, v12
	v_lshlrev_b32_e32 v12, 28, v0
	v_mul_u32_u24_e32 v57, 20, v0
	v_cmp_gt_i64_e32 vcc, 0, v[11:12]
	v_not_b32_e32 v0, v12
	v_ashrrev_i32_e32 v0, 31, v0
	v_xor_b32_e32 v12, vcc_hi, v0
	v_xor_b32_e32 v0, vcc_lo, v0
	v_and_b32_e32 v1, v1, v59
	v_and_b32_e32 v0, v58, v0
	v_and_b32_e32 v1, v1, v12
	v_mbcnt_lo_u32_b32 v12, v0, 0
	v_mbcnt_hi_u32_b32 v58, v1, v12
	v_cmp_ne_u64_e32 vcc, 0, v[0:1]
	v_cmp_eq_u32_e64 s[24:25], 0, v58
	s_and_b64 s[36:37], vcc, s[24:25]
	; wave barrier
	s_and_saveexec_b64 s[24:25], s[36:37]
	s_cbranch_execz .LBB74_32
; %bb.31:                               ;   in Loop: Header=BB74_4 Depth=2
	v_bcnt_u32_b32 v0, v0, 0
	v_bcnt_u32_b32 v0, v1, v0
	s_waitcnt lgkmcnt(0)
	v_add_u32_e32 v0, v56, v0
	v_add_u32_e32 v1, v2, v57
	ds_write_b32 v1, v0 offset:16
.LBB74_32:                              ;   in Loop: Header=BB74_4 Depth=2
	s_or_b64 exec, exec, s[24:25]
	v_lshlrev_b32_sdwa v0, s34, v6 dst_sel:DWORD dst_unused:UNUSED_PAD src0_sel:DWORD src1_sel:BYTE_2
	v_lshrrev_b32_e32 v0, 28, v0
	v_mad_u32_u24 v1, v0, 20, v2
	; wave barrier
	ds_read_b32 v59, v1 offset:16
	v_and_b32_e32 v1, 1, v0
	v_add_co_u32_e32 v12, vcc, -1, v1
	v_addc_co_u32_e64 v61, s[24:25], 0, -1, vcc
	v_cmp_ne_u32_e32 vcc, 0, v1
	v_xor_b32_e32 v12, vcc_lo, v12
	v_xor_b32_e32 v1, vcc_hi, v61
	v_and_b32_e32 v61, exec_lo, v12
	v_lshlrev_b32_e32 v12, 30, v0
	v_cmp_gt_i64_e32 vcc, 0, v[11:12]
	v_not_b32_e32 v12, v12
	v_ashrrev_i32_e32 v12, 31, v12
	v_xor_b32_e32 v62, vcc_hi, v12
	v_xor_b32_e32 v12, vcc_lo, v12
	v_and_b32_e32 v61, v61, v12
	v_lshlrev_b32_e32 v12, 29, v0
	v_cmp_gt_i64_e32 vcc, 0, v[11:12]
	v_not_b32_e32 v12, v12
	v_and_b32_e32 v1, exec_hi, v1
	v_ashrrev_i32_e32 v12, 31, v12
	v_and_b32_e32 v1, v1, v62
	v_xor_b32_e32 v62, vcc_hi, v12
	v_xor_b32_e32 v12, vcc_lo, v12
	v_and_b32_e32 v61, v61, v12
	v_lshlrev_b32_e32 v12, 28, v0
	v_mul_u32_u24_e32 v60, 20, v0
	v_cmp_gt_i64_e32 vcc, 0, v[11:12]
	v_not_b32_e32 v0, v12
	v_ashrrev_i32_e32 v0, 31, v0
	v_xor_b32_e32 v12, vcc_hi, v0
	v_xor_b32_e32 v0, vcc_lo, v0
	v_and_b32_e32 v1, v1, v62
	v_and_b32_e32 v0, v61, v0
	;; [unrolled: 1-line block ×3, first 2 shown]
	v_mbcnt_lo_u32_b32 v12, v0, 0
	v_mbcnt_hi_u32_b32 v61, v1, v12
	v_cmp_ne_u64_e32 vcc, 0, v[0:1]
	v_cmp_eq_u32_e64 s[24:25], 0, v61
	s_and_b64 s[36:37], vcc, s[24:25]
	; wave barrier
	s_and_saveexec_b64 s[24:25], s[36:37]
	s_cbranch_execz .LBB74_34
; %bb.33:                               ;   in Loop: Header=BB74_4 Depth=2
	v_bcnt_u32_b32 v0, v0, 0
	v_bcnt_u32_b32 v0, v1, v0
	s_waitcnt lgkmcnt(0)
	v_add_u32_e32 v0, v59, v0
	v_add_u32_e32 v1, v2, v60
	ds_write_b32 v1, v0 offset:16
.LBB74_34:                              ;   in Loop: Header=BB74_4 Depth=2
	s_or_b64 exec, exec, s[24:25]
	v_lshlrev_b32_sdwa v0, s34, v6 dst_sel:DWORD dst_unused:UNUSED_PAD src0_sel:DWORD src1_sel:BYTE_3
	v_lshrrev_b32_e32 v0, 28, v0
	v_mad_u32_u24 v1, v0, 20, v2
	; wave barrier
	ds_read_b32 v62, v1 offset:16
	v_and_b32_e32 v1, 1, v0
	v_add_co_u32_e32 v12, vcc, -1, v1
	v_addc_co_u32_e64 v63, s[24:25], 0, -1, vcc
	v_cmp_ne_u32_e32 vcc, 0, v1
	v_xor_b32_e32 v12, vcc_lo, v12
	v_xor_b32_e32 v1, vcc_hi, v63
	v_and_b32_e32 v63, exec_lo, v12
	v_lshlrev_b32_e32 v12, 30, v0
	v_cmp_gt_i64_e32 vcc, 0, v[11:12]
	v_not_b32_e32 v12, v12
	v_ashrrev_i32_e32 v12, 31, v12
	v_xor_b32_e32 v65, vcc_hi, v12
	v_xor_b32_e32 v12, vcc_lo, v12
	v_and_b32_e32 v63, v63, v12
	v_lshlrev_b32_e32 v12, 29, v0
	v_cmp_gt_i64_e32 vcc, 0, v[11:12]
	v_not_b32_e32 v12, v12
	v_and_b32_e32 v1, exec_hi, v1
	v_ashrrev_i32_e32 v12, 31, v12
	v_and_b32_e32 v1, v1, v65
	v_xor_b32_e32 v65, vcc_hi, v12
	v_xor_b32_e32 v12, vcc_lo, v12
	v_and_b32_e32 v63, v63, v12
	v_lshlrev_b32_e32 v12, 28, v0
	v_mul_u32_u24_e32 v64, 20, v0
	v_cmp_gt_i64_e32 vcc, 0, v[11:12]
	v_not_b32_e32 v0, v12
	v_ashrrev_i32_e32 v0, 31, v0
	v_xor_b32_e32 v12, vcc_hi, v0
	v_xor_b32_e32 v0, vcc_lo, v0
	v_and_b32_e32 v1, v1, v65
	v_and_b32_e32 v0, v63, v0
	v_and_b32_e32 v1, v1, v12
	v_mbcnt_lo_u32_b32 v12, v0, 0
	v_mbcnt_hi_u32_b32 v66, v1, v12
	v_cmp_ne_u64_e32 vcc, 0, v[0:1]
	v_cmp_eq_u32_e64 s[24:25], 0, v66
	s_and_b64 s[36:37], vcc, s[24:25]
	; wave barrier
	s_and_saveexec_b64 s[24:25], s[36:37]
	s_cbranch_execz .LBB74_36
; %bb.35:                               ;   in Loop: Header=BB74_4 Depth=2
	v_bcnt_u32_b32 v0, v0, 0
	v_bcnt_u32_b32 v0, v1, v0
	s_waitcnt lgkmcnt(0)
	v_add_u32_e32 v0, v62, v0
	v_add_u32_e32 v1, v2, v64
	ds_write_b32 v1, v0 offset:16
.LBB74_36:                              ;   in Loop: Header=BB74_4 Depth=2
	s_or_b64 exec, exec, s[24:25]
	v_lshlrev_b32_sdwa v0, s34, v7 dst_sel:DWORD dst_unused:UNUSED_PAD src0_sel:DWORD src1_sel:BYTE_0
	v_lshrrev_b32_e32 v0, 28, v0
	v_mad_u32_u24 v1, v0, 20, v2
	; wave barrier
	ds_read_b32 v63, v1 offset:16
	v_and_b32_e32 v1, 1, v0
	v_add_co_u32_e32 v12, vcc, -1, v1
	v_addc_co_u32_e64 v67, s[24:25], 0, -1, vcc
	v_cmp_ne_u32_e32 vcc, 0, v1
	v_xor_b32_e32 v12, vcc_lo, v12
	v_xor_b32_e32 v1, vcc_hi, v67
	v_and_b32_e32 v67, exec_lo, v12
	v_lshlrev_b32_e32 v12, 30, v0
	v_cmp_gt_i64_e32 vcc, 0, v[11:12]
	v_not_b32_e32 v12, v12
	v_ashrrev_i32_e32 v12, 31, v12
	v_xor_b32_e32 v68, vcc_hi, v12
	v_xor_b32_e32 v12, vcc_lo, v12
	v_and_b32_e32 v67, v67, v12
	v_lshlrev_b32_e32 v12, 29, v0
	v_cmp_gt_i64_e32 vcc, 0, v[11:12]
	v_not_b32_e32 v12, v12
	v_and_b32_e32 v1, exec_hi, v1
	v_ashrrev_i32_e32 v12, 31, v12
	v_and_b32_e32 v1, v1, v68
	v_xor_b32_e32 v68, vcc_hi, v12
	v_xor_b32_e32 v12, vcc_lo, v12
	v_and_b32_e32 v67, v67, v12
	v_lshlrev_b32_e32 v12, 28, v0
	v_mul_u32_u24_e32 v65, 20, v0
	v_cmp_gt_i64_e32 vcc, 0, v[11:12]
	v_not_b32_e32 v0, v12
	v_ashrrev_i32_e32 v0, 31, v0
	v_xor_b32_e32 v12, vcc_hi, v0
	v_xor_b32_e32 v0, vcc_lo, v0
	v_and_b32_e32 v1, v1, v68
	v_and_b32_e32 v0, v67, v0
	;; [unrolled: 1-line block ×3, first 2 shown]
	v_mbcnt_lo_u32_b32 v12, v0, 0
	v_mbcnt_hi_u32_b32 v67, v1, v12
	v_cmp_ne_u64_e32 vcc, 0, v[0:1]
	v_cmp_eq_u32_e64 s[24:25], 0, v67
	s_and_b64 s[36:37], vcc, s[24:25]
	; wave barrier
	s_and_saveexec_b64 s[24:25], s[36:37]
	s_cbranch_execz .LBB74_38
; %bb.37:                               ;   in Loop: Header=BB74_4 Depth=2
	v_bcnt_u32_b32 v0, v0, 0
	v_bcnt_u32_b32 v0, v1, v0
	s_waitcnt lgkmcnt(0)
	v_add_u32_e32 v0, v63, v0
	v_add_u32_e32 v1, v2, v65
	ds_write_b32 v1, v0 offset:16
.LBB74_38:                              ;   in Loop: Header=BB74_4 Depth=2
	s_or_b64 exec, exec, s[24:25]
	v_lshlrev_b32_sdwa v0, s34, v7 dst_sel:DWORD dst_unused:UNUSED_PAD src0_sel:DWORD src1_sel:BYTE_1
	v_lshrrev_b32_e32 v0, 28, v0
	v_mad_u32_u24 v1, v0, 20, v2
	; wave barrier
	ds_read_b32 v68, v1 offset:16
	v_and_b32_e32 v1, 1, v0
	v_add_co_u32_e32 v12, vcc, -1, v1
	v_addc_co_u32_e64 v70, s[24:25], 0, -1, vcc
	v_cmp_ne_u32_e32 vcc, 0, v1
	v_xor_b32_e32 v12, vcc_lo, v12
	v_xor_b32_e32 v1, vcc_hi, v70
	v_and_b32_e32 v70, exec_lo, v12
	v_lshlrev_b32_e32 v12, 30, v0
	v_cmp_gt_i64_e32 vcc, 0, v[11:12]
	v_not_b32_e32 v12, v12
	v_ashrrev_i32_e32 v12, 31, v12
	v_xor_b32_e32 v71, vcc_hi, v12
	v_xor_b32_e32 v12, vcc_lo, v12
	v_and_b32_e32 v70, v70, v12
	v_lshlrev_b32_e32 v12, 29, v0
	v_cmp_gt_i64_e32 vcc, 0, v[11:12]
	v_not_b32_e32 v12, v12
	v_and_b32_e32 v1, exec_hi, v1
	v_ashrrev_i32_e32 v12, 31, v12
	v_and_b32_e32 v1, v1, v71
	v_xor_b32_e32 v71, vcc_hi, v12
	v_xor_b32_e32 v12, vcc_lo, v12
	v_and_b32_e32 v70, v70, v12
	v_lshlrev_b32_e32 v12, 28, v0
	v_mul_u32_u24_e32 v69, 20, v0
	v_cmp_gt_i64_e32 vcc, 0, v[11:12]
	v_not_b32_e32 v0, v12
	v_ashrrev_i32_e32 v0, 31, v0
	v_xor_b32_e32 v12, vcc_hi, v0
	v_xor_b32_e32 v0, vcc_lo, v0
	v_and_b32_e32 v1, v1, v71
	v_and_b32_e32 v0, v70, v0
	;; [unrolled: 1-line block ×3, first 2 shown]
	v_mbcnt_lo_u32_b32 v12, v0, 0
	v_mbcnt_hi_u32_b32 v70, v1, v12
	v_cmp_ne_u64_e32 vcc, 0, v[0:1]
	v_cmp_eq_u32_e64 s[24:25], 0, v70
	s_and_b64 s[36:37], vcc, s[24:25]
	; wave barrier
	s_and_saveexec_b64 s[24:25], s[36:37]
	s_cbranch_execz .LBB74_40
; %bb.39:                               ;   in Loop: Header=BB74_4 Depth=2
	v_bcnt_u32_b32 v0, v0, 0
	v_bcnt_u32_b32 v0, v1, v0
	s_waitcnt lgkmcnt(0)
	v_add_u32_e32 v0, v68, v0
	v_add_u32_e32 v1, v2, v69
	ds_write_b32 v1, v0 offset:16
.LBB74_40:                              ;   in Loop: Header=BB74_4 Depth=2
	s_or_b64 exec, exec, s[24:25]
	v_lshlrev_b32_sdwa v0, s34, v7 dst_sel:DWORD dst_unused:UNUSED_PAD src0_sel:DWORD src1_sel:BYTE_2
	v_lshrrev_b32_e32 v0, 28, v0
	v_mad_u32_u24 v1, v0, 20, v2
	; wave barrier
	ds_read_b32 v71, v1 offset:16
	v_and_b32_e32 v1, 1, v0
	v_add_co_u32_e32 v12, vcc, -1, v1
	v_addc_co_u32_e64 v73, s[24:25], 0, -1, vcc
	v_cmp_ne_u32_e32 vcc, 0, v1
	v_xor_b32_e32 v12, vcc_lo, v12
	v_xor_b32_e32 v1, vcc_hi, v73
	v_and_b32_e32 v73, exec_lo, v12
	v_lshlrev_b32_e32 v12, 30, v0
	v_cmp_gt_i64_e32 vcc, 0, v[11:12]
	v_not_b32_e32 v12, v12
	v_ashrrev_i32_e32 v12, 31, v12
	v_xor_b32_e32 v74, vcc_hi, v12
	v_xor_b32_e32 v12, vcc_lo, v12
	v_and_b32_e32 v73, v73, v12
	v_lshlrev_b32_e32 v12, 29, v0
	v_cmp_gt_i64_e32 vcc, 0, v[11:12]
	v_not_b32_e32 v12, v12
	v_and_b32_e32 v1, exec_hi, v1
	v_ashrrev_i32_e32 v12, 31, v12
	v_and_b32_e32 v1, v1, v74
	v_xor_b32_e32 v74, vcc_hi, v12
	v_xor_b32_e32 v12, vcc_lo, v12
	v_and_b32_e32 v73, v73, v12
	v_lshlrev_b32_e32 v12, 28, v0
	v_mul_u32_u24_e32 v72, 20, v0
	v_cmp_gt_i64_e32 vcc, 0, v[11:12]
	v_not_b32_e32 v0, v12
	v_ashrrev_i32_e32 v0, 31, v0
	v_xor_b32_e32 v12, vcc_hi, v0
	v_xor_b32_e32 v0, vcc_lo, v0
	v_and_b32_e32 v1, v1, v74
	v_and_b32_e32 v0, v73, v0
	;; [unrolled: 1-line block ×3, first 2 shown]
	v_mbcnt_lo_u32_b32 v12, v0, 0
	v_mbcnt_hi_u32_b32 v73, v1, v12
	v_cmp_ne_u64_e32 vcc, 0, v[0:1]
	v_cmp_eq_u32_e64 s[24:25], 0, v73
	s_and_b64 s[36:37], vcc, s[24:25]
	; wave barrier
	s_and_saveexec_b64 s[24:25], s[36:37]
	s_cbranch_execz .LBB74_42
; %bb.41:                               ;   in Loop: Header=BB74_4 Depth=2
	v_bcnt_u32_b32 v0, v0, 0
	v_bcnt_u32_b32 v0, v1, v0
	s_waitcnt lgkmcnt(0)
	v_add_u32_e32 v0, v71, v0
	v_add_u32_e32 v1, v2, v72
	ds_write_b32 v1, v0 offset:16
.LBB74_42:                              ;   in Loop: Header=BB74_4 Depth=2
	s_or_b64 exec, exec, s[24:25]
	v_lshlrev_b32_sdwa v0, s34, v7 dst_sel:DWORD dst_unused:UNUSED_PAD src0_sel:DWORD src1_sel:BYTE_3
	v_lshrrev_b32_e32 v0, 28, v0
	v_mad_u32_u24 v1, v0, 20, v2
	; wave barrier
	ds_read_b32 v74, v1 offset:16
	v_and_b32_e32 v1, 1, v0
	v_add_co_u32_e32 v12, vcc, -1, v1
	v_addc_co_u32_e64 v76, s[24:25], 0, -1, vcc
	v_cmp_ne_u32_e32 vcc, 0, v1
	v_xor_b32_e32 v12, vcc_lo, v12
	v_xor_b32_e32 v1, vcc_hi, v76
	v_and_b32_e32 v76, exec_lo, v12
	v_lshlrev_b32_e32 v12, 30, v0
	v_cmp_gt_i64_e32 vcc, 0, v[11:12]
	v_not_b32_e32 v12, v12
	v_ashrrev_i32_e32 v12, 31, v12
	v_xor_b32_e32 v77, vcc_hi, v12
	v_xor_b32_e32 v12, vcc_lo, v12
	v_and_b32_e32 v76, v76, v12
	v_lshlrev_b32_e32 v12, 29, v0
	v_cmp_gt_i64_e32 vcc, 0, v[11:12]
	v_not_b32_e32 v12, v12
	v_and_b32_e32 v1, exec_hi, v1
	v_ashrrev_i32_e32 v12, 31, v12
	v_and_b32_e32 v1, v1, v77
	v_xor_b32_e32 v77, vcc_hi, v12
	v_xor_b32_e32 v12, vcc_lo, v12
	v_and_b32_e32 v76, v76, v12
	v_lshlrev_b32_e32 v12, 28, v0
	v_mul_u32_u24_e32 v75, 20, v0
	v_cmp_gt_i64_e32 vcc, 0, v[11:12]
	v_not_b32_e32 v0, v12
	v_ashrrev_i32_e32 v0, 31, v0
	v_xor_b32_e32 v12, vcc_hi, v0
	v_xor_b32_e32 v0, vcc_lo, v0
	v_and_b32_e32 v1, v1, v77
	v_and_b32_e32 v0, v76, v0
	;; [unrolled: 1-line block ×3, first 2 shown]
	v_mbcnt_lo_u32_b32 v12, v0, 0
	v_mbcnt_hi_u32_b32 v76, v1, v12
	v_cmp_ne_u64_e32 vcc, 0, v[0:1]
	v_cmp_eq_u32_e64 s[24:25], 0, v76
	s_and_b64 s[36:37], vcc, s[24:25]
	; wave barrier
	s_and_saveexec_b64 s[24:25], s[36:37]
	s_cbranch_execz .LBB74_44
; %bb.43:                               ;   in Loop: Header=BB74_4 Depth=2
	v_bcnt_u32_b32 v0, v0, 0
	v_bcnt_u32_b32 v0, v1, v0
	s_waitcnt lgkmcnt(0)
	v_add_u32_e32 v0, v74, v0
	v_add_u32_e32 v1, v2, v75
	ds_write_b32 v1, v0 offset:16
.LBB74_44:                              ;   in Loop: Header=BB74_4 Depth=2
	s_or_b64 exec, exec, s[24:25]
	v_lshlrev_b32_sdwa v0, s34, v8 dst_sel:DWORD dst_unused:UNUSED_PAD src0_sel:DWORD src1_sel:BYTE_0
	v_lshrrev_b32_e32 v0, 28, v0
	v_mad_u32_u24 v1, v0, 20, v2
	; wave barrier
	ds_read_b32 v77, v1 offset:16
	v_and_b32_e32 v1, 1, v0
	v_add_co_u32_e32 v12, vcc, -1, v1
	v_addc_co_u32_e64 v79, s[24:25], 0, -1, vcc
	v_cmp_ne_u32_e32 vcc, 0, v1
	v_xor_b32_e32 v12, vcc_lo, v12
	v_xor_b32_e32 v1, vcc_hi, v79
	v_and_b32_e32 v79, exec_lo, v12
	v_lshlrev_b32_e32 v12, 30, v0
	v_cmp_gt_i64_e32 vcc, 0, v[11:12]
	v_not_b32_e32 v12, v12
	v_ashrrev_i32_e32 v12, 31, v12
	v_xor_b32_e32 v80, vcc_hi, v12
	v_xor_b32_e32 v12, vcc_lo, v12
	v_and_b32_e32 v79, v79, v12
	v_lshlrev_b32_e32 v12, 29, v0
	v_cmp_gt_i64_e32 vcc, 0, v[11:12]
	v_not_b32_e32 v12, v12
	v_and_b32_e32 v1, exec_hi, v1
	v_ashrrev_i32_e32 v12, 31, v12
	v_and_b32_e32 v1, v1, v80
	v_xor_b32_e32 v80, vcc_hi, v12
	v_xor_b32_e32 v12, vcc_lo, v12
	v_and_b32_e32 v79, v79, v12
	v_lshlrev_b32_e32 v12, 28, v0
	v_mul_u32_u24_e32 v78, 20, v0
	v_cmp_gt_i64_e32 vcc, 0, v[11:12]
	v_not_b32_e32 v0, v12
	v_ashrrev_i32_e32 v0, 31, v0
	v_xor_b32_e32 v12, vcc_hi, v0
	v_xor_b32_e32 v0, vcc_lo, v0
	v_and_b32_e32 v1, v1, v80
	v_and_b32_e32 v0, v79, v0
	;; [unrolled: 1-line block ×3, first 2 shown]
	v_mbcnt_lo_u32_b32 v12, v0, 0
	v_mbcnt_hi_u32_b32 v79, v1, v12
	v_cmp_ne_u64_e32 vcc, 0, v[0:1]
	v_cmp_eq_u32_e64 s[24:25], 0, v79
	s_and_b64 s[36:37], vcc, s[24:25]
	; wave barrier
	s_and_saveexec_b64 s[24:25], s[36:37]
	s_cbranch_execz .LBB74_46
; %bb.45:                               ;   in Loop: Header=BB74_4 Depth=2
	v_bcnt_u32_b32 v0, v0, 0
	v_bcnt_u32_b32 v0, v1, v0
	s_waitcnt lgkmcnt(0)
	v_add_u32_e32 v0, v77, v0
	v_add_u32_e32 v1, v2, v78
	ds_write_b32 v1, v0 offset:16
.LBB74_46:                              ;   in Loop: Header=BB74_4 Depth=2
	s_or_b64 exec, exec, s[24:25]
	v_lshlrev_b32_sdwa v0, s34, v8 dst_sel:DWORD dst_unused:UNUSED_PAD src0_sel:DWORD src1_sel:BYTE_1
	v_lshrrev_b32_e32 v0, 28, v0
	v_mad_u32_u24 v1, v0, 20, v2
	; wave barrier
	ds_read_b32 v80, v1 offset:16
	v_and_b32_e32 v1, 1, v0
	v_add_co_u32_e32 v12, vcc, -1, v1
	v_addc_co_u32_e64 v82, s[24:25], 0, -1, vcc
	v_cmp_ne_u32_e32 vcc, 0, v1
	v_xor_b32_e32 v12, vcc_lo, v12
	v_xor_b32_e32 v1, vcc_hi, v82
	v_and_b32_e32 v82, exec_lo, v12
	v_lshlrev_b32_e32 v12, 30, v0
	v_cmp_gt_i64_e32 vcc, 0, v[11:12]
	v_not_b32_e32 v12, v12
	v_ashrrev_i32_e32 v12, 31, v12
	v_xor_b32_e32 v83, vcc_hi, v12
	v_xor_b32_e32 v12, vcc_lo, v12
	v_and_b32_e32 v82, v82, v12
	v_lshlrev_b32_e32 v12, 29, v0
	v_cmp_gt_i64_e32 vcc, 0, v[11:12]
	v_not_b32_e32 v12, v12
	v_and_b32_e32 v1, exec_hi, v1
	v_ashrrev_i32_e32 v12, 31, v12
	v_and_b32_e32 v1, v1, v83
	v_xor_b32_e32 v83, vcc_hi, v12
	v_xor_b32_e32 v12, vcc_lo, v12
	v_and_b32_e32 v82, v82, v12
	v_lshlrev_b32_e32 v12, 28, v0
	v_mul_u32_u24_e32 v81, 20, v0
	v_cmp_gt_i64_e32 vcc, 0, v[11:12]
	v_not_b32_e32 v0, v12
	v_ashrrev_i32_e32 v0, 31, v0
	v_xor_b32_e32 v12, vcc_hi, v0
	v_xor_b32_e32 v0, vcc_lo, v0
	v_and_b32_e32 v1, v1, v83
	v_and_b32_e32 v0, v82, v0
	;; [unrolled: 1-line block ×3, first 2 shown]
	v_mbcnt_lo_u32_b32 v12, v0, 0
	v_mbcnt_hi_u32_b32 v82, v1, v12
	v_cmp_ne_u64_e32 vcc, 0, v[0:1]
	v_cmp_eq_u32_e64 s[24:25], 0, v82
	s_and_b64 s[36:37], vcc, s[24:25]
	; wave barrier
	s_and_saveexec_b64 s[24:25], s[36:37]
	s_cbranch_execz .LBB74_48
; %bb.47:                               ;   in Loop: Header=BB74_4 Depth=2
	v_bcnt_u32_b32 v0, v0, 0
	v_bcnt_u32_b32 v0, v1, v0
	s_waitcnt lgkmcnt(0)
	v_add_u32_e32 v0, v80, v0
	v_add_u32_e32 v1, v2, v81
	ds_write_b32 v1, v0 offset:16
.LBB74_48:                              ;   in Loop: Header=BB74_4 Depth=2
	s_or_b64 exec, exec, s[24:25]
	v_lshlrev_b32_sdwa v0, s34, v8 dst_sel:DWORD dst_unused:UNUSED_PAD src0_sel:DWORD src1_sel:BYTE_2
	v_lshrrev_b32_e32 v0, 28, v0
	v_mad_u32_u24 v1, v0, 20, v2
	; wave barrier
	ds_read_b32 v83, v1 offset:16
	v_and_b32_e32 v1, 1, v0
	v_add_co_u32_e32 v12, vcc, -1, v1
	v_addc_co_u32_e64 v85, s[24:25], 0, -1, vcc
	v_cmp_ne_u32_e32 vcc, 0, v1
	v_xor_b32_e32 v12, vcc_lo, v12
	v_xor_b32_e32 v1, vcc_hi, v85
	v_and_b32_e32 v85, exec_lo, v12
	v_lshlrev_b32_e32 v12, 30, v0
	v_cmp_gt_i64_e32 vcc, 0, v[11:12]
	v_not_b32_e32 v12, v12
	v_ashrrev_i32_e32 v12, 31, v12
	v_xor_b32_e32 v86, vcc_hi, v12
	v_xor_b32_e32 v12, vcc_lo, v12
	v_and_b32_e32 v85, v85, v12
	v_lshlrev_b32_e32 v12, 29, v0
	v_cmp_gt_i64_e32 vcc, 0, v[11:12]
	v_not_b32_e32 v12, v12
	v_and_b32_e32 v1, exec_hi, v1
	v_ashrrev_i32_e32 v12, 31, v12
	v_and_b32_e32 v1, v1, v86
	v_xor_b32_e32 v86, vcc_hi, v12
	v_xor_b32_e32 v12, vcc_lo, v12
	v_and_b32_e32 v85, v85, v12
	v_lshlrev_b32_e32 v12, 28, v0
	v_mul_u32_u24_e32 v84, 20, v0
	v_cmp_gt_i64_e32 vcc, 0, v[11:12]
	v_not_b32_e32 v0, v12
	v_ashrrev_i32_e32 v0, 31, v0
	v_xor_b32_e32 v12, vcc_hi, v0
	v_xor_b32_e32 v0, vcc_lo, v0
	v_and_b32_e32 v1, v1, v86
	v_and_b32_e32 v0, v85, v0
	;; [unrolled: 1-line block ×3, first 2 shown]
	v_mbcnt_lo_u32_b32 v12, v0, 0
	v_mbcnt_hi_u32_b32 v85, v1, v12
	v_cmp_ne_u64_e32 vcc, 0, v[0:1]
	v_cmp_eq_u32_e64 s[24:25], 0, v85
	s_and_b64 s[36:37], vcc, s[24:25]
	; wave barrier
	s_and_saveexec_b64 s[24:25], s[36:37]
	s_cbranch_execz .LBB74_50
; %bb.49:                               ;   in Loop: Header=BB74_4 Depth=2
	v_bcnt_u32_b32 v0, v0, 0
	v_bcnt_u32_b32 v0, v1, v0
	s_waitcnt lgkmcnt(0)
	v_add_u32_e32 v0, v83, v0
	v_add_u32_e32 v1, v2, v84
	ds_write_b32 v1, v0 offset:16
.LBB74_50:                              ;   in Loop: Header=BB74_4 Depth=2
	s_or_b64 exec, exec, s[24:25]
	v_lshlrev_b32_sdwa v0, s34, v8 dst_sel:DWORD dst_unused:UNUSED_PAD src0_sel:DWORD src1_sel:BYTE_3
	v_lshrrev_b32_e32 v0, 28, v0
	v_mad_u32_u24 v1, v0, 20, v2
	; wave barrier
	ds_read_b32 v86, v1 offset:16
	v_and_b32_e32 v1, 1, v0
	v_add_co_u32_e32 v12, vcc, -1, v1
	v_addc_co_u32_e64 v88, s[24:25], 0, -1, vcc
	v_cmp_ne_u32_e32 vcc, 0, v1
	v_xor_b32_e32 v12, vcc_lo, v12
	v_xor_b32_e32 v1, vcc_hi, v88
	v_and_b32_e32 v88, exec_lo, v12
	v_lshlrev_b32_e32 v12, 30, v0
	v_cmp_gt_i64_e32 vcc, 0, v[11:12]
	v_not_b32_e32 v12, v12
	v_ashrrev_i32_e32 v12, 31, v12
	v_xor_b32_e32 v89, vcc_hi, v12
	v_xor_b32_e32 v12, vcc_lo, v12
	v_and_b32_e32 v88, v88, v12
	v_lshlrev_b32_e32 v12, 29, v0
	v_cmp_gt_i64_e32 vcc, 0, v[11:12]
	v_not_b32_e32 v12, v12
	v_and_b32_e32 v1, exec_hi, v1
	v_ashrrev_i32_e32 v12, 31, v12
	v_and_b32_e32 v1, v1, v89
	v_xor_b32_e32 v89, vcc_hi, v12
	v_xor_b32_e32 v12, vcc_lo, v12
	v_and_b32_e32 v88, v88, v12
	v_lshlrev_b32_e32 v12, 28, v0
	v_mul_u32_u24_e32 v87, 20, v0
	v_cmp_gt_i64_e32 vcc, 0, v[11:12]
	v_not_b32_e32 v0, v12
	v_ashrrev_i32_e32 v0, 31, v0
	v_xor_b32_e32 v12, vcc_hi, v0
	v_xor_b32_e32 v0, vcc_lo, v0
	v_and_b32_e32 v1, v1, v89
	v_and_b32_e32 v0, v88, v0
	v_and_b32_e32 v1, v1, v12
	v_mbcnt_lo_u32_b32 v12, v0, 0
	v_mbcnt_hi_u32_b32 v88, v1, v12
	v_cmp_ne_u64_e32 vcc, 0, v[0:1]
	v_cmp_eq_u32_e64 s[24:25], 0, v88
	s_and_b64 s[36:37], vcc, s[24:25]
	; wave barrier
	s_and_saveexec_b64 s[24:25], s[36:37]
	s_cbranch_execz .LBB74_52
; %bb.51:                               ;   in Loop: Header=BB74_4 Depth=2
	v_bcnt_u32_b32 v0, v0, 0
	v_bcnt_u32_b32 v0, v1, v0
	s_waitcnt lgkmcnt(0)
	v_add_u32_e32 v0, v86, v0
	v_add_u32_e32 v1, v2, v87
	ds_write_b32 v1, v0 offset:16
.LBB74_52:                              ;   in Loop: Header=BB74_4 Depth=2
	s_or_b64 exec, exec, s[24:25]
	v_lshlrev_b32_sdwa v0, s34, v9 dst_sel:DWORD dst_unused:UNUSED_PAD src0_sel:DWORD src1_sel:BYTE_0
	v_lshrrev_b32_e32 v0, 28, v0
	v_mad_u32_u24 v1, v0, 20, v2
	; wave barrier
	ds_read_b32 v89, v1 offset:16
	v_and_b32_e32 v1, 1, v0
	v_add_co_u32_e32 v12, vcc, -1, v1
	v_addc_co_u32_e64 v91, s[24:25], 0, -1, vcc
	v_cmp_ne_u32_e32 vcc, 0, v1
	v_xor_b32_e32 v12, vcc_lo, v12
	v_xor_b32_e32 v1, vcc_hi, v91
	v_and_b32_e32 v91, exec_lo, v12
	v_lshlrev_b32_e32 v12, 30, v0
	v_cmp_gt_i64_e32 vcc, 0, v[11:12]
	v_not_b32_e32 v12, v12
	v_ashrrev_i32_e32 v12, 31, v12
	v_xor_b32_e32 v92, vcc_hi, v12
	v_xor_b32_e32 v12, vcc_lo, v12
	v_and_b32_e32 v91, v91, v12
	v_lshlrev_b32_e32 v12, 29, v0
	v_cmp_gt_i64_e32 vcc, 0, v[11:12]
	v_not_b32_e32 v12, v12
	v_and_b32_e32 v1, exec_hi, v1
	v_ashrrev_i32_e32 v12, 31, v12
	v_and_b32_e32 v1, v1, v92
	v_xor_b32_e32 v92, vcc_hi, v12
	v_xor_b32_e32 v12, vcc_lo, v12
	v_and_b32_e32 v91, v91, v12
	v_lshlrev_b32_e32 v12, 28, v0
	v_mul_u32_u24_e32 v90, 20, v0
	v_cmp_gt_i64_e32 vcc, 0, v[11:12]
	v_not_b32_e32 v0, v12
	v_ashrrev_i32_e32 v0, 31, v0
	v_xor_b32_e32 v12, vcc_hi, v0
	v_xor_b32_e32 v0, vcc_lo, v0
	v_and_b32_e32 v1, v1, v92
	v_and_b32_e32 v0, v91, v0
	;; [unrolled: 1-line block ×3, first 2 shown]
	v_mbcnt_lo_u32_b32 v12, v0, 0
	v_mbcnt_hi_u32_b32 v91, v1, v12
	v_cmp_ne_u64_e32 vcc, 0, v[0:1]
	v_cmp_eq_u32_e64 s[24:25], 0, v91
	s_and_b64 s[36:37], vcc, s[24:25]
	; wave barrier
	s_and_saveexec_b64 s[24:25], s[36:37]
	s_cbranch_execz .LBB74_54
; %bb.53:                               ;   in Loop: Header=BB74_4 Depth=2
	v_bcnt_u32_b32 v0, v0, 0
	v_bcnt_u32_b32 v0, v1, v0
	s_waitcnt lgkmcnt(0)
	v_add_u32_e32 v0, v89, v0
	v_add_u32_e32 v1, v2, v90
	ds_write_b32 v1, v0 offset:16
.LBB74_54:                              ;   in Loop: Header=BB74_4 Depth=2
	s_or_b64 exec, exec, s[24:25]
	v_lshlrev_b32_sdwa v0, s34, v9 dst_sel:DWORD dst_unused:UNUSED_PAD src0_sel:DWORD src1_sel:BYTE_1
	v_lshrrev_b32_e32 v0, 28, v0
	v_mad_u32_u24 v1, v0, 20, v2
	; wave barrier
	ds_read_b32 v92, v1 offset:16
	v_and_b32_e32 v1, 1, v0
	v_add_co_u32_e32 v12, vcc, -1, v1
	v_addc_co_u32_e64 v94, s[24:25], 0, -1, vcc
	v_cmp_ne_u32_e32 vcc, 0, v1
	v_xor_b32_e32 v12, vcc_lo, v12
	v_xor_b32_e32 v1, vcc_hi, v94
	v_and_b32_e32 v94, exec_lo, v12
	v_lshlrev_b32_e32 v12, 30, v0
	v_cmp_gt_i64_e32 vcc, 0, v[11:12]
	v_not_b32_e32 v12, v12
	v_ashrrev_i32_e32 v12, 31, v12
	v_xor_b32_e32 v95, vcc_hi, v12
	v_xor_b32_e32 v12, vcc_lo, v12
	v_and_b32_e32 v94, v94, v12
	v_lshlrev_b32_e32 v12, 29, v0
	v_cmp_gt_i64_e32 vcc, 0, v[11:12]
	v_not_b32_e32 v12, v12
	v_and_b32_e32 v1, exec_hi, v1
	v_ashrrev_i32_e32 v12, 31, v12
	v_and_b32_e32 v1, v1, v95
	v_xor_b32_e32 v95, vcc_hi, v12
	v_xor_b32_e32 v12, vcc_lo, v12
	v_and_b32_e32 v94, v94, v12
	v_lshlrev_b32_e32 v12, 28, v0
	v_mul_u32_u24_e32 v93, 20, v0
	v_cmp_gt_i64_e32 vcc, 0, v[11:12]
	v_not_b32_e32 v0, v12
	v_ashrrev_i32_e32 v0, 31, v0
	v_xor_b32_e32 v12, vcc_hi, v0
	v_xor_b32_e32 v0, vcc_lo, v0
	v_and_b32_e32 v1, v1, v95
	v_and_b32_e32 v0, v94, v0
	v_and_b32_e32 v1, v1, v12
	v_mbcnt_lo_u32_b32 v12, v0, 0
	v_mbcnt_hi_u32_b32 v94, v1, v12
	v_cmp_ne_u64_e32 vcc, 0, v[0:1]
	v_cmp_eq_u32_e64 s[24:25], 0, v94
	s_and_b64 s[36:37], vcc, s[24:25]
	; wave barrier
	s_and_saveexec_b64 s[24:25], s[36:37]
	s_cbranch_execz .LBB74_56
; %bb.55:                               ;   in Loop: Header=BB74_4 Depth=2
	v_bcnt_u32_b32 v0, v0, 0
	v_bcnt_u32_b32 v0, v1, v0
	s_waitcnt lgkmcnt(0)
	v_add_u32_e32 v0, v92, v0
	v_add_u32_e32 v1, v2, v93
	ds_write_b32 v1, v0 offset:16
.LBB74_56:                              ;   in Loop: Header=BB74_4 Depth=2
	s_or_b64 exec, exec, s[24:25]
	v_lshlrev_b32_sdwa v0, s34, v9 dst_sel:DWORD dst_unused:UNUSED_PAD src0_sel:DWORD src1_sel:BYTE_2
	v_lshrrev_b32_e32 v0, 28, v0
	v_mad_u32_u24 v1, v0, 20, v2
	; wave barrier
	ds_read_b32 v95, v1 offset:16
	v_and_b32_e32 v1, 1, v0
	v_add_co_u32_e32 v12, vcc, -1, v1
	v_addc_co_u32_e64 v97, s[24:25], 0, -1, vcc
	v_cmp_ne_u32_e32 vcc, 0, v1
	v_xor_b32_e32 v12, vcc_lo, v12
	v_xor_b32_e32 v1, vcc_hi, v97
	v_and_b32_e32 v97, exec_lo, v12
	v_lshlrev_b32_e32 v12, 30, v0
	v_cmp_gt_i64_e32 vcc, 0, v[11:12]
	v_not_b32_e32 v12, v12
	v_ashrrev_i32_e32 v12, 31, v12
	v_xor_b32_e32 v98, vcc_hi, v12
	v_xor_b32_e32 v12, vcc_lo, v12
	v_and_b32_e32 v97, v97, v12
	v_lshlrev_b32_e32 v12, 29, v0
	v_cmp_gt_i64_e32 vcc, 0, v[11:12]
	v_not_b32_e32 v12, v12
	v_and_b32_e32 v1, exec_hi, v1
	v_ashrrev_i32_e32 v12, 31, v12
	v_and_b32_e32 v1, v1, v98
	v_xor_b32_e32 v98, vcc_hi, v12
	v_xor_b32_e32 v12, vcc_lo, v12
	v_and_b32_e32 v97, v97, v12
	v_lshlrev_b32_e32 v12, 28, v0
	v_mul_u32_u24_e32 v96, 20, v0
	v_cmp_gt_i64_e32 vcc, 0, v[11:12]
	v_not_b32_e32 v0, v12
	v_ashrrev_i32_e32 v0, 31, v0
	v_xor_b32_e32 v12, vcc_hi, v0
	v_xor_b32_e32 v0, vcc_lo, v0
	v_and_b32_e32 v1, v1, v98
	v_and_b32_e32 v0, v97, v0
	v_and_b32_e32 v1, v1, v12
	v_mbcnt_lo_u32_b32 v12, v0, 0
	v_mbcnt_hi_u32_b32 v97, v1, v12
	v_cmp_ne_u64_e32 vcc, 0, v[0:1]
	v_cmp_eq_u32_e64 s[24:25], 0, v97
	s_and_b64 s[36:37], vcc, s[24:25]
	; wave barrier
	s_and_saveexec_b64 s[24:25], s[36:37]
	s_cbranch_execz .LBB74_58
; %bb.57:                               ;   in Loop: Header=BB74_4 Depth=2
	v_bcnt_u32_b32 v0, v0, 0
	v_bcnt_u32_b32 v0, v1, v0
	s_waitcnt lgkmcnt(0)
	v_add_u32_e32 v0, v95, v0
	v_add_u32_e32 v1, v2, v96
	ds_write_b32 v1, v0 offset:16
.LBB74_58:                              ;   in Loop: Header=BB74_4 Depth=2
	s_or_b64 exec, exec, s[24:25]
	v_lshlrev_b32_sdwa v0, s34, v9 dst_sel:DWORD dst_unused:UNUSED_PAD src0_sel:DWORD src1_sel:BYTE_3
	v_lshrrev_b32_e32 v0, 28, v0
	v_mad_u32_u24 v1, v0, 20, v2
	; wave barrier
	ds_read_b32 v98, v1 offset:16
	v_and_b32_e32 v1, 1, v0
	v_add_co_u32_e32 v12, vcc, -1, v1
	v_addc_co_u32_e64 v100, s[24:25], 0, -1, vcc
	v_cmp_ne_u32_e32 vcc, 0, v1
	v_xor_b32_e32 v12, vcc_lo, v12
	v_xor_b32_e32 v1, vcc_hi, v100
	v_and_b32_e32 v100, exec_lo, v12
	v_lshlrev_b32_e32 v12, 30, v0
	v_cmp_gt_i64_e32 vcc, 0, v[11:12]
	v_not_b32_e32 v12, v12
	v_ashrrev_i32_e32 v12, 31, v12
	v_xor_b32_e32 v101, vcc_hi, v12
	v_xor_b32_e32 v12, vcc_lo, v12
	v_and_b32_e32 v100, v100, v12
	v_lshlrev_b32_e32 v12, 29, v0
	v_cmp_gt_i64_e32 vcc, 0, v[11:12]
	v_not_b32_e32 v12, v12
	v_and_b32_e32 v1, exec_hi, v1
	v_ashrrev_i32_e32 v12, 31, v12
	v_and_b32_e32 v1, v1, v101
	v_xor_b32_e32 v101, vcc_hi, v12
	v_xor_b32_e32 v12, vcc_lo, v12
	v_and_b32_e32 v100, v100, v12
	v_lshlrev_b32_e32 v12, 28, v0
	v_mul_u32_u24_e32 v99, 20, v0
	v_cmp_gt_i64_e32 vcc, 0, v[11:12]
	v_not_b32_e32 v0, v12
	v_ashrrev_i32_e32 v0, 31, v0
	v_xor_b32_e32 v12, vcc_hi, v0
	v_xor_b32_e32 v0, vcc_lo, v0
	v_and_b32_e32 v1, v1, v101
	v_and_b32_e32 v0, v100, v0
	;; [unrolled: 1-line block ×3, first 2 shown]
	v_mbcnt_lo_u32_b32 v12, v0, 0
	v_mbcnt_hi_u32_b32 v100, v1, v12
	v_cmp_ne_u64_e32 vcc, 0, v[0:1]
	v_cmp_eq_u32_e64 s[24:25], 0, v100
	s_and_b64 s[36:37], vcc, s[24:25]
	; wave barrier
	s_and_saveexec_b64 s[24:25], s[36:37]
	s_cbranch_execz .LBB74_60
; %bb.59:                               ;   in Loop: Header=BB74_4 Depth=2
	v_bcnt_u32_b32 v0, v0, 0
	v_bcnt_u32_b32 v0, v1, v0
	s_waitcnt lgkmcnt(0)
	v_add_u32_e32 v0, v98, v0
	v_add_u32_e32 v1, v2, v99
	ds_write_b32 v1, v0 offset:16
.LBB74_60:                              ;   in Loop: Header=BB74_4 Depth=2
	s_or_b64 exec, exec, s[24:25]
	v_lshlrev_b32_sdwa v0, s34, v10 dst_sel:DWORD dst_unused:UNUSED_PAD src0_sel:DWORD src1_sel:BYTE_0
	v_lshrrev_b32_e32 v0, 28, v0
	v_mad_u32_u24 v1, v0, 20, v2
	; wave barrier
	ds_read_b32 v101, v1 offset:16
	v_and_b32_e32 v1, 1, v0
	v_add_co_u32_e32 v12, vcc, -1, v1
	v_addc_co_u32_e64 v103, s[24:25], 0, -1, vcc
	v_cmp_ne_u32_e32 vcc, 0, v1
	v_xor_b32_e32 v12, vcc_lo, v12
	v_xor_b32_e32 v1, vcc_hi, v103
	v_and_b32_e32 v103, exec_lo, v12
	v_lshlrev_b32_e32 v12, 30, v0
	v_cmp_gt_i64_e32 vcc, 0, v[11:12]
	v_not_b32_e32 v12, v12
	v_ashrrev_i32_e32 v12, 31, v12
	v_xor_b32_e32 v104, vcc_hi, v12
	v_xor_b32_e32 v12, vcc_lo, v12
	v_and_b32_e32 v103, v103, v12
	v_lshlrev_b32_e32 v12, 29, v0
	v_cmp_gt_i64_e32 vcc, 0, v[11:12]
	v_not_b32_e32 v12, v12
	v_and_b32_e32 v1, exec_hi, v1
	v_ashrrev_i32_e32 v12, 31, v12
	v_and_b32_e32 v1, v1, v104
	v_xor_b32_e32 v104, vcc_hi, v12
	v_xor_b32_e32 v12, vcc_lo, v12
	v_and_b32_e32 v103, v103, v12
	v_lshlrev_b32_e32 v12, 28, v0
	v_mul_u32_u24_e32 v102, 20, v0
	v_cmp_gt_i64_e32 vcc, 0, v[11:12]
	v_not_b32_e32 v0, v12
	v_ashrrev_i32_e32 v0, 31, v0
	v_xor_b32_e32 v12, vcc_hi, v0
	v_xor_b32_e32 v0, vcc_lo, v0
	v_and_b32_e32 v1, v1, v104
	v_and_b32_e32 v0, v103, v0
	v_and_b32_e32 v1, v1, v12
	v_mbcnt_lo_u32_b32 v12, v0, 0
	v_mbcnt_hi_u32_b32 v103, v1, v12
	v_cmp_ne_u64_e32 vcc, 0, v[0:1]
	v_cmp_eq_u32_e64 s[24:25], 0, v103
	s_and_b64 s[36:37], vcc, s[24:25]
	; wave barrier
	s_and_saveexec_b64 s[24:25], s[36:37]
	s_cbranch_execz .LBB74_62
; %bb.61:                               ;   in Loop: Header=BB74_4 Depth=2
	v_bcnt_u32_b32 v0, v0, 0
	v_bcnt_u32_b32 v0, v1, v0
	s_waitcnt lgkmcnt(0)
	v_add_u32_e32 v0, v101, v0
	v_add_u32_e32 v1, v2, v102
	ds_write_b32 v1, v0 offset:16
.LBB74_62:                              ;   in Loop: Header=BB74_4 Depth=2
	s_or_b64 exec, exec, s[24:25]
	v_lshlrev_b32_sdwa v0, s34, v10 dst_sel:DWORD dst_unused:UNUSED_PAD src0_sel:DWORD src1_sel:BYTE_1
	v_lshrrev_b32_e32 v0, 28, v0
	v_mad_u32_u24 v1, v0, 20, v2
	; wave barrier
	ds_read_b32 v104, v1 offset:16
	v_and_b32_e32 v1, 1, v0
	v_add_co_u32_e32 v12, vcc, -1, v1
	v_addc_co_u32_e64 v106, s[24:25], 0, -1, vcc
	v_cmp_ne_u32_e32 vcc, 0, v1
	v_xor_b32_e32 v12, vcc_lo, v12
	v_xor_b32_e32 v1, vcc_hi, v106
	v_and_b32_e32 v106, exec_lo, v12
	v_lshlrev_b32_e32 v12, 30, v0
	v_cmp_gt_i64_e32 vcc, 0, v[11:12]
	v_not_b32_e32 v12, v12
	v_ashrrev_i32_e32 v12, 31, v12
	v_xor_b32_e32 v107, vcc_hi, v12
	v_xor_b32_e32 v12, vcc_lo, v12
	v_and_b32_e32 v106, v106, v12
	v_lshlrev_b32_e32 v12, 29, v0
	v_cmp_gt_i64_e32 vcc, 0, v[11:12]
	v_not_b32_e32 v12, v12
	v_and_b32_e32 v1, exec_hi, v1
	v_ashrrev_i32_e32 v12, 31, v12
	v_and_b32_e32 v1, v1, v107
	v_xor_b32_e32 v107, vcc_hi, v12
	v_xor_b32_e32 v12, vcc_lo, v12
	v_and_b32_e32 v106, v106, v12
	v_lshlrev_b32_e32 v12, 28, v0
	v_mul_u32_u24_e32 v105, 20, v0
	v_cmp_gt_i64_e32 vcc, 0, v[11:12]
	v_not_b32_e32 v0, v12
	v_ashrrev_i32_e32 v0, 31, v0
	v_xor_b32_e32 v12, vcc_hi, v0
	v_xor_b32_e32 v0, vcc_lo, v0
	v_and_b32_e32 v1, v1, v107
	v_and_b32_e32 v0, v106, v0
	;; [unrolled: 1-line block ×3, first 2 shown]
	v_mbcnt_lo_u32_b32 v12, v0, 0
	v_mbcnt_hi_u32_b32 v106, v1, v12
	v_cmp_ne_u64_e32 vcc, 0, v[0:1]
	v_cmp_eq_u32_e64 s[24:25], 0, v106
	s_and_b64 s[36:37], vcc, s[24:25]
	; wave barrier
	s_and_saveexec_b64 s[24:25], s[36:37]
	s_cbranch_execz .LBB74_64
; %bb.63:                               ;   in Loop: Header=BB74_4 Depth=2
	v_bcnt_u32_b32 v0, v0, 0
	v_bcnt_u32_b32 v0, v1, v0
	s_waitcnt lgkmcnt(0)
	v_add_u32_e32 v0, v104, v0
	v_add_u32_e32 v1, v2, v105
	ds_write_b32 v1, v0 offset:16
.LBB74_64:                              ;   in Loop: Header=BB74_4 Depth=2
	s_or_b64 exec, exec, s[24:25]
	v_lshlrev_b32_sdwa v0, s34, v10 dst_sel:DWORD dst_unused:UNUSED_PAD src0_sel:DWORD src1_sel:BYTE_2
	v_lshrrev_b32_e32 v0, 28, v0
	v_mad_u32_u24 v1, v0, 20, v2
	; wave barrier
	ds_read_b32 v107, v1 offset:16
	v_and_b32_e32 v1, 1, v0
	v_add_co_u32_e32 v12, vcc, -1, v1
	v_addc_co_u32_e64 v109, s[24:25], 0, -1, vcc
	v_cmp_ne_u32_e32 vcc, 0, v1
	v_xor_b32_e32 v12, vcc_lo, v12
	v_xor_b32_e32 v1, vcc_hi, v109
	v_and_b32_e32 v109, exec_lo, v12
	v_lshlrev_b32_e32 v12, 30, v0
	v_cmp_gt_i64_e32 vcc, 0, v[11:12]
	v_not_b32_e32 v12, v12
	v_ashrrev_i32_e32 v12, 31, v12
	v_xor_b32_e32 v110, vcc_hi, v12
	v_xor_b32_e32 v12, vcc_lo, v12
	v_and_b32_e32 v109, v109, v12
	v_lshlrev_b32_e32 v12, 29, v0
	v_cmp_gt_i64_e32 vcc, 0, v[11:12]
	v_not_b32_e32 v12, v12
	v_and_b32_e32 v1, exec_hi, v1
	v_ashrrev_i32_e32 v12, 31, v12
	v_and_b32_e32 v1, v1, v110
	v_xor_b32_e32 v110, vcc_hi, v12
	v_xor_b32_e32 v12, vcc_lo, v12
	v_and_b32_e32 v109, v109, v12
	v_lshlrev_b32_e32 v12, 28, v0
	v_mul_u32_u24_e32 v108, 20, v0
	v_cmp_gt_i64_e32 vcc, 0, v[11:12]
	v_not_b32_e32 v0, v12
	v_ashrrev_i32_e32 v0, 31, v0
	v_xor_b32_e32 v12, vcc_hi, v0
	v_xor_b32_e32 v0, vcc_lo, v0
	v_and_b32_e32 v1, v1, v110
	v_and_b32_e32 v0, v109, v0
	;; [unrolled: 1-line block ×3, first 2 shown]
	v_mbcnt_lo_u32_b32 v12, v0, 0
	v_mbcnt_hi_u32_b32 v109, v1, v12
	v_cmp_ne_u64_e32 vcc, 0, v[0:1]
	v_cmp_eq_u32_e64 s[24:25], 0, v109
	s_and_b64 s[36:37], vcc, s[24:25]
	; wave barrier
	s_and_saveexec_b64 s[24:25], s[36:37]
	s_cbranch_execz .LBB74_66
; %bb.65:                               ;   in Loop: Header=BB74_4 Depth=2
	v_bcnt_u32_b32 v0, v0, 0
	v_bcnt_u32_b32 v0, v1, v0
	s_waitcnt lgkmcnt(0)
	v_add_u32_e32 v0, v107, v0
	v_add_u32_e32 v1, v2, v108
	ds_write_b32 v1, v0 offset:16
.LBB74_66:                              ;   in Loop: Header=BB74_4 Depth=2
	s_or_b64 exec, exec, s[24:25]
	v_lshlrev_b32_sdwa v0, s34, v10 dst_sel:DWORD dst_unused:UNUSED_PAD src0_sel:DWORD src1_sel:BYTE_3
	v_lshrrev_b32_e32 v0, 28, v0
	v_mad_u32_u24 v1, v0, 20, v2
	; wave barrier
	ds_read_b32 v110, v1 offset:16
	v_and_b32_e32 v1, 1, v0
	v_add_co_u32_e32 v12, vcc, -1, v1
	v_addc_co_u32_e64 v112, s[24:25], 0, -1, vcc
	v_cmp_ne_u32_e32 vcc, 0, v1
	v_xor_b32_e32 v12, vcc_lo, v12
	v_xor_b32_e32 v1, vcc_hi, v112
	v_and_b32_e32 v112, exec_lo, v12
	v_lshlrev_b32_e32 v12, 30, v0
	v_cmp_gt_i64_e32 vcc, 0, v[11:12]
	v_not_b32_e32 v12, v12
	v_ashrrev_i32_e32 v12, 31, v12
	v_xor_b32_e32 v113, vcc_hi, v12
	v_xor_b32_e32 v12, vcc_lo, v12
	v_and_b32_e32 v112, v112, v12
	v_lshlrev_b32_e32 v12, 29, v0
	v_cmp_gt_i64_e32 vcc, 0, v[11:12]
	v_not_b32_e32 v12, v12
	v_and_b32_e32 v1, exec_hi, v1
	v_ashrrev_i32_e32 v12, 31, v12
	v_and_b32_e32 v1, v1, v113
	v_xor_b32_e32 v113, vcc_hi, v12
	v_xor_b32_e32 v12, vcc_lo, v12
	v_and_b32_e32 v112, v112, v12
	v_lshlrev_b32_e32 v12, 28, v0
	v_mul_u32_u24_e32 v111, 20, v0
	v_cmp_gt_i64_e32 vcc, 0, v[11:12]
	v_not_b32_e32 v0, v12
	v_ashrrev_i32_e32 v0, 31, v0
	v_xor_b32_e32 v12, vcc_hi, v0
	v_xor_b32_e32 v0, vcc_lo, v0
	v_and_b32_e32 v1, v1, v113
	v_and_b32_e32 v0, v112, v0
	;; [unrolled: 1-line block ×3, first 2 shown]
	v_mbcnt_lo_u32_b32 v12, v0, 0
	v_mbcnt_hi_u32_b32 v12, v1, v12
	v_cmp_ne_u64_e32 vcc, 0, v[0:1]
	v_cmp_eq_u32_e64 s[24:25], 0, v12
	s_and_b64 s[34:35], vcc, s[24:25]
	; wave barrier
	s_and_saveexec_b64 s[24:25], s[34:35]
	s_cbranch_execz .LBB74_68
; %bb.67:                               ;   in Loop: Header=BB74_4 Depth=2
	v_bcnt_u32_b32 v0, v0, 0
	v_bcnt_u32_b32 v0, v1, v0
	s_waitcnt lgkmcnt(0)
	v_add_u32_e32 v0, v110, v0
	v_add_u32_e32 v1, v2, v111
	ds_write_b32 v1, v0 offset:16
.LBB74_68:                              ;   in Loop: Header=BB74_4 Depth=2
	s_or_b64 exec, exec, s[24:25]
	; wave barrier
	s_waitcnt lgkmcnt(0)
	s_barrier
	ds_read_b32 v0, v17 offset:16
	s_waitcnt lgkmcnt(0)
	s_nop 0
	v_mov_b32_dpp v1, v0 row_shr:1 row_mask:0xf bank_mask:0xf
	v_cndmask_b32_e64 v1, v1, 0, s[0:1]
	v_add_u32_e32 v0, v1, v0
	s_nop 1
	v_mov_b32_dpp v1, v0 row_shr:2 row_mask:0xf bank_mask:0xf
	v_cndmask_b32_e64 v1, 0, v1, s[2:3]
	v_add_u32_e32 v0, v0, v1
	;; [unrolled: 4-line block ×4, first 2 shown]
	s_nop 1
	v_mov_b32_dpp v1, v0 row_bcast:15 row_mask:0xf bank_mask:0xf
	v_cndmask_b32_e64 v1, v1, 0, s[8:9]
	v_add_u32_e32 v0, v0, v1
	s_nop 1
	v_mov_b32_dpp v1, v0 row_bcast:31 row_mask:0xf bank_mask:0xf
	v_cndmask_b32_e64 v1, 0, v1, s[10:11]
	v_add_u32_e32 v0, v0, v1
	s_and_saveexec_b64 s[24:25], s[12:13]
; %bb.69:                               ;   in Loop: Header=BB74_4 Depth=2
	ds_write_b32 v19, v0
; %bb.70:                               ;   in Loop: Header=BB74_4 Depth=2
	s_or_b64 exec, exec, s[24:25]
	s_waitcnt lgkmcnt(0)
	s_barrier
	s_and_saveexec_b64 s[24:25], s[14:15]
	s_cbranch_execz .LBB74_72
; %bb.71:                               ;   in Loop: Header=BB74_4 Depth=2
	ds_read_b32 v1, v17
	s_waitcnt lgkmcnt(0)
	s_nop 0
	v_mov_b32_dpp v112, v1 row_shr:1 row_mask:0xf bank_mask:0xf
	v_cndmask_b32_e64 v112, v112, 0, s[20:21]
	v_add_u32_e32 v1, v112, v1
	s_nop 1
	v_mov_b32_dpp v112, v1 row_shr:2 row_mask:0xf bank_mask:0xf
	v_cndmask_b32_e64 v112, 0, v112, s[22:23]
	v_add_u32_e32 v1, v1, v112
	ds_write_b32 v17, v1
.LBB74_72:                              ;   in Loop: Header=BB74_4 Depth=2
	s_or_b64 exec, exec, s[24:25]
	v_mov_b32_e32 v1, 0
	s_waitcnt lgkmcnt(0)
	s_barrier
	s_and_saveexec_b64 s[24:25], s[16:17]
	s_cbranch_execz .LBB74_3
; %bb.73:                               ;   in Loop: Header=BB74_4 Depth=2
	ds_read_b32 v1, v20
	s_branch .LBB74_3
.LBB74_74:
	v_add_u32_e32 v0, v2, v29
	v_add_u32_e32 v1, v2, v26
	v_add_u32_e32 v3, v2, v23
	v_add_u32_e32 v7, v2, v33
	v_add_u32_e32 v8, v2, v30
	v_add_u32_e32 v4, v2, v16
	v_add_u32_e32 v5, v2, v40
	v_add_u32_e32 v6, v2, v36
	ds_read_b32 v0, v0 offset:16
	ds_read_b32 v1, v1 offset:16
	;; [unrolled: 1-line block ×8, first 2 shown]
	s_lshl_b64 s[0:1], s[28:29], 2
	s_add_u32 s0, s26, s0
	s_waitcnt lgkmcnt(7)
	v_add3_u32 v6, v27, v25, v0
	s_waitcnt lgkmcnt(6)
	v_add3_u32 v5, v24, v22, v1
	;; [unrolled: 2-line block ×3, first 2 shown]
	s_waitcnt lgkmcnt(4)
	v_add_u32_e32 v3, v9, v14
	s_addc_u32 s1, s27, s1
	v_lshlrev_b32_e32 v0, 2, v13
	global_store_dwordx4 v0, v[3:6], s[0:1]
	v_add_u32_e32 v1, v2, v51
	s_waitcnt lgkmcnt(3)
	v_add3_u32 v6, v41, v38, v10
	s_waitcnt lgkmcnt(2)
	v_add3_u32 v5, v37, v35, v11
	;; [unrolled: 2-line block ×4, first 2 shown]
	global_store_dwordx4 v0, v[3:6], s[0:1] offset:16
	v_add_u32_e32 v7, v2, v60
	v_add_u32_e32 v3, v2, v48
	;; [unrolled: 1-line block ×7, first 2 shown]
	ds_read_b32 v1, v1 offset:16
	ds_read_b32 v3, v3 offset:16
	;; [unrolled: 1-line block ×8, first 2 shown]
	s_waitcnt lgkmcnt(7)
	v_add3_u32 v6, v52, v50, v1
	s_waitcnt lgkmcnt(6)
	v_add3_u32 v5, v49, v47, v3
	s_waitcnt lgkmcnt(5)
	v_add3_u32 v4, v46, v44, v4
	s_waitcnt lgkmcnt(4)
	v_add3_u32 v3, v43, v39, v10
	global_store_dwordx4 v0, v[3:6], s[0:1] offset:32
	v_add_u32_e32 v1, v2, v111
	s_waitcnt lgkmcnt(3)
	v_add3_u32 v6, v66, v62, v11
	s_waitcnt lgkmcnt(2)
	v_add3_u32 v5, v61, v59, v7
	;; [unrolled: 2-line block ×4, first 2 shown]
	global_store_dwordx4 v0, v[3:6], s[0:1] offset:48
	v_add_u32_e32 v7, v2, v96
	v_add_u32_e32 v3, v2, v108
	;; [unrolled: 1-line block ×7, first 2 shown]
	ds_read_b32 v1, v1 offset:16
	ds_read_b32 v3, v3 offset:16
	ds_read_b32 v4, v4 offset:16
	ds_read_b32 v10, v5 offset:16
	ds_read_b32 v11, v6 offset:16
	ds_read_b32 v7, v7 offset:16
	ds_read_b32 v8, v8 offset:16
	ds_read_b32 v13, v9 offset:16
	s_waitcnt lgkmcnt(7)
	v_add3_u32 v6, v12, v110, v1
	s_waitcnt lgkmcnt(6)
	v_add3_u32 v5, v109, v107, v3
	;; [unrolled: 2-line block ×6, first 2 shown]
	v_add_u32_e32 v1, v2, v87
	v_add_u32_e32 v11, v2, v84
	;; [unrolled: 1-line block ×8, first 2 shown]
	ds_read_b32 v1, v1 offset:16
	ds_read_b32 v11, v11 offset:16
	ds_read_b32 v12, v12 offset:16
	ds_read_b32 v17, v13 offset:16
	ds_read_b32 v18, v14 offset:16
	ds_read_b32 v15, v15 offset:16
	ds_read_b32 v16, v16 offset:16
	ds_read_b32 v2, v2 offset:16
	s_waitcnt lgkmcnt(6)
	v_add3_u32 v13, v85, v83, v11
	s_waitcnt lgkmcnt(4)
	v_add3_u32 v11, v79, v77, v17
	;; [unrolled: 2-line block ×6, first 2 shown]
	v_add3_u32 v4, v106, v104, v4
	v_add3_u32 v8, v94, v92, v8
	;; [unrolled: 1-line block ×4, first 2 shown]
	global_store_dwordx4 v0, v[15:18], s[0:1] offset:64
	global_store_dwordx4 v0, v[11:14], s[0:1] offset:80
	global_store_dwordx4 v0, v[7:10], s[0:1] offset:96
	global_store_dwordx4 v0, v[3:6], s[0:1] offset:112
	s_endpgm
	.section	.rodata,"a",@progbits
	.p2align	6, 0x0
	.amdhsa_kernel _Z11rank_kernelIhLj4ELb0EL18RadixRankAlgorithm2ELj256ELj32ELj10EEvPKT_Pi
		.amdhsa_group_segment_fixed_size 1040
		.amdhsa_private_segment_fixed_size 0
		.amdhsa_kernarg_size 272
		.amdhsa_user_sgpr_count 6
		.amdhsa_user_sgpr_private_segment_buffer 1
		.amdhsa_user_sgpr_dispatch_ptr 0
		.amdhsa_user_sgpr_queue_ptr 0
		.amdhsa_user_sgpr_kernarg_segment_ptr 1
		.amdhsa_user_sgpr_dispatch_id 0
		.amdhsa_user_sgpr_flat_scratch_init 0
		.amdhsa_user_sgpr_private_segment_size 0
		.amdhsa_uses_dynamic_stack 0
		.amdhsa_system_sgpr_private_segment_wavefront_offset 0
		.amdhsa_system_sgpr_workgroup_id_x 1
		.amdhsa_system_sgpr_workgroup_id_y 0
		.amdhsa_system_sgpr_workgroup_id_z 0
		.amdhsa_system_sgpr_workgroup_info 0
		.amdhsa_system_vgpr_workitem_id 2
		.amdhsa_next_free_vgpr 114
		.amdhsa_next_free_sgpr 38
		.amdhsa_reserve_vcc 1
		.amdhsa_reserve_flat_scratch 0
		.amdhsa_float_round_mode_32 0
		.amdhsa_float_round_mode_16_64 0
		.amdhsa_float_denorm_mode_32 3
		.amdhsa_float_denorm_mode_16_64 3
		.amdhsa_dx10_clamp 1
		.amdhsa_ieee_mode 1
		.amdhsa_fp16_overflow 0
		.amdhsa_exception_fp_ieee_invalid_op 0
		.amdhsa_exception_fp_denorm_src 0
		.amdhsa_exception_fp_ieee_div_zero 0
		.amdhsa_exception_fp_ieee_overflow 0
		.amdhsa_exception_fp_ieee_underflow 0
		.amdhsa_exception_fp_ieee_inexact 0
		.amdhsa_exception_int_div_zero 0
	.end_amdhsa_kernel
	.section	.text._Z11rank_kernelIhLj4ELb0EL18RadixRankAlgorithm2ELj256ELj32ELj10EEvPKT_Pi,"axG",@progbits,_Z11rank_kernelIhLj4ELb0EL18RadixRankAlgorithm2ELj256ELj32ELj10EEvPKT_Pi,comdat
.Lfunc_end74:
	.size	_Z11rank_kernelIhLj4ELb0EL18RadixRankAlgorithm2ELj256ELj32ELj10EEvPKT_Pi, .Lfunc_end74-_Z11rank_kernelIhLj4ELb0EL18RadixRankAlgorithm2ELj256ELj32ELj10EEvPKT_Pi
                                        ; -- End function
	.set _Z11rank_kernelIhLj4ELb0EL18RadixRankAlgorithm2ELj256ELj32ELj10EEvPKT_Pi.num_vgpr, 114
	.set _Z11rank_kernelIhLj4ELb0EL18RadixRankAlgorithm2ELj256ELj32ELj10EEvPKT_Pi.num_agpr, 0
	.set _Z11rank_kernelIhLj4ELb0EL18RadixRankAlgorithm2ELj256ELj32ELj10EEvPKT_Pi.numbered_sgpr, 38
	.set _Z11rank_kernelIhLj4ELb0EL18RadixRankAlgorithm2ELj256ELj32ELj10EEvPKT_Pi.num_named_barrier, 0
	.set _Z11rank_kernelIhLj4ELb0EL18RadixRankAlgorithm2ELj256ELj32ELj10EEvPKT_Pi.private_seg_size, 0
	.set _Z11rank_kernelIhLj4ELb0EL18RadixRankAlgorithm2ELj256ELj32ELj10EEvPKT_Pi.uses_vcc, 1
	.set _Z11rank_kernelIhLj4ELb0EL18RadixRankAlgorithm2ELj256ELj32ELj10EEvPKT_Pi.uses_flat_scratch, 0
	.set _Z11rank_kernelIhLj4ELb0EL18RadixRankAlgorithm2ELj256ELj32ELj10EEvPKT_Pi.has_dyn_sized_stack, 0
	.set _Z11rank_kernelIhLj4ELb0EL18RadixRankAlgorithm2ELj256ELj32ELj10EEvPKT_Pi.has_recursion, 0
	.set _Z11rank_kernelIhLj4ELb0EL18RadixRankAlgorithm2ELj256ELj32ELj10EEvPKT_Pi.has_indirect_call, 0
	.section	.AMDGPU.csdata,"",@progbits
; Kernel info:
; codeLenInByte = 9292
; TotalNumSgprs: 42
; NumVgprs: 114
; ScratchSize: 0
; MemoryBound: 0
; FloatMode: 240
; IeeeMode: 1
; LDSByteSize: 1040 bytes/workgroup (compile time only)
; SGPRBlocks: 5
; VGPRBlocks: 28
; NumSGPRsForWavesPerEU: 42
; NumVGPRsForWavesPerEU: 114
; Occupancy: 2
; WaveLimiterHint : 0
; COMPUTE_PGM_RSRC2:SCRATCH_EN: 0
; COMPUTE_PGM_RSRC2:USER_SGPR: 6
; COMPUTE_PGM_RSRC2:TRAP_HANDLER: 0
; COMPUTE_PGM_RSRC2:TGID_X_EN: 1
; COMPUTE_PGM_RSRC2:TGID_Y_EN: 0
; COMPUTE_PGM_RSRC2:TGID_Z_EN: 0
; COMPUTE_PGM_RSRC2:TIDIG_COMP_CNT: 2
	.section	.text._Z11rank_kernelIhLj4ELb0EL18RadixRankAlgorithm0ELj512ELj1ELj10EEvPKT_Pi,"axG",@progbits,_Z11rank_kernelIhLj4ELb0EL18RadixRankAlgorithm0ELj512ELj1ELj10EEvPKT_Pi,comdat
	.protected	_Z11rank_kernelIhLj4ELb0EL18RadixRankAlgorithm0ELj512ELj1ELj10EEvPKT_Pi ; -- Begin function _Z11rank_kernelIhLj4ELb0EL18RadixRankAlgorithm0ELj512ELj1ELj10EEvPKT_Pi
	.globl	_Z11rank_kernelIhLj4ELb0EL18RadixRankAlgorithm0ELj512ELj1ELj10EEvPKT_Pi
	.p2align	8
	.type	_Z11rank_kernelIhLj4ELb0EL18RadixRankAlgorithm0ELj512ELj1ELj10EEvPKT_Pi,@function
_Z11rank_kernelIhLj4ELb0EL18RadixRankAlgorithm0ELj512ELj1ELj10EEvPKT_Pi: ; @_Z11rank_kernelIhLj4ELb0EL18RadixRankAlgorithm0ELj512ELj1ELj10EEvPKT_Pi
; %bb.0:
	s_load_dwordx4 s[24:27], s[4:5], 0x0
	s_lshl_b32 s28, s6, 9
	v_mbcnt_lo_u32_b32 v3, -1, 0
	v_mbcnt_hi_u32_b32 v4, -1, v3
	v_or_b32_e32 v3, 63, v0
	s_waitcnt lgkmcnt(0)
	s_add_u32 s0, s24, s28
	s_addc_u32 s1, s25, 0
	global_load_ubyte v5, v0, s[0:1]
	v_lshrrev_b32_e32 v6, 4, v0
	v_subrev_co_u32_e64 v11, s[6:7], 1, v4
	v_and_b32_e32 v12, 64, v4
	s_movk_i32 s30, 0xe00
	v_or_b32_e32 v8, 0xc00, v0
	v_and_b32_e32 v9, 15, v4
	v_cmp_eq_u32_e64 s[4:5], v0, v3
	v_and_b32_e32 v3, 28, v6
	v_and_b32_e32 v6, 7, v4
	v_cmp_lt_i32_e64 s[20:21], v11, v12
	v_and_b32_e32 v10, 16, v4
	v_cmp_lt_u32_e64 s[2:3], 31, v4
	v_cmp_gt_u32_e64 s[8:9], s30, v8
	v_cmp_eq_u32_e64 s[10:11], 0, v9
	v_cmp_lt_u32_e64 s[12:13], 1, v9
	v_cmp_lt_u32_e64 s[14:15], 3, v9
	;; [unrolled: 1-line block ×3, first 2 shown]
	v_cndmask_b32_e64 v4, v11, v4, s[20:21]
	v_cmp_eq_u32_e64 s[20:21], 0, v6
	v_cmp_lt_u32_e64 s[22:23], 1, v6
	v_cmp_lt_u32_e64 s[24:25], 3, v6
	v_lshlrev_b32_e32 v2, 5, v0
	v_mul_i32_i24_e32 v7, 0xffffffe4, v0
	v_cmp_eq_u32_e64 s[18:19], 0, v10
	s_mov_b32 s29, 0
	v_mov_b32_e32 v1, 0
	s_mov_b32 s33, 10
	v_cmp_gt_u32_e32 vcc, 8, v0
	v_cmp_lt_u32_e64 s[0:1], 63, v0
	v_lshlrev_b32_e32 v4, 2, v4
	v_add_u32_e32 v7, v2, v7
	s_waitcnt vmcnt(0)
	v_lshlrev_b32_e32 v6, 5, v5
	v_lshrrev_b32_e32 v8, 6, v5
	v_lshlrev_b32_e32 v9, 9, v5
	v_lshrrev_b32_e32 v5, 2, v5
	v_and_or_b32 v6, v6, s30, v0
	v_and_b32_e32 v8, 2, v8
	v_and_or_b32 v9, v9, s30, v0
	v_and_b32_e32 v10, 2, v5
	v_lshl_or_b32 v5, v6, 2, v8
	v_lshl_or_b32 v6, v9, 2, v10
	s_branch .LBB75_2
.LBB75_1:                               ;   in Loop: Header=BB75_2 Depth=1
	s_or_b64 exec, exec, s[30:31]
	s_waitcnt lgkmcnt(0)
	v_add_u32_e32 v9, v10, v9
	ds_bpermute_b32 v9, v4, v9
	ds_read_b32 v17, v1 offset:16412
	ds_read2_b64 v[11:14], v2 offset1:1
	ds_read_b64 v[15:16], v2 offset:16
	ds_read_b32 v18, v2 offset:24
	s_add_i32 s33, s33, -1
	s_cmp_eq_u32 s33, 0
	s_waitcnt lgkmcnt(4)
	v_cndmask_b32_e64 v9, v9, v10, s[6:7]
	s_waitcnt lgkmcnt(3)
	v_lshl_add_u32 v9, v17, 16, v9
	s_waitcnt lgkmcnt(2)
	v_add_u32_e32 v10, v9, v11
	v_add_u32_e32 v11, v12, v10
	;; [unrolled: 1-line block ×3, first 2 shown]
	ds_write2_b64 v2, v[9:10], v[11:12] offset1:1
	v_add_u32_e32 v9, v14, v12
	s_waitcnt lgkmcnt(2)
	v_add_u32_e32 v10, v15, v9
	v_add_u32_e32 v11, v16, v10
	s_waitcnt lgkmcnt(1)
	v_add_u32_e32 v12, v18, v11
	ds_write2_b64 v2, v[9:10], v[11:12] offset0:2 offset1:3
	s_waitcnt lgkmcnt(0)
	s_barrier
	s_cbranch_scc1 .LBB75_18
.LBB75_2:                               ; =>This Inner Loop Header: Depth=1
	ds_write2st64_b32 v7, v1, v1 offset1:8
	ds_write2st64_b32 v7, v1, v1 offset0:16 offset1:24
	ds_write2st64_b32 v7, v1, v1 offset0:32 offset1:40
	ds_write_b32 v7, v1 offset:12288
	s_and_saveexec_b64 s[30:31], s[8:9]
; %bb.3:                                ;   in Loop: Header=BB75_2 Depth=1
	ds_write_b32 v7, v1 offset:14336
; %bb.4:                                ;   in Loop: Header=BB75_2 Depth=1
	s_or_b64 exec, exec, s[30:31]
	ds_read_u16 v8, v6
	s_waitcnt lgkmcnt(0)
	v_add_u16_e32 v8, 1, v8
	ds_write_b16 v6, v8
	s_waitcnt lgkmcnt(0)
	s_barrier
	ds_read2_b64 v[8:11], v2 offset1:1
	ds_read2_b64 v[12:15], v2 offset0:2 offset1:3
	s_waitcnt lgkmcnt(1)
	v_add_u32_e32 v8, v9, v8
	v_add3_u32 v8, v8, v10, v11
	s_waitcnt lgkmcnt(0)
	v_add3_u32 v8, v8, v12, v13
	v_add3_u32 v8, v8, v14, v15
	s_nop 1
	v_mov_b32_dpp v9, v8 row_shr:1 row_mask:0xf bank_mask:0xf
	v_cndmask_b32_e64 v9, v9, 0, s[10:11]
	v_add_u32_e32 v8, v9, v8
	s_nop 1
	v_mov_b32_dpp v9, v8 row_shr:2 row_mask:0xf bank_mask:0xf
	v_cndmask_b32_e64 v9, 0, v9, s[12:13]
	v_add_u32_e32 v8, v8, v9
	;; [unrolled: 4-line block ×4, first 2 shown]
	s_nop 1
	v_mov_b32_dpp v9, v8 row_bcast:15 row_mask:0xf bank_mask:0xf
	v_cndmask_b32_e64 v9, v9, 0, s[18:19]
	v_add_u32_e32 v8, v8, v9
	s_nop 1
	v_mov_b32_dpp v9, v8 row_bcast:31 row_mask:0xf bank_mask:0xf
	v_cndmask_b32_e64 v9, 0, v9, s[2:3]
	v_add_u32_e32 v8, v8, v9
	s_and_saveexec_b64 s[30:31], s[4:5]
; %bb.5:                                ;   in Loop: Header=BB75_2 Depth=1
	ds_write_b32 v3, v8 offset:16384
; %bb.6:                                ;   in Loop: Header=BB75_2 Depth=1
	s_or_b64 exec, exec, s[30:31]
	s_waitcnt lgkmcnt(0)
	s_barrier
	s_and_saveexec_b64 s[30:31], vcc
	s_cbranch_execz .LBB75_8
; %bb.7:                                ;   in Loop: Header=BB75_2 Depth=1
	ds_read_b32 v9, v7 offset:16384
	s_waitcnt lgkmcnt(0)
	s_nop 0
	v_mov_b32_dpp v10, v9 row_shr:1 row_mask:0xf bank_mask:0xf
	v_cndmask_b32_e64 v10, v10, 0, s[20:21]
	v_add_u32_e32 v9, v10, v9
	s_nop 1
	v_mov_b32_dpp v10, v9 row_shr:2 row_mask:0xf bank_mask:0xf
	v_cndmask_b32_e64 v10, 0, v10, s[22:23]
	v_add_u32_e32 v9, v9, v10
	;; [unrolled: 4-line block ×3, first 2 shown]
	ds_write_b32 v7, v9 offset:16384
.LBB75_8:                               ;   in Loop: Header=BB75_2 Depth=1
	s_or_b64 exec, exec, s[30:31]
	v_mov_b32_e32 v9, 0
	s_waitcnt lgkmcnt(0)
	s_barrier
	s_and_saveexec_b64 s[30:31], s[0:1]
; %bb.9:                                ;   in Loop: Header=BB75_2 Depth=1
	ds_read_b32 v9, v3 offset:16380
; %bb.10:                               ;   in Loop: Header=BB75_2 Depth=1
	s_or_b64 exec, exec, s[30:31]
	s_waitcnt lgkmcnt(0)
	v_add_u32_e32 v8, v9, v8
	ds_bpermute_b32 v8, v4, v8
	ds_read_b32 v16, v1 offset:16412
	ds_read2_b64 v[10:13], v2 offset1:1
	ds_read_b64 v[14:15], v2 offset:16
	ds_read_b32 v17, v2 offset:24
	s_waitcnt lgkmcnt(4)
	v_cndmask_b32_e64 v8, v8, v9, s[6:7]
	s_waitcnt lgkmcnt(3)
	v_lshl_add_u32 v8, v16, 16, v8
	s_waitcnt lgkmcnt(2)
	v_add_u32_e32 v9, v8, v10
	v_add_u32_e32 v10, v11, v9
	;; [unrolled: 1-line block ×3, first 2 shown]
	ds_write2_b64 v2, v[8:9], v[10:11] offset1:1
	v_add_u32_e32 v8, v13, v11
	s_waitcnt lgkmcnt(2)
	v_add_u32_e32 v9, v14, v8
	v_add_u32_e32 v10, v15, v9
	s_waitcnt lgkmcnt(1)
	v_add_u32_e32 v11, v17, v10
	ds_write2_b64 v2, v[8:9], v[10:11] offset0:2 offset1:3
	s_waitcnt lgkmcnt(0)
	s_barrier
	ds_write2st64_b32 v7, v1, v1 offset1:8
	ds_write2st64_b32 v7, v1, v1 offset0:16 offset1:24
	ds_write2st64_b32 v7, v1, v1 offset0:32 offset1:40
	ds_write_b32 v7, v1 offset:12288
	s_and_saveexec_b64 s[30:31], s[8:9]
; %bb.11:                               ;   in Loop: Header=BB75_2 Depth=1
	ds_write_b32 v7, v1 offset:14336
; %bb.12:                               ;   in Loop: Header=BB75_2 Depth=1
	s_or_b64 exec, exec, s[30:31]
	ds_read_u16 v8, v5
	s_waitcnt lgkmcnt(0)
	v_add_u16_e32 v9, 1, v8
	ds_write_b16 v5, v9
	s_waitcnt lgkmcnt(0)
	s_barrier
	ds_read2_b64 v[9:12], v2 offset1:1
	ds_read2_b64 v[13:16], v2 offset0:2 offset1:3
	s_waitcnt lgkmcnt(1)
	v_add_u32_e32 v9, v10, v9
	v_add3_u32 v9, v9, v11, v12
	s_waitcnt lgkmcnt(0)
	v_add3_u32 v9, v9, v13, v14
	v_add3_u32 v9, v9, v15, v16
	s_nop 1
	v_mov_b32_dpp v10, v9 row_shr:1 row_mask:0xf bank_mask:0xf
	v_cndmask_b32_e64 v10, v10, 0, s[10:11]
	v_add_u32_e32 v9, v10, v9
	s_nop 1
	v_mov_b32_dpp v10, v9 row_shr:2 row_mask:0xf bank_mask:0xf
	v_cndmask_b32_e64 v10, 0, v10, s[12:13]
	v_add_u32_e32 v9, v9, v10
	;; [unrolled: 4-line block ×4, first 2 shown]
	s_nop 1
	v_mov_b32_dpp v10, v9 row_bcast:15 row_mask:0xf bank_mask:0xf
	v_cndmask_b32_e64 v10, v10, 0, s[18:19]
	v_add_u32_e32 v9, v9, v10
	s_nop 1
	v_mov_b32_dpp v10, v9 row_bcast:31 row_mask:0xf bank_mask:0xf
	v_cndmask_b32_e64 v10, 0, v10, s[2:3]
	v_add_u32_e32 v9, v9, v10
	s_and_saveexec_b64 s[30:31], s[4:5]
; %bb.13:                               ;   in Loop: Header=BB75_2 Depth=1
	ds_write_b32 v3, v9 offset:16384
; %bb.14:                               ;   in Loop: Header=BB75_2 Depth=1
	s_or_b64 exec, exec, s[30:31]
	s_waitcnt lgkmcnt(0)
	s_barrier
	s_and_saveexec_b64 s[30:31], vcc
	s_cbranch_execz .LBB75_16
; %bb.15:                               ;   in Loop: Header=BB75_2 Depth=1
	ds_read_b32 v10, v7 offset:16384
	s_waitcnt lgkmcnt(0)
	s_nop 0
	v_mov_b32_dpp v11, v10 row_shr:1 row_mask:0xf bank_mask:0xf
	v_cndmask_b32_e64 v11, v11, 0, s[20:21]
	v_add_u32_e32 v10, v11, v10
	s_nop 1
	v_mov_b32_dpp v11, v10 row_shr:2 row_mask:0xf bank_mask:0xf
	v_cndmask_b32_e64 v11, 0, v11, s[22:23]
	v_add_u32_e32 v10, v10, v11
	;; [unrolled: 4-line block ×3, first 2 shown]
	ds_write_b32 v7, v10 offset:16384
.LBB75_16:                              ;   in Loop: Header=BB75_2 Depth=1
	s_or_b64 exec, exec, s[30:31]
	v_mov_b32_e32 v10, 0
	s_waitcnt lgkmcnt(0)
	s_barrier
	s_and_saveexec_b64 s[30:31], s[0:1]
	s_cbranch_execz .LBB75_1
; %bb.17:                               ;   in Loop: Header=BB75_2 Depth=1
	ds_read_b32 v10, v3 offset:16380
	s_branch .LBB75_1
.LBB75_18:
	ds_read_u16 v1, v5
	s_lshl_b64 s[0:1], s[28:29], 2
	s_add_u32 s0, s26, s0
	s_addc_u32 s1, s27, s1
	v_lshlrev_b32_e32 v0, 2, v0
	s_waitcnt lgkmcnt(0)
	v_add_u32_sdwa v1, v1, v8 dst_sel:DWORD dst_unused:UNUSED_PAD src0_sel:DWORD src1_sel:WORD_0
	global_store_dword v0, v1, s[0:1]
	s_endpgm
	.section	.rodata,"a",@progbits
	.p2align	6, 0x0
	.amdhsa_kernel _Z11rank_kernelIhLj4ELb0EL18RadixRankAlgorithm0ELj512ELj1ELj10EEvPKT_Pi
		.amdhsa_group_segment_fixed_size 16416
		.amdhsa_private_segment_fixed_size 0
		.amdhsa_kernarg_size 16
		.amdhsa_user_sgpr_count 6
		.amdhsa_user_sgpr_private_segment_buffer 1
		.amdhsa_user_sgpr_dispatch_ptr 0
		.amdhsa_user_sgpr_queue_ptr 0
		.amdhsa_user_sgpr_kernarg_segment_ptr 1
		.amdhsa_user_sgpr_dispatch_id 0
		.amdhsa_user_sgpr_flat_scratch_init 0
		.amdhsa_user_sgpr_private_segment_size 0
		.amdhsa_uses_dynamic_stack 0
		.amdhsa_system_sgpr_private_segment_wavefront_offset 0
		.amdhsa_system_sgpr_workgroup_id_x 1
		.amdhsa_system_sgpr_workgroup_id_y 0
		.amdhsa_system_sgpr_workgroup_id_z 0
		.amdhsa_system_sgpr_workgroup_info 0
		.amdhsa_system_vgpr_workitem_id 0
		.amdhsa_next_free_vgpr 37
		.amdhsa_next_free_sgpr 93
		.amdhsa_reserve_vcc 1
		.amdhsa_reserve_flat_scratch 0
		.amdhsa_float_round_mode_32 0
		.amdhsa_float_round_mode_16_64 0
		.amdhsa_float_denorm_mode_32 3
		.amdhsa_float_denorm_mode_16_64 3
		.amdhsa_dx10_clamp 1
		.amdhsa_ieee_mode 1
		.amdhsa_fp16_overflow 0
		.amdhsa_exception_fp_ieee_invalid_op 0
		.amdhsa_exception_fp_denorm_src 0
		.amdhsa_exception_fp_ieee_div_zero 0
		.amdhsa_exception_fp_ieee_overflow 0
		.amdhsa_exception_fp_ieee_underflow 0
		.amdhsa_exception_fp_ieee_inexact 0
		.amdhsa_exception_int_div_zero 0
	.end_amdhsa_kernel
	.section	.text._Z11rank_kernelIhLj4ELb0EL18RadixRankAlgorithm0ELj512ELj1ELj10EEvPKT_Pi,"axG",@progbits,_Z11rank_kernelIhLj4ELb0EL18RadixRankAlgorithm0ELj512ELj1ELj10EEvPKT_Pi,comdat
.Lfunc_end75:
	.size	_Z11rank_kernelIhLj4ELb0EL18RadixRankAlgorithm0ELj512ELj1ELj10EEvPKT_Pi, .Lfunc_end75-_Z11rank_kernelIhLj4ELb0EL18RadixRankAlgorithm0ELj512ELj1ELj10EEvPKT_Pi
                                        ; -- End function
	.set _Z11rank_kernelIhLj4ELb0EL18RadixRankAlgorithm0ELj512ELj1ELj10EEvPKT_Pi.num_vgpr, 19
	.set _Z11rank_kernelIhLj4ELb0EL18RadixRankAlgorithm0ELj512ELj1ELj10EEvPKT_Pi.num_agpr, 0
	.set _Z11rank_kernelIhLj4ELb0EL18RadixRankAlgorithm0ELj512ELj1ELj10EEvPKT_Pi.numbered_sgpr, 34
	.set _Z11rank_kernelIhLj4ELb0EL18RadixRankAlgorithm0ELj512ELj1ELj10EEvPKT_Pi.num_named_barrier, 0
	.set _Z11rank_kernelIhLj4ELb0EL18RadixRankAlgorithm0ELj512ELj1ELj10EEvPKT_Pi.private_seg_size, 0
	.set _Z11rank_kernelIhLj4ELb0EL18RadixRankAlgorithm0ELj512ELj1ELj10EEvPKT_Pi.uses_vcc, 1
	.set _Z11rank_kernelIhLj4ELb0EL18RadixRankAlgorithm0ELj512ELj1ELj10EEvPKT_Pi.uses_flat_scratch, 0
	.set _Z11rank_kernelIhLj4ELb0EL18RadixRankAlgorithm0ELj512ELj1ELj10EEvPKT_Pi.has_dyn_sized_stack, 0
	.set _Z11rank_kernelIhLj4ELb0EL18RadixRankAlgorithm0ELj512ELj1ELj10EEvPKT_Pi.has_recursion, 0
	.set _Z11rank_kernelIhLj4ELb0EL18RadixRankAlgorithm0ELj512ELj1ELj10EEvPKT_Pi.has_indirect_call, 0
	.section	.AMDGPU.csdata,"",@progbits
; Kernel info:
; codeLenInByte = 1512
; TotalNumSgprs: 38
; NumVgprs: 19
; ScratchSize: 0
; MemoryBound: 0
; FloatMode: 240
; IeeeMode: 1
; LDSByteSize: 16416 bytes/workgroup (compile time only)
; SGPRBlocks: 12
; VGPRBlocks: 9
; NumSGPRsForWavesPerEU: 97
; NumVGPRsForWavesPerEU: 37
; Occupancy: 6
; WaveLimiterHint : 0
; COMPUTE_PGM_RSRC2:SCRATCH_EN: 0
; COMPUTE_PGM_RSRC2:USER_SGPR: 6
; COMPUTE_PGM_RSRC2:TRAP_HANDLER: 0
; COMPUTE_PGM_RSRC2:TGID_X_EN: 1
; COMPUTE_PGM_RSRC2:TGID_Y_EN: 0
; COMPUTE_PGM_RSRC2:TGID_Z_EN: 0
; COMPUTE_PGM_RSRC2:TIDIG_COMP_CNT: 0
	.section	.text._Z11rank_kernelIhLj4ELb0EL18RadixRankAlgorithm1ELj512ELj1ELj10EEvPKT_Pi,"axG",@progbits,_Z11rank_kernelIhLj4ELb0EL18RadixRankAlgorithm1ELj512ELj1ELj10EEvPKT_Pi,comdat
	.protected	_Z11rank_kernelIhLj4ELb0EL18RadixRankAlgorithm1ELj512ELj1ELj10EEvPKT_Pi ; -- Begin function _Z11rank_kernelIhLj4ELb0EL18RadixRankAlgorithm1ELj512ELj1ELj10EEvPKT_Pi
	.globl	_Z11rank_kernelIhLj4ELb0EL18RadixRankAlgorithm1ELj512ELj1ELj10EEvPKT_Pi
	.p2align	8
	.type	_Z11rank_kernelIhLj4ELb0EL18RadixRankAlgorithm1ELj512ELj1ELj10EEvPKT_Pi,@function
_Z11rank_kernelIhLj4ELb0EL18RadixRankAlgorithm1ELj512ELj1ELj10EEvPKT_Pi: ; @_Z11rank_kernelIhLj4ELb0EL18RadixRankAlgorithm1ELj512ELj1ELj10EEvPKT_Pi
; %bb.0:
	s_load_dwordx4 s[24:27], s[4:5], 0x0
	s_lshl_b32 s28, s6, 9
	v_mbcnt_lo_u32_b32 v2, -1, 0
	v_mbcnt_hi_u32_b32 v2, -1, v2
	v_or_b32_e32 v3, 63, v0
	s_waitcnt lgkmcnt(0)
	s_add_u32 s0, s24, s28
	s_addc_u32 s1, s25, 0
	global_load_ubyte v1, v0, s[0:1]
	v_cmp_eq_u32_e64 s[4:5], v0, v3
	v_subrev_co_u32_e64 v3, s[6:7], 1, v2
	v_and_b32_e32 v12, 64, v2
	v_lshrrev_b32_e32 v4, 4, v0
	v_cmp_lt_i32_e64 s[20:21], v3, v12
	v_and_b32_e32 v7, 15, v2
	v_and_b32_e32 v8, 16, v2
	v_cmp_lt_u32_e64 s[2:3], 31, v2
	v_and_b32_e32 v11, 28, v4
	v_and_b32_e32 v4, 7, v2
	v_cndmask_b32_e64 v2, v3, v2, s[20:21]
	s_movk_i32 s30, 0xe00
	v_cmp_eq_u32_e64 s[20:21], 0, v4
	v_cmp_lt_u32_e64 s[22:23], 1, v4
	v_cmp_lt_u32_e64 s[24:25], 3, v4
	v_lshlrev_b32_e32 v12, 2, v2
	v_lshlrev_b32_e32 v10, 5, v0
	v_mul_i32_i24_e32 v5, 0xffffffe4, v0
	v_or_b32_e32 v6, 0xc00, v0
	s_mov_b32 s29, 0
	v_mov_b32_e32 v9, 0
	s_mov_b32 s33, 10
	v_cmp_gt_u32_e32 vcc, 8, v0
	v_cmp_lt_u32_e64 s[0:1], 63, v0
	v_cmp_gt_u32_e64 s[8:9], s30, v6
	v_cmp_eq_u32_e64 s[10:11], 0, v7
	v_cmp_lt_u32_e64 s[12:13], 1, v7
	v_cmp_lt_u32_e64 s[14:15], 3, v7
	;; [unrolled: 1-line block ×3, first 2 shown]
	v_cmp_eq_u32_e64 s[18:19], 0, v8
	v_add_u32_e32 v15, v10, v5
	s_waitcnt vmcnt(0)
	v_lshlrev_b32_e32 v2, 5, v1
	v_lshrrev_b32_e32 v3, 6, v1
	v_lshlrev_b32_e32 v4, 9, v1
	v_lshrrev_b32_e32 v1, 2, v1
	v_and_or_b32 v2, v2, s30, v0
	v_and_b32_e32 v3, 2, v3
	v_and_or_b32 v4, v4, s30, v0
	v_and_b32_e32 v1, 2, v1
	v_lshl_or_b32 v13, v2, 2, v3
	v_lshl_or_b32 v14, v4, 2, v1
	s_branch .LBB76_2
.LBB76_1:                               ;   in Loop: Header=BB76_2 Depth=1
	s_or_b64 exec, exec, s[30:31]
	s_waitcnt lgkmcnt(0)
	v_add_u32_e32 v4, v17, v4
	ds_bpermute_b32 v4, v12, v4
	ds_read_b32 v18, v9 offset:16412
	s_add_i32 s33, s33, -1
	s_cmp_eq_u32 s33, 0
	s_waitcnt lgkmcnt(1)
	v_cndmask_b32_e64 v4, v4, v17, s[6:7]
	s_waitcnt lgkmcnt(0)
	v_lshl_add_u32 v4, v18, 16, v4
	v_add_u32_e32 v5, v4, v5
	v_add_u32_e32 v6, v5, v6
	;; [unrolled: 1-line block ×7, first 2 shown]
	ds_write2_b64 v10, v[4:5], v[6:7] offset1:1
	ds_write2_b64 v10, v[17:18], v[1:2] offset0:2 offset1:3
	s_waitcnt lgkmcnt(0)
	s_barrier
	s_cbranch_scc1 .LBB76_18
.LBB76_2:                               ; =>This Inner Loop Header: Depth=1
	ds_write2st64_b32 v15, v9, v9 offset1:8
	ds_write2st64_b32 v15, v9, v9 offset0:16 offset1:24
	ds_write2st64_b32 v15, v9, v9 offset0:32 offset1:40
	ds_write_b32 v15, v9 offset:12288
	s_and_saveexec_b64 s[30:31], s[8:9]
; %bb.3:                                ;   in Loop: Header=BB76_2 Depth=1
	ds_write_b32 v15, v9 offset:14336
; %bb.4:                                ;   in Loop: Header=BB76_2 Depth=1
	s_or_b64 exec, exec, s[30:31]
	ds_read_u16 v1, v14
	s_waitcnt lgkmcnt(0)
	v_add_u16_e32 v1, 1, v1
	ds_write_b16 v14, v1
	s_waitcnt lgkmcnt(0)
	s_barrier
	ds_read2_b64 v[5:8], v10 offset1:1
	ds_read2_b64 v[1:4], v10 offset0:2 offset1:3
	s_waitcnt lgkmcnt(1)
	v_add_u32_e32 v16, v6, v5
	v_add3_u32 v16, v16, v7, v8
	s_waitcnt lgkmcnt(0)
	v_add3_u32 v16, v16, v1, v2
	v_add3_u32 v4, v16, v3, v4
	s_nop 1
	v_mov_b32_dpp v16, v4 row_shr:1 row_mask:0xf bank_mask:0xf
	v_cndmask_b32_e64 v16, v16, 0, s[10:11]
	v_add_u32_e32 v4, v16, v4
	s_nop 1
	v_mov_b32_dpp v16, v4 row_shr:2 row_mask:0xf bank_mask:0xf
	v_cndmask_b32_e64 v16, 0, v16, s[12:13]
	v_add_u32_e32 v4, v4, v16
	;; [unrolled: 4-line block ×4, first 2 shown]
	s_nop 1
	v_mov_b32_dpp v16, v4 row_bcast:15 row_mask:0xf bank_mask:0xf
	v_cndmask_b32_e64 v16, v16, 0, s[18:19]
	v_add_u32_e32 v4, v4, v16
	s_nop 1
	v_mov_b32_dpp v16, v4 row_bcast:31 row_mask:0xf bank_mask:0xf
	v_cndmask_b32_e64 v16, 0, v16, s[2:3]
	v_add_u32_e32 v4, v4, v16
	s_and_saveexec_b64 s[30:31], s[4:5]
; %bb.5:                                ;   in Loop: Header=BB76_2 Depth=1
	ds_write_b32 v11, v4 offset:16384
; %bb.6:                                ;   in Loop: Header=BB76_2 Depth=1
	s_or_b64 exec, exec, s[30:31]
	s_waitcnt lgkmcnt(0)
	s_barrier
	s_and_saveexec_b64 s[30:31], vcc
	s_cbranch_execz .LBB76_8
; %bb.7:                                ;   in Loop: Header=BB76_2 Depth=1
	ds_read_b32 v16, v15 offset:16384
	s_waitcnt lgkmcnt(0)
	s_nop 0
	v_mov_b32_dpp v17, v16 row_shr:1 row_mask:0xf bank_mask:0xf
	v_cndmask_b32_e64 v17, v17, 0, s[20:21]
	v_add_u32_e32 v16, v17, v16
	s_nop 1
	v_mov_b32_dpp v17, v16 row_shr:2 row_mask:0xf bank_mask:0xf
	v_cndmask_b32_e64 v17, 0, v17, s[22:23]
	v_add_u32_e32 v16, v16, v17
	;; [unrolled: 4-line block ×3, first 2 shown]
	ds_write_b32 v15, v16 offset:16384
.LBB76_8:                               ;   in Loop: Header=BB76_2 Depth=1
	s_or_b64 exec, exec, s[30:31]
	v_mov_b32_e32 v16, 0
	s_waitcnt lgkmcnt(0)
	s_barrier
	s_and_saveexec_b64 s[30:31], s[0:1]
; %bb.9:                                ;   in Loop: Header=BB76_2 Depth=1
	ds_read_b32 v16, v11 offset:16380
; %bb.10:                               ;   in Loop: Header=BB76_2 Depth=1
	s_or_b64 exec, exec, s[30:31]
	s_waitcnt lgkmcnt(0)
	v_add_u32_e32 v4, v16, v4
	ds_bpermute_b32 v4, v12, v4
	ds_read_b32 v17, v9 offset:16412
	s_waitcnt lgkmcnt(1)
	v_cndmask_b32_e64 v4, v4, v16, s[6:7]
	s_waitcnt lgkmcnt(0)
	v_lshl_add_u32 v4, v17, 16, v4
	v_add_u32_e32 v5, v4, v5
	v_add_u32_e32 v6, v5, v6
	;; [unrolled: 1-line block ×7, first 2 shown]
	ds_write2_b64 v10, v[4:5], v[6:7] offset1:1
	ds_write2_b64 v10, v[16:17], v[1:2] offset0:2 offset1:3
	s_waitcnt lgkmcnt(0)
	s_barrier
	ds_write2st64_b32 v15, v9, v9 offset1:8
	ds_write2st64_b32 v15, v9, v9 offset0:16 offset1:24
	ds_write2st64_b32 v15, v9, v9 offset0:32 offset1:40
	ds_write_b32 v15, v9 offset:12288
	s_and_saveexec_b64 s[30:31], s[8:9]
; %bb.11:                               ;   in Loop: Header=BB76_2 Depth=1
	ds_write_b32 v15, v9 offset:14336
; %bb.12:                               ;   in Loop: Header=BB76_2 Depth=1
	s_or_b64 exec, exec, s[30:31]
	ds_read_u16 v16, v13
	s_waitcnt lgkmcnt(0)
	v_add_u16_e32 v1, 1, v16
	ds_write_b16 v13, v1
	s_waitcnt lgkmcnt(0)
	s_barrier
	ds_read2_b64 v[5:8], v10 offset1:1
	ds_read2_b64 v[1:4], v10 offset0:2 offset1:3
	s_waitcnt lgkmcnt(1)
	v_add_u32_e32 v17, v6, v5
	v_add3_u32 v17, v17, v7, v8
	s_waitcnt lgkmcnt(0)
	v_add3_u32 v17, v17, v1, v2
	v_add3_u32 v4, v17, v3, v4
	s_nop 1
	v_mov_b32_dpp v17, v4 row_shr:1 row_mask:0xf bank_mask:0xf
	v_cndmask_b32_e64 v17, v17, 0, s[10:11]
	v_add_u32_e32 v4, v17, v4
	s_nop 1
	v_mov_b32_dpp v17, v4 row_shr:2 row_mask:0xf bank_mask:0xf
	v_cndmask_b32_e64 v17, 0, v17, s[12:13]
	v_add_u32_e32 v4, v4, v17
	;; [unrolled: 4-line block ×4, first 2 shown]
	s_nop 1
	v_mov_b32_dpp v17, v4 row_bcast:15 row_mask:0xf bank_mask:0xf
	v_cndmask_b32_e64 v17, v17, 0, s[18:19]
	v_add_u32_e32 v4, v4, v17
	s_nop 1
	v_mov_b32_dpp v17, v4 row_bcast:31 row_mask:0xf bank_mask:0xf
	v_cndmask_b32_e64 v17, 0, v17, s[2:3]
	v_add_u32_e32 v4, v4, v17
	s_and_saveexec_b64 s[30:31], s[4:5]
; %bb.13:                               ;   in Loop: Header=BB76_2 Depth=1
	ds_write_b32 v11, v4 offset:16384
; %bb.14:                               ;   in Loop: Header=BB76_2 Depth=1
	s_or_b64 exec, exec, s[30:31]
	s_waitcnt lgkmcnt(0)
	s_barrier
	s_and_saveexec_b64 s[30:31], vcc
	s_cbranch_execz .LBB76_16
; %bb.15:                               ;   in Loop: Header=BB76_2 Depth=1
	ds_read_b32 v17, v15 offset:16384
	s_waitcnt lgkmcnt(0)
	s_nop 0
	v_mov_b32_dpp v18, v17 row_shr:1 row_mask:0xf bank_mask:0xf
	v_cndmask_b32_e64 v18, v18, 0, s[20:21]
	v_add_u32_e32 v17, v18, v17
	s_nop 1
	v_mov_b32_dpp v18, v17 row_shr:2 row_mask:0xf bank_mask:0xf
	v_cndmask_b32_e64 v18, 0, v18, s[22:23]
	v_add_u32_e32 v17, v17, v18
	s_nop 1
	v_mov_b32_dpp v18, v17 row_shr:4 row_mask:0xf bank_mask:0xf
	v_cndmask_b32_e64 v18, 0, v18, s[24:25]
	v_add_u32_e32 v17, v17, v18
	ds_write_b32 v15, v17 offset:16384
.LBB76_16:                              ;   in Loop: Header=BB76_2 Depth=1
	s_or_b64 exec, exec, s[30:31]
	v_mov_b32_e32 v17, 0
	s_waitcnt lgkmcnt(0)
	s_barrier
	s_and_saveexec_b64 s[30:31], s[0:1]
	s_cbranch_execz .LBB76_1
; %bb.17:                               ;   in Loop: Header=BB76_2 Depth=1
	ds_read_b32 v17, v11 offset:16380
	s_branch .LBB76_1
.LBB76_18:
	ds_read_u16 v1, v13
	s_lshl_b64 s[0:1], s[28:29], 2
	s_add_u32 s0, s26, s0
	s_addc_u32 s1, s27, s1
	v_lshlrev_b32_e32 v0, 2, v0
	s_waitcnt lgkmcnt(0)
	v_add_u32_sdwa v1, v1, v16 dst_sel:DWORD dst_unused:UNUSED_PAD src0_sel:DWORD src1_sel:WORD_0
	global_store_dword v0, v1, s[0:1]
	s_endpgm
	.section	.rodata,"a",@progbits
	.p2align	6, 0x0
	.amdhsa_kernel _Z11rank_kernelIhLj4ELb0EL18RadixRankAlgorithm1ELj512ELj1ELj10EEvPKT_Pi
		.amdhsa_group_segment_fixed_size 16416
		.amdhsa_private_segment_fixed_size 0
		.amdhsa_kernarg_size 16
		.amdhsa_user_sgpr_count 6
		.amdhsa_user_sgpr_private_segment_buffer 1
		.amdhsa_user_sgpr_dispatch_ptr 0
		.amdhsa_user_sgpr_queue_ptr 0
		.amdhsa_user_sgpr_kernarg_segment_ptr 1
		.amdhsa_user_sgpr_dispatch_id 0
		.amdhsa_user_sgpr_flat_scratch_init 0
		.amdhsa_user_sgpr_private_segment_size 0
		.amdhsa_uses_dynamic_stack 0
		.amdhsa_system_sgpr_private_segment_wavefront_offset 0
		.amdhsa_system_sgpr_workgroup_id_x 1
		.amdhsa_system_sgpr_workgroup_id_y 0
		.amdhsa_system_sgpr_workgroup_id_z 0
		.amdhsa_system_sgpr_workgroup_info 0
		.amdhsa_system_vgpr_workitem_id 0
		.amdhsa_next_free_vgpr 37
		.amdhsa_next_free_sgpr 93
		.amdhsa_reserve_vcc 1
		.amdhsa_reserve_flat_scratch 0
		.amdhsa_float_round_mode_32 0
		.amdhsa_float_round_mode_16_64 0
		.amdhsa_float_denorm_mode_32 3
		.amdhsa_float_denorm_mode_16_64 3
		.amdhsa_dx10_clamp 1
		.amdhsa_ieee_mode 1
		.amdhsa_fp16_overflow 0
		.amdhsa_exception_fp_ieee_invalid_op 0
		.amdhsa_exception_fp_denorm_src 0
		.amdhsa_exception_fp_ieee_div_zero 0
		.amdhsa_exception_fp_ieee_overflow 0
		.amdhsa_exception_fp_ieee_underflow 0
		.amdhsa_exception_fp_ieee_inexact 0
		.amdhsa_exception_int_div_zero 0
	.end_amdhsa_kernel
	.section	.text._Z11rank_kernelIhLj4ELb0EL18RadixRankAlgorithm1ELj512ELj1ELj10EEvPKT_Pi,"axG",@progbits,_Z11rank_kernelIhLj4ELb0EL18RadixRankAlgorithm1ELj512ELj1ELj10EEvPKT_Pi,comdat
.Lfunc_end76:
	.size	_Z11rank_kernelIhLj4ELb0EL18RadixRankAlgorithm1ELj512ELj1ELj10EEvPKT_Pi, .Lfunc_end76-_Z11rank_kernelIhLj4ELb0EL18RadixRankAlgorithm1ELj512ELj1ELj10EEvPKT_Pi
                                        ; -- End function
	.set _Z11rank_kernelIhLj4ELb0EL18RadixRankAlgorithm1ELj512ELj1ELj10EEvPKT_Pi.num_vgpr, 19
	.set _Z11rank_kernelIhLj4ELb0EL18RadixRankAlgorithm1ELj512ELj1ELj10EEvPKT_Pi.num_agpr, 0
	.set _Z11rank_kernelIhLj4ELb0EL18RadixRankAlgorithm1ELj512ELj1ELj10EEvPKT_Pi.numbered_sgpr, 34
	.set _Z11rank_kernelIhLj4ELb0EL18RadixRankAlgorithm1ELj512ELj1ELj10EEvPKT_Pi.num_named_barrier, 0
	.set _Z11rank_kernelIhLj4ELb0EL18RadixRankAlgorithm1ELj512ELj1ELj10EEvPKT_Pi.private_seg_size, 0
	.set _Z11rank_kernelIhLj4ELb0EL18RadixRankAlgorithm1ELj512ELj1ELj10EEvPKT_Pi.uses_vcc, 1
	.set _Z11rank_kernelIhLj4ELb0EL18RadixRankAlgorithm1ELj512ELj1ELj10EEvPKT_Pi.uses_flat_scratch, 0
	.set _Z11rank_kernelIhLj4ELb0EL18RadixRankAlgorithm1ELj512ELj1ELj10EEvPKT_Pi.has_dyn_sized_stack, 0
	.set _Z11rank_kernelIhLj4ELb0EL18RadixRankAlgorithm1ELj512ELj1ELj10EEvPKT_Pi.has_recursion, 0
	.set _Z11rank_kernelIhLj4ELb0EL18RadixRankAlgorithm1ELj512ELj1ELj10EEvPKT_Pi.has_indirect_call, 0
	.section	.AMDGPU.csdata,"",@progbits
; Kernel info:
; codeLenInByte = 1440
; TotalNumSgprs: 38
; NumVgprs: 19
; ScratchSize: 0
; MemoryBound: 0
; FloatMode: 240
; IeeeMode: 1
; LDSByteSize: 16416 bytes/workgroup (compile time only)
; SGPRBlocks: 12
; VGPRBlocks: 9
; NumSGPRsForWavesPerEU: 97
; NumVGPRsForWavesPerEU: 37
; Occupancy: 6
; WaveLimiterHint : 0
; COMPUTE_PGM_RSRC2:SCRATCH_EN: 0
; COMPUTE_PGM_RSRC2:USER_SGPR: 6
; COMPUTE_PGM_RSRC2:TRAP_HANDLER: 0
; COMPUTE_PGM_RSRC2:TGID_X_EN: 1
; COMPUTE_PGM_RSRC2:TGID_Y_EN: 0
; COMPUTE_PGM_RSRC2:TGID_Z_EN: 0
; COMPUTE_PGM_RSRC2:TIDIG_COMP_CNT: 0
	.section	.text._Z11rank_kernelIhLj4ELb0EL18RadixRankAlgorithm2ELj512ELj1ELj10EEvPKT_Pi,"axG",@progbits,_Z11rank_kernelIhLj4ELb0EL18RadixRankAlgorithm2ELj512ELj1ELj10EEvPKT_Pi,comdat
	.protected	_Z11rank_kernelIhLj4ELb0EL18RadixRankAlgorithm2ELj512ELj1ELj10EEvPKT_Pi ; -- Begin function _Z11rank_kernelIhLj4ELb0EL18RadixRankAlgorithm2ELj512ELj1ELj10EEvPKT_Pi
	.globl	_Z11rank_kernelIhLj4ELb0EL18RadixRankAlgorithm2ELj512ELj1ELj10EEvPKT_Pi
	.p2align	8
	.type	_Z11rank_kernelIhLj4ELb0EL18RadixRankAlgorithm2ELj512ELj1ELj10EEvPKT_Pi,@function
_Z11rank_kernelIhLj4ELb0EL18RadixRankAlgorithm2ELj512ELj1ELj10EEvPKT_Pi: ; @_Z11rank_kernelIhLj4ELb0EL18RadixRankAlgorithm2ELj512ELj1ELj10EEvPKT_Pi
; %bb.0:
	s_load_dwordx4 s[44:47], s[4:5], 0x0
	s_load_dword s22, s[4:5], 0x1c
	s_lshl_b32 s48, s6, 9
	v_mbcnt_lo_u32_b32 v4, -1, 0
	v_mbcnt_hi_u32_b32 v4, -1, v4
	s_waitcnt lgkmcnt(0)
	s_add_u32 s0, s44, s48
	s_addc_u32 s1, s45, 0
	global_load_ubyte v14, v0, s[0:1]
	s_lshr_b32 s23, s22, 16
	s_and_b32 s22, s22, 0xffff
	v_mad_u32_u24 v1, v2, s23, v1
	v_mad_u64_u32 v[1:2], s[22:23], v1, s22, v[0:1]
	v_subrev_co_u32_e64 v10, s[6:7], 1, v4
	v_and_b32_e32 v11, 64, v4
	v_or_b32_e32 v6, 63, v0
	v_lshrrev_b32_e32 v7, 4, v0
	v_and_b32_e32 v9, 16, v4
	v_cmp_lt_i32_e64 s[18:19], v10, v11
	v_lshrrev_b32_e32 v1, 4, v1
	v_and_b32_e32 v8, 15, v4
	v_cmp_lt_u32_e64 s[2:3], 31, v4
	v_cmp_eq_u32_e64 s[4:5], v0, v6
	v_and_b32_e32 v6, 28, v7
	v_and_b32_e32 v7, 7, v4
	v_cmp_eq_u32_e64 s[16:17], 0, v9
	v_cndmask_b32_e64 v4, v10, v4, s[18:19]
	v_and_b32_e32 v9, 0xffffffc, v1
	v_mov_b32_e32 v3, 0
	v_cmp_eq_u32_e64 s[8:9], 0, v8
	v_cmp_lt_u32_e64 s[10:11], 1, v8
	v_cmp_lt_u32_e64 s[12:13], 3, v8
	;; [unrolled: 1-line block ×3, first 2 shown]
	v_lshlrev_b32_e32 v8, 2, v4
	s_mov_b32 s49, 0
	s_mov_b32 s33, 10
	v_lshlrev_b32_e32 v5, 2, v0
	v_cmp_gt_u32_e32 vcc, 8, v0
	v_cmp_lt_u32_e64 s[0:1], 63, v0
	v_cmp_eq_u32_e64 s[18:19], 0, v7
	v_cmp_lt_u32_e64 s[20:21], 1, v7
	v_cmp_lt_u32_e64 s[22:23], 3, v7
	v_add_u32_e32 v7, -4, v6
	s_waitcnt vmcnt(0)
	v_and_b32_e32 v13, 1, v14
	v_lshrrev_b32_e32 v1, 4, v14
	v_add_co_u32_e64 v11, s[24:25], -1, v13
	v_lshlrev_b32_e32 v4, 30, v14
	v_addc_co_u32_e64 v12, s[24:25], 0, -1, s[24:25]
	v_and_b32_e32 v15, 1, v1
	v_and_b32_e32 v2, 15, v14
	v_cmp_eq_u32_e64 s[24:25], 1, v13
	v_cmp_gt_i64_e64 s[26:27], 0, v[3:4]
	v_not_b32_e32 v13, v4
	v_lshlrev_b32_e32 v4, 29, v14
	v_cmp_eq_u32_e64 s[30:31], 1, v15
	v_add_co_u32_e64 v15, s[34:35], -1, v15
	v_mul_u32_u24_e32 v2, 36, v2
	v_cmp_gt_i64_e64 s[28:29], 0, v[3:4]
	v_not_b32_e32 v17, v4
	v_lshlrev_b32_e32 v4, 28, v14
	v_addc_co_u32_e64 v16, s[34:35], 0, -1, s[34:35]
	v_add_u32_e32 v14, v9, v2
	v_cmp_gt_i64_e64 s[34:35], 0, v[3:4]
	v_not_b32_e32 v2, v4
	v_lshlrev_b32_e32 v4, 30, v1
	v_ashrrev_i32_e32 v19, 31, v2
	v_cmp_gt_i64_e64 s[36:37], 0, v[3:4]
	v_not_b32_e32 v2, v4
	v_lshlrev_b32_e32 v4, 29, v1
	v_ashrrev_i32_e32 v21, 31, v2
	v_cmp_gt_i64_e64 s[38:39], 0, v[3:4]
	v_not_b32_e32 v2, v4
	v_lshlrev_b32_e32 v4, 28, v1
	v_mul_u32_u24_e32 v10, 36, v1
	v_not_b32_e32 v1, v4
	v_ashrrev_i32_e32 v13, 31, v13
	v_ashrrev_i32_e32 v17, 31, v17
	;; [unrolled: 1-line block ×3, first 2 shown]
	v_cmp_gt_i64_e64 s[40:41], 0, v[3:4]
	v_ashrrev_i32_e32 v24, 31, v1
	v_mov_b32_e32 v18, v13
	v_mov_b32_e32 v20, v17
	;; [unrolled: 1-line block ×6, first 2 shown]
	s_branch .LBB77_2
.LBB77_1:                               ;   in Loop: Header=BB77_2 Depth=1
	s_or_b64 exec, exec, s[42:43]
	s_waitcnt lgkmcnt(0)
	v_add_u32_e32 v1, v2, v1
	ds_bpermute_b32 v1, v8, v1
	s_add_i32 s33, s33, -1
	s_cmp_eq_u32 s33, 0
	s_waitcnt lgkmcnt(0)
	v_cndmask_b32_e64 v1, v1, v2, s[6:7]
	ds_write_b32 v5, v1 offset:32
	s_waitcnt lgkmcnt(0)
	s_barrier
	s_cbranch_scc1 .LBB77_18
.LBB77_2:                               ; =>This Inner Loop Header: Depth=1
	v_cndmask_b32_e64 v1, 0, 1, s[24:25]
	v_cmp_ne_u32_e64 s[42:43], 0, v1
	v_cndmask_b32_e64 v27, 0, 1, s[26:27]
	v_xor_b32_e32 v1, s43, v12
	v_xor_b32_e32 v2, s42, v11
	v_cmp_ne_u32_e64 s[42:43], 0, v27
	v_and_b32_e32 v1, exec_hi, v1
	v_xor_b32_e32 v27, s43, v18
	v_and_b32_e32 v1, v1, v27
	v_cndmask_b32_e64 v27, 0, 1, s[28:29]
	v_and_b32_e32 v2, exec_lo, v2
	v_xor_b32_e32 v28, s42, v13
	v_cmp_ne_u32_e64 s[42:43], 0, v27
	v_and_b32_e32 v2, v2, v28
	v_xor_b32_e32 v27, s43, v20
	v_xor_b32_e32 v28, s42, v17
	v_and_b32_e32 v1, v1, v27
	v_and_b32_e32 v27, v2, v28
	v_cndmask_b32_e64 v2, 0, 1, s[34:35]
	v_cmp_ne_u32_e64 s[42:43], 0, v2
	v_xor_b32_e32 v2, s43, v22
	v_xor_b32_e32 v28, s42, v19
	v_and_b32_e32 v2, v1, v2
	v_and_b32_e32 v1, v27, v28
	v_mbcnt_lo_u32_b32 v27, v1, 0
	v_mbcnt_hi_u32_b32 v27, v2, v27
	v_cmp_ne_u64_e64 s[42:43], 0, v[1:2]
	v_cmp_eq_u32_e64 s[44:45], 0, v27
	s_and_b64 s[44:45], s[42:43], s[44:45]
	ds_write_b32 v5, v3 offset:32
	s_waitcnt lgkmcnt(0)
	s_barrier
	; wave barrier
	s_and_saveexec_b64 s[42:43], s[44:45]
; %bb.3:                                ;   in Loop: Header=BB77_2 Depth=1
	v_bcnt_u32_b32 v1, v1, 0
	v_bcnt_u32_b32 v1, v2, v1
	ds_write_b32 v14, v1 offset:32
; %bb.4:                                ;   in Loop: Header=BB77_2 Depth=1
	s_or_b64 exec, exec, s[42:43]
	; wave barrier
	s_waitcnt lgkmcnt(0)
	s_barrier
	ds_read_b32 v1, v5 offset:32
	s_waitcnt lgkmcnt(0)
	s_nop 0
	v_mov_b32_dpp v2, v1 row_shr:1 row_mask:0xf bank_mask:0xf
	v_cndmask_b32_e64 v2, v2, 0, s[8:9]
	v_add_u32_e32 v1, v2, v1
	s_nop 1
	v_mov_b32_dpp v2, v1 row_shr:2 row_mask:0xf bank_mask:0xf
	v_cndmask_b32_e64 v2, 0, v2, s[10:11]
	v_add_u32_e32 v1, v1, v2
	;; [unrolled: 4-line block ×4, first 2 shown]
	s_nop 1
	v_mov_b32_dpp v2, v1 row_bcast:15 row_mask:0xf bank_mask:0xf
	v_cndmask_b32_e64 v2, v2, 0, s[16:17]
	v_add_u32_e32 v1, v1, v2
	s_nop 1
	v_mov_b32_dpp v2, v1 row_bcast:31 row_mask:0xf bank_mask:0xf
	v_cndmask_b32_e64 v2, 0, v2, s[2:3]
	v_add_u32_e32 v1, v1, v2
	s_and_saveexec_b64 s[42:43], s[4:5]
; %bb.5:                                ;   in Loop: Header=BB77_2 Depth=1
	ds_write_b32 v6, v1
; %bb.6:                                ;   in Loop: Header=BB77_2 Depth=1
	s_or_b64 exec, exec, s[42:43]
	s_waitcnt lgkmcnt(0)
	s_barrier
	s_and_saveexec_b64 s[42:43], vcc
	s_cbranch_execz .LBB77_8
; %bb.7:                                ;   in Loop: Header=BB77_2 Depth=1
	ds_read_b32 v2, v5
	s_waitcnt lgkmcnt(0)
	s_nop 0
	v_mov_b32_dpp v27, v2 row_shr:1 row_mask:0xf bank_mask:0xf
	v_cndmask_b32_e64 v27, v27, 0, s[18:19]
	v_add_u32_e32 v2, v27, v2
	s_nop 1
	v_mov_b32_dpp v27, v2 row_shr:2 row_mask:0xf bank_mask:0xf
	v_cndmask_b32_e64 v27, 0, v27, s[20:21]
	v_add_u32_e32 v2, v2, v27
	;; [unrolled: 4-line block ×3, first 2 shown]
	ds_write_b32 v5, v2
.LBB77_8:                               ;   in Loop: Header=BB77_2 Depth=1
	s_or_b64 exec, exec, s[42:43]
	v_mov_b32_e32 v2, 0
	s_waitcnt lgkmcnt(0)
	s_barrier
	s_and_saveexec_b64 s[42:43], s[0:1]
; %bb.9:                                ;   in Loop: Header=BB77_2 Depth=1
	ds_read_b32 v2, v7
; %bb.10:                               ;   in Loop: Header=BB77_2 Depth=1
	s_or_b64 exec, exec, s[42:43]
	s_waitcnt lgkmcnt(0)
	v_add_u32_e32 v1, v2, v1
	ds_bpermute_b32 v1, v8, v1
	v_cndmask_b32_e64 v27, 0, 1, s[36:37]
	s_waitcnt lgkmcnt(0)
	v_cndmask_b32_e64 v1, v1, v2, s[6:7]
	ds_write_b32 v5, v1 offset:32
	v_cndmask_b32_e64 v1, 0, 1, s[30:31]
	v_cmp_ne_u32_e64 s[42:43], 0, v1
	v_xor_b32_e32 v1, s43, v16
	v_xor_b32_e32 v2, s42, v15
	v_cmp_ne_u32_e64 s[42:43], 0, v27
	v_and_b32_e32 v1, exec_hi, v1
	v_xor_b32_e32 v27, s43, v4
	v_and_b32_e32 v1, v1, v27
	v_cndmask_b32_e64 v27, 0, 1, s[38:39]
	v_and_b32_e32 v2, exec_lo, v2
	v_xor_b32_e32 v28, s42, v21
	v_cmp_ne_u32_e64 s[42:43], 0, v27
	v_and_b32_e32 v2, v2, v28
	v_xor_b32_e32 v27, s43, v25
	v_xor_b32_e32 v28, s42, v23
	v_and_b32_e32 v1, v1, v27
	v_and_b32_e32 v27, v2, v28
	v_cndmask_b32_e64 v2, 0, 1, s[40:41]
	v_cmp_ne_u32_e64 s[42:43], 0, v2
	v_xor_b32_e32 v2, s43, v26
	v_xor_b32_e32 v28, s42, v24
	v_and_b32_e32 v2, v1, v2
	v_and_b32_e32 v1, v27, v28
	v_mbcnt_lo_u32_b32 v27, v1, 0
	v_mbcnt_hi_u32_b32 v27, v2, v27
	v_cmp_ne_u64_e64 s[42:43], 0, v[1:2]
	v_cmp_eq_u32_e64 s[44:45], 0, v27
	s_and_b64 s[44:45], s[42:43], s[44:45]
	s_waitcnt lgkmcnt(0)
	s_barrier
	ds_write_b32 v5, v3 offset:32
	s_waitcnt lgkmcnt(0)
	s_barrier
	; wave barrier
	s_and_saveexec_b64 s[42:43], s[44:45]
; %bb.11:                               ;   in Loop: Header=BB77_2 Depth=1
	v_bcnt_u32_b32 v1, v1, 0
	v_bcnt_u32_b32 v1, v2, v1
	v_add_u32_e32 v2, v9, v10
	ds_write_b32 v2, v1 offset:32
; %bb.12:                               ;   in Loop: Header=BB77_2 Depth=1
	s_or_b64 exec, exec, s[42:43]
	; wave barrier
	s_waitcnt lgkmcnt(0)
	s_barrier
	ds_read_b32 v1, v5 offset:32
	s_waitcnt lgkmcnt(0)
	s_nop 0
	v_mov_b32_dpp v2, v1 row_shr:1 row_mask:0xf bank_mask:0xf
	v_cndmask_b32_e64 v2, v2, 0, s[8:9]
	v_add_u32_e32 v1, v2, v1
	s_nop 1
	v_mov_b32_dpp v2, v1 row_shr:2 row_mask:0xf bank_mask:0xf
	v_cndmask_b32_e64 v2, 0, v2, s[10:11]
	v_add_u32_e32 v1, v1, v2
	;; [unrolled: 4-line block ×4, first 2 shown]
	s_nop 1
	v_mov_b32_dpp v2, v1 row_bcast:15 row_mask:0xf bank_mask:0xf
	v_cndmask_b32_e64 v2, v2, 0, s[16:17]
	v_add_u32_e32 v1, v1, v2
	s_nop 1
	v_mov_b32_dpp v2, v1 row_bcast:31 row_mask:0xf bank_mask:0xf
	v_cndmask_b32_e64 v2, 0, v2, s[2:3]
	v_add_u32_e32 v1, v1, v2
	s_and_saveexec_b64 s[42:43], s[4:5]
; %bb.13:                               ;   in Loop: Header=BB77_2 Depth=1
	ds_write_b32 v6, v1
; %bb.14:                               ;   in Loop: Header=BB77_2 Depth=1
	s_or_b64 exec, exec, s[42:43]
	s_waitcnt lgkmcnt(0)
	s_barrier
	s_and_saveexec_b64 s[42:43], vcc
	s_cbranch_execz .LBB77_16
; %bb.15:                               ;   in Loop: Header=BB77_2 Depth=1
	ds_read_b32 v2, v5
	s_waitcnt lgkmcnt(0)
	s_nop 0
	v_mov_b32_dpp v28, v2 row_shr:1 row_mask:0xf bank_mask:0xf
	v_cndmask_b32_e64 v28, v28, 0, s[18:19]
	v_add_u32_e32 v2, v28, v2
	s_nop 1
	v_mov_b32_dpp v28, v2 row_shr:2 row_mask:0xf bank_mask:0xf
	v_cndmask_b32_e64 v28, 0, v28, s[20:21]
	v_add_u32_e32 v2, v2, v28
	;; [unrolled: 4-line block ×3, first 2 shown]
	ds_write_b32 v5, v2
.LBB77_16:                              ;   in Loop: Header=BB77_2 Depth=1
	s_or_b64 exec, exec, s[42:43]
	v_mov_b32_e32 v2, 0
	s_waitcnt lgkmcnt(0)
	s_barrier
	s_and_saveexec_b64 s[42:43], s[0:1]
	s_cbranch_execz .LBB77_1
; %bb.17:                               ;   in Loop: Header=BB77_2 Depth=1
	ds_read_b32 v2, v7
	s_branch .LBB77_1
.LBB77_18:
	v_add_u32_e32 v1, v9, v10
	ds_read_b32 v1, v1 offset:32
	s_lshl_b64 s[0:1], s[48:49], 2
	s_add_u32 s0, s46, s0
	s_addc_u32 s1, s47, s1
	v_lshlrev_b32_e32 v0, 2, v0
	s_waitcnt lgkmcnt(0)
	v_add_u32_e32 v1, v1, v27
	global_store_dword v0, v1, s[0:1]
	s_endpgm
	.section	.rodata,"a",@progbits
	.p2align	6, 0x0
	.amdhsa_kernel _Z11rank_kernelIhLj4ELb0EL18RadixRankAlgorithm2ELj512ELj1ELj10EEvPKT_Pi
		.amdhsa_group_segment_fixed_size 2080
		.amdhsa_private_segment_fixed_size 0
		.amdhsa_kernarg_size 272
		.amdhsa_user_sgpr_count 6
		.amdhsa_user_sgpr_private_segment_buffer 1
		.amdhsa_user_sgpr_dispatch_ptr 0
		.amdhsa_user_sgpr_queue_ptr 0
		.amdhsa_user_sgpr_kernarg_segment_ptr 1
		.amdhsa_user_sgpr_dispatch_id 0
		.amdhsa_user_sgpr_flat_scratch_init 0
		.amdhsa_user_sgpr_private_segment_size 0
		.amdhsa_uses_dynamic_stack 0
		.amdhsa_system_sgpr_private_segment_wavefront_offset 0
		.amdhsa_system_sgpr_workgroup_id_x 1
		.amdhsa_system_sgpr_workgroup_id_y 0
		.amdhsa_system_sgpr_workgroup_id_z 0
		.amdhsa_system_sgpr_workgroup_info 0
		.amdhsa_system_vgpr_workitem_id 2
		.amdhsa_next_free_vgpr 29
		.amdhsa_next_free_sgpr 50
		.amdhsa_reserve_vcc 1
		.amdhsa_reserve_flat_scratch 0
		.amdhsa_float_round_mode_32 0
		.amdhsa_float_round_mode_16_64 0
		.amdhsa_float_denorm_mode_32 3
		.amdhsa_float_denorm_mode_16_64 3
		.amdhsa_dx10_clamp 1
		.amdhsa_ieee_mode 1
		.amdhsa_fp16_overflow 0
		.amdhsa_exception_fp_ieee_invalid_op 0
		.amdhsa_exception_fp_denorm_src 0
		.amdhsa_exception_fp_ieee_div_zero 0
		.amdhsa_exception_fp_ieee_overflow 0
		.amdhsa_exception_fp_ieee_underflow 0
		.amdhsa_exception_fp_ieee_inexact 0
		.amdhsa_exception_int_div_zero 0
	.end_amdhsa_kernel
	.section	.text._Z11rank_kernelIhLj4ELb0EL18RadixRankAlgorithm2ELj512ELj1ELj10EEvPKT_Pi,"axG",@progbits,_Z11rank_kernelIhLj4ELb0EL18RadixRankAlgorithm2ELj512ELj1ELj10EEvPKT_Pi,comdat
.Lfunc_end77:
	.size	_Z11rank_kernelIhLj4ELb0EL18RadixRankAlgorithm2ELj512ELj1ELj10EEvPKT_Pi, .Lfunc_end77-_Z11rank_kernelIhLj4ELb0EL18RadixRankAlgorithm2ELj512ELj1ELj10EEvPKT_Pi
                                        ; -- End function
	.set _Z11rank_kernelIhLj4ELb0EL18RadixRankAlgorithm2ELj512ELj1ELj10EEvPKT_Pi.num_vgpr, 29
	.set _Z11rank_kernelIhLj4ELb0EL18RadixRankAlgorithm2ELj512ELj1ELj10EEvPKT_Pi.num_agpr, 0
	.set _Z11rank_kernelIhLj4ELb0EL18RadixRankAlgorithm2ELj512ELj1ELj10EEvPKT_Pi.numbered_sgpr, 50
	.set _Z11rank_kernelIhLj4ELb0EL18RadixRankAlgorithm2ELj512ELj1ELj10EEvPKT_Pi.num_named_barrier, 0
	.set _Z11rank_kernelIhLj4ELb0EL18RadixRankAlgorithm2ELj512ELj1ELj10EEvPKT_Pi.private_seg_size, 0
	.set _Z11rank_kernelIhLj4ELb0EL18RadixRankAlgorithm2ELj512ELj1ELj10EEvPKT_Pi.uses_vcc, 1
	.set _Z11rank_kernelIhLj4ELb0EL18RadixRankAlgorithm2ELj512ELj1ELj10EEvPKT_Pi.uses_flat_scratch, 0
	.set _Z11rank_kernelIhLj4ELb0EL18RadixRankAlgorithm2ELj512ELj1ELj10EEvPKT_Pi.has_dyn_sized_stack, 0
	.set _Z11rank_kernelIhLj4ELb0EL18RadixRankAlgorithm2ELj512ELj1ELj10EEvPKT_Pi.has_recursion, 0
	.set _Z11rank_kernelIhLj4ELb0EL18RadixRankAlgorithm2ELj512ELj1ELj10EEvPKT_Pi.has_indirect_call, 0
	.section	.AMDGPU.csdata,"",@progbits
; Kernel info:
; codeLenInByte = 1716
; TotalNumSgprs: 54
; NumVgprs: 29
; ScratchSize: 0
; MemoryBound: 0
; FloatMode: 240
; IeeeMode: 1
; LDSByteSize: 2080 bytes/workgroup (compile time only)
; SGPRBlocks: 6
; VGPRBlocks: 7
; NumSGPRsForWavesPerEU: 54
; NumVGPRsForWavesPerEU: 29
; Occupancy: 8
; WaveLimiterHint : 0
; COMPUTE_PGM_RSRC2:SCRATCH_EN: 0
; COMPUTE_PGM_RSRC2:USER_SGPR: 6
; COMPUTE_PGM_RSRC2:TRAP_HANDLER: 0
; COMPUTE_PGM_RSRC2:TGID_X_EN: 1
; COMPUTE_PGM_RSRC2:TGID_Y_EN: 0
; COMPUTE_PGM_RSRC2:TGID_Z_EN: 0
; COMPUTE_PGM_RSRC2:TIDIG_COMP_CNT: 2
	.section	.text._Z11rank_kernelIhLj4ELb0EL18RadixRankAlgorithm0ELj512ELj4ELj10EEvPKT_Pi,"axG",@progbits,_Z11rank_kernelIhLj4ELb0EL18RadixRankAlgorithm0ELj512ELj4ELj10EEvPKT_Pi,comdat
	.protected	_Z11rank_kernelIhLj4ELb0EL18RadixRankAlgorithm0ELj512ELj4ELj10EEvPKT_Pi ; -- Begin function _Z11rank_kernelIhLj4ELb0EL18RadixRankAlgorithm0ELj512ELj4ELj10EEvPKT_Pi
	.globl	_Z11rank_kernelIhLj4ELb0EL18RadixRankAlgorithm0ELj512ELj4ELj10EEvPKT_Pi
	.p2align	8
	.type	_Z11rank_kernelIhLj4ELb0EL18RadixRankAlgorithm0ELj512ELj4ELj10EEvPKT_Pi,@function
_Z11rank_kernelIhLj4ELb0EL18RadixRankAlgorithm0ELj512ELj4ELj10EEvPKT_Pi: ; @_Z11rank_kernelIhLj4ELb0EL18RadixRankAlgorithm0ELj512ELj4ELj10EEvPKT_Pi
; %bb.0:
	s_load_dwordx4 s[24:27], s[4:5], 0x0
	s_lshl_b32 s28, s6, 11
	v_lshlrev_b32_e32 v1, 2, v0
	v_mbcnt_lo_u32_b32 v4, -1, 0
	v_mbcnt_hi_u32_b32 v5, -1, v4
	s_waitcnt lgkmcnt(0)
	s_add_u32 s0, s24, s28
	s_addc_u32 s1, s25, 0
	global_load_dword v8, v1, s[0:1]
	v_or_b32_e32 v4, 63, v0
	v_lshrrev_b32_e32 v6, 4, v0
	v_subrev_co_u32_e64 v11, s[6:7], 1, v5
	v_and_b32_e32 v12, 64, v5
	s_movk_i32 s30, 0xe00
	v_or_b32_e32 v7, 0xc00, v0
	v_and_b32_e32 v9, 15, v5
	v_and_b32_e32 v10, 16, v5
	v_cmp_eq_u32_e64 s[4:5], v0, v4
	v_and_b32_e32 v4, 28, v6
	v_and_b32_e32 v6, 7, v5
	v_cmp_lt_i32_e64 s[20:21], v11, v12
	v_cmp_lt_u32_e64 s[2:3], 31, v5
	v_cmp_gt_u32_e64 s[8:9], s30, v7
	v_cmp_eq_u32_e64 s[10:11], 0, v9
	v_cmp_lt_u32_e64 s[12:13], 1, v9
	v_cmp_lt_u32_e64 s[14:15], 3, v9
	;; [unrolled: 1-line block ×3, first 2 shown]
	v_cmp_eq_u32_e64 s[18:19], 0, v10
	v_cndmask_b32_e64 v5, v11, v5, s[20:21]
	v_cmp_eq_u32_e64 s[20:21], 0, v6
	v_cmp_lt_u32_e64 s[22:23], 1, v6
	v_cmp_lt_u32_e64 s[24:25], 3, v6
	v_lshlrev_b32_e32 v3, 5, v0
	v_mul_i32_i24_e32 v13, 0xffffffe4, v0
	s_mov_b32 s29, 0
	v_mov_b32_e32 v2, 0
	s_mov_b32 s33, 10
	v_cmp_gt_u32_e32 vcc, 8, v0
	v_cmp_lt_u32_e64 s[0:1], 63, v0
	v_lshlrev_b32_e32 v5, 2, v5
	v_add_u32_e32 v13, v3, v13
	s_waitcnt vmcnt(0)
	v_lshrrev_b32_e32 v22, 19, v8
	v_lshlrev_b32_e32 v6, 5, v8
	v_lshrrev_b32_e32 v7, 6, v8
	v_lshlrev_b32_e32 v9, 9, v8
	;; [unrolled: 2-line block ×3, first 2 shown]
	v_lshrrev_b32_e32 v12, 10, v8
	v_lshrrev_b32_e32 v14, 7, v8
	;; [unrolled: 1-line block ×9, first 2 shown]
	v_and_or_b32 v22, v22, s30, v0
	v_and_or_b32 v6, v6, s30, v0
	v_and_b32_e32 v7, 2, v7
	v_and_or_b32 v9, v9, s30, v0
	v_and_b32_e32 v10, 2, v10
	;; [unrolled: 2-line block ×7, first 2 shown]
	v_alignbit_b32 v8, v22, v8, 30
	v_lshl_or_b32 v0, v6, 2, v7
	v_lshl_or_b32 v9, v9, 2, v10
	;; [unrolled: 1-line block ×7, first 2 shown]
	v_and_b32_e32 v8, 0x3ffe, v8
	s_branch .LBB78_2
.LBB78_1:                               ;   in Loop: Header=BB78_2 Depth=1
	s_or_b64 exec, exec, s[30:31]
	s_waitcnt lgkmcnt(0)
	v_add_u32_e32 v18, v19, v18
	ds_bpermute_b32 v18, v5, v18
	ds_read_b32 v26, v2 offset:16412
	ds_read2_b64 v[20:23], v3 offset1:1
	ds_read_b64 v[24:25], v3 offset:16
	ds_read_b32 v27, v3 offset:24
	s_add_i32 s33, s33, -1
	s_cmp_eq_u32 s33, 0
	s_waitcnt lgkmcnt(4)
	v_cndmask_b32_e64 v18, v18, v19, s[6:7]
	s_waitcnt lgkmcnt(3)
	v_lshl_add_u32 v18, v26, 16, v18
	s_waitcnt lgkmcnt(2)
	v_add_u32_e32 v19, v18, v20
	v_add_u32_e32 v20, v21, v19
	;; [unrolled: 1-line block ×3, first 2 shown]
	ds_write2_b64 v3, v[18:19], v[20:21] offset1:1
	v_add_u32_e32 v18, v23, v21
	s_waitcnt lgkmcnt(2)
	v_add_u32_e32 v19, v24, v18
	v_add_u32_e32 v20, v25, v19
	s_waitcnt lgkmcnt(1)
	v_add_u32_e32 v21, v27, v20
	ds_write2_b64 v3, v[18:19], v[20:21] offset0:2 offset1:3
	s_waitcnt lgkmcnt(0)
	s_barrier
	s_cbranch_scc1 .LBB78_18
.LBB78_2:                               ; =>This Inner Loop Header: Depth=1
	ds_write2st64_b32 v13, v2, v2 offset1:8
	ds_write2st64_b32 v13, v2, v2 offset0:16 offset1:24
	ds_write2st64_b32 v13, v2, v2 offset0:32 offset1:40
	ds_write_b32 v13, v2 offset:12288
	s_and_saveexec_b64 s[30:31], s[8:9]
; %bb.3:                                ;   in Loop: Header=BB78_2 Depth=1
	ds_write_b32 v13, v2 offset:14336
; %bb.4:                                ;   in Loop: Header=BB78_2 Depth=1
	s_or_b64 exec, exec, s[30:31]
	ds_read_u16 v14, v9
	s_waitcnt lgkmcnt(0)
	v_add_u16_e32 v14, 1, v14
	ds_write_b16 v9, v14
	ds_read_u16 v14, v10
	s_waitcnt lgkmcnt(0)
	v_add_u16_e32 v14, 1, v14
	ds_write_b16 v10, v14
	ds_read_u16 v14, v11
	s_waitcnt lgkmcnt(0)
	v_add_u16_e32 v14, 1, v14
	ds_write_b16 v11, v14
	ds_read_u16 v14, v12
	s_waitcnt lgkmcnt(0)
	v_add_u16_e32 v14, 1, v14
	ds_write_b16 v12, v14
	s_waitcnt lgkmcnt(0)
	s_barrier
	ds_read2_b64 v[14:17], v3 offset1:1
	ds_read2_b64 v[18:21], v3 offset0:2 offset1:3
	s_waitcnt lgkmcnt(1)
	v_add_u32_e32 v14, v15, v14
	v_add3_u32 v14, v14, v16, v17
	s_waitcnt lgkmcnt(0)
	v_add3_u32 v14, v14, v18, v19
	v_add3_u32 v14, v14, v20, v21
	s_nop 1
	v_mov_b32_dpp v15, v14 row_shr:1 row_mask:0xf bank_mask:0xf
	v_cndmask_b32_e64 v15, v15, 0, s[10:11]
	v_add_u32_e32 v14, v15, v14
	s_nop 1
	v_mov_b32_dpp v15, v14 row_shr:2 row_mask:0xf bank_mask:0xf
	v_cndmask_b32_e64 v15, 0, v15, s[12:13]
	v_add_u32_e32 v14, v14, v15
	;; [unrolled: 4-line block ×4, first 2 shown]
	s_nop 1
	v_mov_b32_dpp v15, v14 row_bcast:15 row_mask:0xf bank_mask:0xf
	v_cndmask_b32_e64 v15, v15, 0, s[18:19]
	v_add_u32_e32 v14, v14, v15
	s_nop 1
	v_mov_b32_dpp v15, v14 row_bcast:31 row_mask:0xf bank_mask:0xf
	v_cndmask_b32_e64 v15, 0, v15, s[2:3]
	v_add_u32_e32 v14, v14, v15
	s_and_saveexec_b64 s[30:31], s[4:5]
; %bb.5:                                ;   in Loop: Header=BB78_2 Depth=1
	ds_write_b32 v4, v14 offset:16384
; %bb.6:                                ;   in Loop: Header=BB78_2 Depth=1
	s_or_b64 exec, exec, s[30:31]
	s_waitcnt lgkmcnt(0)
	s_barrier
	s_and_saveexec_b64 s[30:31], vcc
	s_cbranch_execz .LBB78_8
; %bb.7:                                ;   in Loop: Header=BB78_2 Depth=1
	ds_read_b32 v15, v13 offset:16384
	s_waitcnt lgkmcnt(0)
	s_nop 0
	v_mov_b32_dpp v16, v15 row_shr:1 row_mask:0xf bank_mask:0xf
	v_cndmask_b32_e64 v16, v16, 0, s[20:21]
	v_add_u32_e32 v15, v16, v15
	s_nop 1
	v_mov_b32_dpp v16, v15 row_shr:2 row_mask:0xf bank_mask:0xf
	v_cndmask_b32_e64 v16, 0, v16, s[22:23]
	v_add_u32_e32 v15, v15, v16
	;; [unrolled: 4-line block ×3, first 2 shown]
	ds_write_b32 v13, v15 offset:16384
.LBB78_8:                               ;   in Loop: Header=BB78_2 Depth=1
	s_or_b64 exec, exec, s[30:31]
	v_mov_b32_e32 v15, 0
	s_waitcnt lgkmcnt(0)
	s_barrier
	s_and_saveexec_b64 s[30:31], s[0:1]
; %bb.9:                                ;   in Loop: Header=BB78_2 Depth=1
	ds_read_b32 v15, v4 offset:16380
; %bb.10:                               ;   in Loop: Header=BB78_2 Depth=1
	s_or_b64 exec, exec, s[30:31]
	s_waitcnt lgkmcnt(0)
	v_add_u32_e32 v14, v15, v14
	ds_bpermute_b32 v14, v5, v14
	ds_read_b32 v22, v2 offset:16412
	ds_read2_b64 v[16:19], v3 offset1:1
	ds_read_b64 v[20:21], v3 offset:16
	ds_read_b32 v23, v3 offset:24
	s_waitcnt lgkmcnt(4)
	v_cndmask_b32_e64 v14, v14, v15, s[6:7]
	s_waitcnt lgkmcnt(3)
	v_lshl_add_u32 v14, v22, 16, v14
	s_waitcnt lgkmcnt(2)
	v_add_u32_e32 v15, v14, v16
	v_add_u32_e32 v16, v17, v15
	;; [unrolled: 1-line block ×3, first 2 shown]
	ds_write2_b64 v3, v[14:15], v[16:17] offset1:1
	v_add_u32_e32 v14, v19, v17
	s_waitcnt lgkmcnt(2)
	v_add_u32_e32 v15, v20, v14
	v_add_u32_e32 v16, v21, v15
	s_waitcnt lgkmcnt(1)
	v_add_u32_e32 v17, v23, v16
	ds_write2_b64 v3, v[14:15], v[16:17] offset0:2 offset1:3
	s_waitcnt lgkmcnt(0)
	s_barrier
	ds_write2st64_b32 v13, v2, v2 offset1:8
	ds_write2st64_b32 v13, v2, v2 offset0:16 offset1:24
	ds_write2st64_b32 v13, v2, v2 offset0:32 offset1:40
	ds_write_b32 v13, v2 offset:12288
	s_and_saveexec_b64 s[30:31], s[8:9]
; %bb.11:                               ;   in Loop: Header=BB78_2 Depth=1
	ds_write_b32 v13, v2 offset:14336
; %bb.12:                               ;   in Loop: Header=BB78_2 Depth=1
	s_or_b64 exec, exec, s[30:31]
	ds_read_u16 v14, v0
	s_waitcnt lgkmcnt(0)
	v_add_u16_e32 v15, 1, v14
	ds_write_b16 v0, v15
	ds_read_u16 v15, v6
	s_waitcnt lgkmcnt(0)
	v_add_u16_e32 v16, 1, v15
	ds_write_b16 v6, v16
	;; [unrolled: 4-line block ×4, first 2 shown]
	s_waitcnt lgkmcnt(0)
	s_barrier
	ds_read2_b64 v[18:21], v3 offset1:1
	ds_read2_b64 v[22:25], v3 offset0:2 offset1:3
	s_waitcnt lgkmcnt(1)
	v_add_u32_e32 v18, v19, v18
	v_add3_u32 v18, v18, v20, v21
	s_waitcnt lgkmcnt(0)
	v_add3_u32 v18, v18, v22, v23
	v_add3_u32 v18, v18, v24, v25
	s_nop 1
	v_mov_b32_dpp v19, v18 row_shr:1 row_mask:0xf bank_mask:0xf
	v_cndmask_b32_e64 v19, v19, 0, s[10:11]
	v_add_u32_e32 v18, v19, v18
	s_nop 1
	v_mov_b32_dpp v19, v18 row_shr:2 row_mask:0xf bank_mask:0xf
	v_cndmask_b32_e64 v19, 0, v19, s[12:13]
	v_add_u32_e32 v18, v18, v19
	;; [unrolled: 4-line block ×4, first 2 shown]
	s_nop 1
	v_mov_b32_dpp v19, v18 row_bcast:15 row_mask:0xf bank_mask:0xf
	v_cndmask_b32_e64 v19, v19, 0, s[18:19]
	v_add_u32_e32 v18, v18, v19
	s_nop 1
	v_mov_b32_dpp v19, v18 row_bcast:31 row_mask:0xf bank_mask:0xf
	v_cndmask_b32_e64 v19, 0, v19, s[2:3]
	v_add_u32_e32 v18, v18, v19
	s_and_saveexec_b64 s[30:31], s[4:5]
; %bb.13:                               ;   in Loop: Header=BB78_2 Depth=1
	ds_write_b32 v4, v18 offset:16384
; %bb.14:                               ;   in Loop: Header=BB78_2 Depth=1
	s_or_b64 exec, exec, s[30:31]
	s_waitcnt lgkmcnt(0)
	s_barrier
	s_and_saveexec_b64 s[30:31], vcc
	s_cbranch_execz .LBB78_16
; %bb.15:                               ;   in Loop: Header=BB78_2 Depth=1
	ds_read_b32 v19, v13 offset:16384
	s_waitcnt lgkmcnt(0)
	s_nop 0
	v_mov_b32_dpp v20, v19 row_shr:1 row_mask:0xf bank_mask:0xf
	v_cndmask_b32_e64 v20, v20, 0, s[20:21]
	v_add_u32_e32 v19, v20, v19
	s_nop 1
	v_mov_b32_dpp v20, v19 row_shr:2 row_mask:0xf bank_mask:0xf
	v_cndmask_b32_e64 v20, 0, v20, s[22:23]
	v_add_u32_e32 v19, v19, v20
	;; [unrolled: 4-line block ×3, first 2 shown]
	ds_write_b32 v13, v19 offset:16384
.LBB78_16:                              ;   in Loop: Header=BB78_2 Depth=1
	s_or_b64 exec, exec, s[30:31]
	v_mov_b32_e32 v19, 0
	s_waitcnt lgkmcnt(0)
	s_barrier
	s_and_saveexec_b64 s[30:31], s[0:1]
	s_cbranch_execz .LBB78_1
; %bb.17:                               ;   in Loop: Header=BB78_2 Depth=1
	ds_read_b32 v19, v4 offset:16380
	s_branch .LBB78_1
.LBB78_18:
	ds_read_u16 v0, v0
	ds_read_u16 v3, v6
	;; [unrolled: 1-line block ×4, first 2 shown]
	s_lshl_b64 s[0:1], s[28:29], 2
	s_add_u32 s0, s26, s0
	s_waitcnt lgkmcnt(3)
	v_add_u32_sdwa v2, v0, v14 dst_sel:DWORD dst_unused:UNUSED_PAD src0_sel:DWORD src1_sel:WORD_0
	s_waitcnt lgkmcnt(2)
	v_add_u32_sdwa v3, v3, v15 dst_sel:DWORD dst_unused:UNUSED_PAD src0_sel:DWORD src1_sel:WORD_0
	;; [unrolled: 2-line block ×4, first 2 shown]
	s_addc_u32 s1, s27, s1
	v_lshlrev_b32_e32 v0, 2, v1
	global_store_dwordx4 v0, v[2:5], s[0:1]
	s_endpgm
	.section	.rodata,"a",@progbits
	.p2align	6, 0x0
	.amdhsa_kernel _Z11rank_kernelIhLj4ELb0EL18RadixRankAlgorithm0ELj512ELj4ELj10EEvPKT_Pi
		.amdhsa_group_segment_fixed_size 16416
		.amdhsa_private_segment_fixed_size 0
		.amdhsa_kernarg_size 16
		.amdhsa_user_sgpr_count 6
		.amdhsa_user_sgpr_private_segment_buffer 1
		.amdhsa_user_sgpr_dispatch_ptr 0
		.amdhsa_user_sgpr_queue_ptr 0
		.amdhsa_user_sgpr_kernarg_segment_ptr 1
		.amdhsa_user_sgpr_dispatch_id 0
		.amdhsa_user_sgpr_flat_scratch_init 0
		.amdhsa_user_sgpr_private_segment_size 0
		.amdhsa_uses_dynamic_stack 0
		.amdhsa_system_sgpr_private_segment_wavefront_offset 0
		.amdhsa_system_sgpr_workgroup_id_x 1
		.amdhsa_system_sgpr_workgroup_id_y 0
		.amdhsa_system_sgpr_workgroup_id_z 0
		.amdhsa_system_sgpr_workgroup_info 0
		.amdhsa_system_vgpr_workitem_id 0
		.amdhsa_next_free_vgpr 37
		.amdhsa_next_free_sgpr 93
		.amdhsa_reserve_vcc 1
		.amdhsa_reserve_flat_scratch 0
		.amdhsa_float_round_mode_32 0
		.amdhsa_float_round_mode_16_64 0
		.amdhsa_float_denorm_mode_32 3
		.amdhsa_float_denorm_mode_16_64 3
		.amdhsa_dx10_clamp 1
		.amdhsa_ieee_mode 1
		.amdhsa_fp16_overflow 0
		.amdhsa_exception_fp_ieee_invalid_op 0
		.amdhsa_exception_fp_denorm_src 0
		.amdhsa_exception_fp_ieee_div_zero 0
		.amdhsa_exception_fp_ieee_overflow 0
		.amdhsa_exception_fp_ieee_underflow 0
		.amdhsa_exception_fp_ieee_inexact 0
		.amdhsa_exception_int_div_zero 0
	.end_amdhsa_kernel
	.section	.text._Z11rank_kernelIhLj4ELb0EL18RadixRankAlgorithm0ELj512ELj4ELj10EEvPKT_Pi,"axG",@progbits,_Z11rank_kernelIhLj4ELb0EL18RadixRankAlgorithm0ELj512ELj4ELj10EEvPKT_Pi,comdat
.Lfunc_end78:
	.size	_Z11rank_kernelIhLj4ELb0EL18RadixRankAlgorithm0ELj512ELj4ELj10EEvPKT_Pi, .Lfunc_end78-_Z11rank_kernelIhLj4ELb0EL18RadixRankAlgorithm0ELj512ELj4ELj10EEvPKT_Pi
                                        ; -- End function
	.set _Z11rank_kernelIhLj4ELb0EL18RadixRankAlgorithm0ELj512ELj4ELj10EEvPKT_Pi.num_vgpr, 28
	.set _Z11rank_kernelIhLj4ELb0EL18RadixRankAlgorithm0ELj512ELj4ELj10EEvPKT_Pi.num_agpr, 0
	.set _Z11rank_kernelIhLj4ELb0EL18RadixRankAlgorithm0ELj512ELj4ELj10EEvPKT_Pi.numbered_sgpr, 34
	.set _Z11rank_kernelIhLj4ELb0EL18RadixRankAlgorithm0ELj512ELj4ELj10EEvPKT_Pi.num_named_barrier, 0
	.set _Z11rank_kernelIhLj4ELb0EL18RadixRankAlgorithm0ELj512ELj4ELj10EEvPKT_Pi.private_seg_size, 0
	.set _Z11rank_kernelIhLj4ELb0EL18RadixRankAlgorithm0ELj512ELj4ELj10EEvPKT_Pi.uses_vcc, 1
	.set _Z11rank_kernelIhLj4ELb0EL18RadixRankAlgorithm0ELj512ELj4ELj10EEvPKT_Pi.uses_flat_scratch, 0
	.set _Z11rank_kernelIhLj4ELb0EL18RadixRankAlgorithm0ELj512ELj4ELj10EEvPKT_Pi.has_dyn_sized_stack, 0
	.set _Z11rank_kernelIhLj4ELb0EL18RadixRankAlgorithm0ELj512ELj4ELj10EEvPKT_Pi.has_recursion, 0
	.set _Z11rank_kernelIhLj4ELb0EL18RadixRankAlgorithm0ELj512ELj4ELj10EEvPKT_Pi.has_indirect_call, 0
	.section	.AMDGPU.csdata,"",@progbits
; Kernel info:
; codeLenInByte = 1888
; TotalNumSgprs: 38
; NumVgprs: 28
; ScratchSize: 0
; MemoryBound: 0
; FloatMode: 240
; IeeeMode: 1
; LDSByteSize: 16416 bytes/workgroup (compile time only)
; SGPRBlocks: 12
; VGPRBlocks: 9
; NumSGPRsForWavesPerEU: 97
; NumVGPRsForWavesPerEU: 37
; Occupancy: 6
; WaveLimiterHint : 0
; COMPUTE_PGM_RSRC2:SCRATCH_EN: 0
; COMPUTE_PGM_RSRC2:USER_SGPR: 6
; COMPUTE_PGM_RSRC2:TRAP_HANDLER: 0
; COMPUTE_PGM_RSRC2:TGID_X_EN: 1
; COMPUTE_PGM_RSRC2:TGID_Y_EN: 0
; COMPUTE_PGM_RSRC2:TGID_Z_EN: 0
; COMPUTE_PGM_RSRC2:TIDIG_COMP_CNT: 0
	.section	.text._Z11rank_kernelIhLj4ELb0EL18RadixRankAlgorithm1ELj512ELj4ELj10EEvPKT_Pi,"axG",@progbits,_Z11rank_kernelIhLj4ELb0EL18RadixRankAlgorithm1ELj512ELj4ELj10EEvPKT_Pi,comdat
	.protected	_Z11rank_kernelIhLj4ELb0EL18RadixRankAlgorithm1ELj512ELj4ELj10EEvPKT_Pi ; -- Begin function _Z11rank_kernelIhLj4ELb0EL18RadixRankAlgorithm1ELj512ELj4ELj10EEvPKT_Pi
	.globl	_Z11rank_kernelIhLj4ELb0EL18RadixRankAlgorithm1ELj512ELj4ELj10EEvPKT_Pi
	.p2align	8
	.type	_Z11rank_kernelIhLj4ELb0EL18RadixRankAlgorithm1ELj512ELj4ELj10EEvPKT_Pi,@function
_Z11rank_kernelIhLj4ELb0EL18RadixRankAlgorithm1ELj512ELj4ELj10EEvPKT_Pi: ; @_Z11rank_kernelIhLj4ELb0EL18RadixRankAlgorithm1ELj512ELj4ELj10EEvPKT_Pi
; %bb.0:
	s_load_dwordx4 s[24:27], s[4:5], 0x0
	s_lshl_b32 s28, s6, 11
	v_lshlrev_b32_e32 v8, 2, v0
	v_mbcnt_lo_u32_b32 v2, -1, 0
	v_mbcnt_hi_u32_b32 v2, -1, v2
	s_waitcnt lgkmcnt(0)
	s_add_u32 s0, s24, s28
	s_addc_u32 s1, s25, 0
	global_load_dword v1, v8, s[0:1]
	v_or_b32_e32 v3, 63, v0
	v_cmp_eq_u32_e64 s[4:5], v0, v3
	v_subrev_co_u32_e64 v3, s[6:7], 1, v2
	v_and_b32_e32 v13, 64, v2
	v_lshrrev_b32_e32 v4, 4, v0
	v_cmp_lt_i32_e64 s[20:21], v3, v13
	v_and_b32_e32 v7, 15, v2
	v_and_b32_e32 v12, 16, v2
	v_cmp_lt_u32_e64 s[2:3], 31, v2
	v_and_b32_e32 v11, 28, v4
	v_and_b32_e32 v4, 7, v2
	v_cndmask_b32_e64 v2, v3, v2, s[20:21]
	s_movk_i32 s30, 0xe00
	v_or_b32_e32 v6, 0xc00, v0
	v_cmp_eq_u32_e64 s[10:11], 0, v7
	v_cmp_lt_u32_e64 s[12:13], 1, v7
	v_cmp_lt_u32_e64 s[14:15], 3, v7
	;; [unrolled: 1-line block ×3, first 2 shown]
	v_cmp_eq_u32_e64 s[18:19], 0, v12
	v_cmp_eq_u32_e64 s[20:21], 0, v4
	v_cmp_lt_u32_e64 s[22:23], 1, v4
	v_cmp_lt_u32_e64 s[24:25], 3, v4
	v_lshlrev_b32_e32 v12, 2, v2
	v_lshlrev_b32_e32 v10, 5, v0
	v_cmp_gt_u32_e32 vcc, 8, v0
	v_cmp_lt_u32_e64 s[0:1], 63, v0
	v_mul_i32_i24_e32 v5, 0xffffffe4, v0
	v_cmp_gt_u32_e64 s[8:9], s30, v6
	s_mov_b32 s29, 0
	v_mov_b32_e32 v9, 0
	s_mov_b32 s33, 10
	s_waitcnt vmcnt(0)
	v_lshlrev_b32_e32 v2, 5, v1
	v_lshlrev_b32_e32 v4, 9, v1
	;; [unrolled: 1-line block ×3, first 2 shown]
	v_lshrrev_b32_e32 v14, 7, v1
	v_lshrrev_b32_e32 v16, 15, v1
	;; [unrolled: 1-line block ×12, first 2 shown]
	v_and_or_b32 v2, v2, s30, v0
	v_and_or_b32 v4, v4, s30, v0
	;; [unrolled: 1-line block ×8, first 2 shown]
	v_and_b32_e32 v3, 2, v3
	v_and_b32_e32 v6, 2, v6
	;; [unrolled: 1-line block ×7, first 2 shown]
	v_alignbit_b32 v0, v0, v1, 30
	v_lshl_or_b32 v13, v2, 2, v3
	v_lshl_or_b32 v17, v4, 2, v6
	;; [unrolled: 1-line block ×7, first 2 shown]
	v_and_b32_e32 v16, 0x3ffe, v0
	v_add_u32_e32 v21, v10, v5
	s_branch .LBB79_2
.LBB79_1:                               ;   in Loop: Header=BB79_2 Depth=1
	s_or_b64 exec, exec, s[30:31]
	s_waitcnt lgkmcnt(0)
	v_add_u32_e32 v3, v26, v3
	ds_bpermute_b32 v3, v12, v3
	ds_read_b32 v27, v9 offset:16412
	s_add_i32 s33, s33, -1
	s_cmp_eq_u32 s33, 0
	s_waitcnt lgkmcnt(1)
	v_cndmask_b32_e64 v3, v3, v26, s[6:7]
	s_waitcnt lgkmcnt(0)
	v_lshl_add_u32 v3, v27, 16, v3
	v_add_u32_e32 v4, v3, v4
	v_add_u32_e32 v5, v4, v5
	;; [unrolled: 1-line block ×7, first 2 shown]
	ds_write2_b64 v10, v[3:4], v[5:6] offset1:1
	ds_write2_b64 v10, v[26:27], v[0:1] offset0:2 offset1:3
	s_waitcnt lgkmcnt(0)
	s_barrier
	s_cbranch_scc1 .LBB79_18
.LBB79_2:                               ; =>This Inner Loop Header: Depth=1
	ds_write2st64_b32 v21, v9, v9 offset1:8
	ds_write2st64_b32 v21, v9, v9 offset0:16 offset1:24
	ds_write2st64_b32 v21, v9, v9 offset0:32 offset1:40
	ds_write_b32 v21, v9 offset:12288
	s_and_saveexec_b64 s[30:31], s[8:9]
; %bb.3:                                ;   in Loop: Header=BB79_2 Depth=1
	ds_write_b32 v21, v9 offset:14336
; %bb.4:                                ;   in Loop: Header=BB79_2 Depth=1
	s_or_b64 exec, exec, s[30:31]
	ds_read_u16 v0, v17
	s_waitcnt lgkmcnt(0)
	v_add_u16_e32 v0, 1, v0
	ds_write_b16 v17, v0
	ds_read_u16 v0, v18
	s_waitcnt lgkmcnt(0)
	v_add_u16_e32 v0, 1, v0
	ds_write_b16 v18, v0
	;; [unrolled: 4-line block ×4, first 2 shown]
	s_waitcnt lgkmcnt(0)
	s_barrier
	ds_read2_b64 v[4:7], v10 offset1:1
	ds_read2_b64 v[0:3], v10 offset0:2 offset1:3
	s_waitcnt lgkmcnt(1)
	v_add_u32_e32 v22, v5, v4
	v_add3_u32 v22, v22, v6, v7
	s_waitcnt lgkmcnt(0)
	v_add3_u32 v22, v22, v0, v1
	v_add3_u32 v3, v22, v2, v3
	s_nop 1
	v_mov_b32_dpp v22, v3 row_shr:1 row_mask:0xf bank_mask:0xf
	v_cndmask_b32_e64 v22, v22, 0, s[10:11]
	v_add_u32_e32 v3, v22, v3
	s_nop 1
	v_mov_b32_dpp v22, v3 row_shr:2 row_mask:0xf bank_mask:0xf
	v_cndmask_b32_e64 v22, 0, v22, s[12:13]
	v_add_u32_e32 v3, v3, v22
	;; [unrolled: 4-line block ×4, first 2 shown]
	s_nop 1
	v_mov_b32_dpp v22, v3 row_bcast:15 row_mask:0xf bank_mask:0xf
	v_cndmask_b32_e64 v22, v22, 0, s[18:19]
	v_add_u32_e32 v3, v3, v22
	s_nop 1
	v_mov_b32_dpp v22, v3 row_bcast:31 row_mask:0xf bank_mask:0xf
	v_cndmask_b32_e64 v22, 0, v22, s[2:3]
	v_add_u32_e32 v3, v3, v22
	s_and_saveexec_b64 s[30:31], s[4:5]
; %bb.5:                                ;   in Loop: Header=BB79_2 Depth=1
	ds_write_b32 v11, v3 offset:16384
; %bb.6:                                ;   in Loop: Header=BB79_2 Depth=1
	s_or_b64 exec, exec, s[30:31]
	s_waitcnt lgkmcnt(0)
	s_barrier
	s_and_saveexec_b64 s[30:31], vcc
	s_cbranch_execz .LBB79_8
; %bb.7:                                ;   in Loop: Header=BB79_2 Depth=1
	ds_read_b32 v22, v21 offset:16384
	s_waitcnt lgkmcnt(0)
	s_nop 0
	v_mov_b32_dpp v23, v22 row_shr:1 row_mask:0xf bank_mask:0xf
	v_cndmask_b32_e64 v23, v23, 0, s[20:21]
	v_add_u32_e32 v22, v23, v22
	s_nop 1
	v_mov_b32_dpp v23, v22 row_shr:2 row_mask:0xf bank_mask:0xf
	v_cndmask_b32_e64 v23, 0, v23, s[22:23]
	v_add_u32_e32 v22, v22, v23
	;; [unrolled: 4-line block ×3, first 2 shown]
	ds_write_b32 v21, v22 offset:16384
.LBB79_8:                               ;   in Loop: Header=BB79_2 Depth=1
	s_or_b64 exec, exec, s[30:31]
	v_mov_b32_e32 v22, 0
	s_waitcnt lgkmcnt(0)
	s_barrier
	s_and_saveexec_b64 s[30:31], s[0:1]
; %bb.9:                                ;   in Loop: Header=BB79_2 Depth=1
	ds_read_b32 v22, v11 offset:16380
; %bb.10:                               ;   in Loop: Header=BB79_2 Depth=1
	s_or_b64 exec, exec, s[30:31]
	s_waitcnt lgkmcnt(0)
	v_add_u32_e32 v3, v22, v3
	ds_bpermute_b32 v3, v12, v3
	ds_read_b32 v23, v9 offset:16412
	s_waitcnt lgkmcnt(1)
	v_cndmask_b32_e64 v3, v3, v22, s[6:7]
	s_waitcnt lgkmcnt(0)
	v_lshl_add_u32 v3, v23, 16, v3
	v_add_u32_e32 v4, v3, v4
	v_add_u32_e32 v5, v4, v5
	;; [unrolled: 1-line block ×7, first 2 shown]
	ds_write2_b64 v10, v[3:4], v[5:6] offset1:1
	ds_write2_b64 v10, v[22:23], v[0:1] offset0:2 offset1:3
	s_waitcnt lgkmcnt(0)
	s_barrier
	ds_write2st64_b32 v21, v9, v9 offset1:8
	ds_write2st64_b32 v21, v9, v9 offset0:16 offset1:24
	ds_write2st64_b32 v21, v9, v9 offset0:32 offset1:40
	ds_write_b32 v21, v9 offset:12288
	s_and_saveexec_b64 s[30:31], s[8:9]
; %bb.11:                               ;   in Loop: Header=BB79_2 Depth=1
	ds_write_b32 v21, v9 offset:14336
; %bb.12:                               ;   in Loop: Header=BB79_2 Depth=1
	s_or_b64 exec, exec, s[30:31]
	ds_read_u16 v22, v13
	s_waitcnt lgkmcnt(0)
	v_add_u16_e32 v0, 1, v22
	ds_write_b16 v13, v0
	ds_read_u16 v23, v14
	s_waitcnt lgkmcnt(0)
	v_add_u16_e32 v0, 1, v23
	ds_write_b16 v14, v0
	;; [unrolled: 4-line block ×4, first 2 shown]
	s_waitcnt lgkmcnt(0)
	s_barrier
	ds_read2_b64 v[4:7], v10 offset1:1
	ds_read2_b64 v[0:3], v10 offset0:2 offset1:3
	s_waitcnt lgkmcnt(1)
	v_add_u32_e32 v26, v5, v4
	v_add3_u32 v26, v26, v6, v7
	s_waitcnt lgkmcnt(0)
	v_add3_u32 v26, v26, v0, v1
	v_add3_u32 v3, v26, v2, v3
	s_nop 1
	v_mov_b32_dpp v26, v3 row_shr:1 row_mask:0xf bank_mask:0xf
	v_cndmask_b32_e64 v26, v26, 0, s[10:11]
	v_add_u32_e32 v3, v26, v3
	s_nop 1
	v_mov_b32_dpp v26, v3 row_shr:2 row_mask:0xf bank_mask:0xf
	v_cndmask_b32_e64 v26, 0, v26, s[12:13]
	v_add_u32_e32 v3, v3, v26
	;; [unrolled: 4-line block ×4, first 2 shown]
	s_nop 1
	v_mov_b32_dpp v26, v3 row_bcast:15 row_mask:0xf bank_mask:0xf
	v_cndmask_b32_e64 v26, v26, 0, s[18:19]
	v_add_u32_e32 v3, v3, v26
	s_nop 1
	v_mov_b32_dpp v26, v3 row_bcast:31 row_mask:0xf bank_mask:0xf
	v_cndmask_b32_e64 v26, 0, v26, s[2:3]
	v_add_u32_e32 v3, v3, v26
	s_and_saveexec_b64 s[30:31], s[4:5]
; %bb.13:                               ;   in Loop: Header=BB79_2 Depth=1
	ds_write_b32 v11, v3 offset:16384
; %bb.14:                               ;   in Loop: Header=BB79_2 Depth=1
	s_or_b64 exec, exec, s[30:31]
	s_waitcnt lgkmcnt(0)
	s_barrier
	s_and_saveexec_b64 s[30:31], vcc
	s_cbranch_execz .LBB79_16
; %bb.15:                               ;   in Loop: Header=BB79_2 Depth=1
	ds_read_b32 v26, v21 offset:16384
	s_waitcnt lgkmcnt(0)
	s_nop 0
	v_mov_b32_dpp v27, v26 row_shr:1 row_mask:0xf bank_mask:0xf
	v_cndmask_b32_e64 v27, v27, 0, s[20:21]
	v_add_u32_e32 v26, v27, v26
	s_nop 1
	v_mov_b32_dpp v27, v26 row_shr:2 row_mask:0xf bank_mask:0xf
	v_cndmask_b32_e64 v27, 0, v27, s[22:23]
	v_add_u32_e32 v26, v26, v27
	;; [unrolled: 4-line block ×3, first 2 shown]
	ds_write_b32 v21, v26 offset:16384
.LBB79_16:                              ;   in Loop: Header=BB79_2 Depth=1
	s_or_b64 exec, exec, s[30:31]
	v_mov_b32_e32 v26, 0
	s_waitcnt lgkmcnt(0)
	s_barrier
	s_and_saveexec_b64 s[30:31], s[0:1]
	s_cbranch_execz .LBB79_1
; %bb.17:                               ;   in Loop: Header=BB79_2 Depth=1
	ds_read_b32 v26, v11 offset:16380
	s_branch .LBB79_1
.LBB79_18:
	ds_read_u16 v0, v13
	ds_read_u16 v1, v14
	ds_read_u16 v2, v15
	ds_read_u16 v3, v16
	s_lshl_b64 s[0:1], s[28:29], 2
	s_add_u32 s0, s26, s0
	s_waitcnt lgkmcnt(3)
	v_add_u32_sdwa v0, v0, v22 dst_sel:DWORD dst_unused:UNUSED_PAD src0_sel:DWORD src1_sel:WORD_0
	s_waitcnt lgkmcnt(2)
	v_add_u32_sdwa v1, v1, v23 dst_sel:DWORD dst_unused:UNUSED_PAD src0_sel:DWORD src1_sel:WORD_0
	;; [unrolled: 2-line block ×4, first 2 shown]
	s_addc_u32 s1, s27, s1
	v_lshlrev_b32_e32 v4, 2, v8
	global_store_dwordx4 v4, v[0:3], s[0:1]
	s_endpgm
	.section	.rodata,"a",@progbits
	.p2align	6, 0x0
	.amdhsa_kernel _Z11rank_kernelIhLj4ELb0EL18RadixRankAlgorithm1ELj512ELj4ELj10EEvPKT_Pi
		.amdhsa_group_segment_fixed_size 16416
		.amdhsa_private_segment_fixed_size 0
		.amdhsa_kernarg_size 16
		.amdhsa_user_sgpr_count 6
		.amdhsa_user_sgpr_private_segment_buffer 1
		.amdhsa_user_sgpr_dispatch_ptr 0
		.amdhsa_user_sgpr_queue_ptr 0
		.amdhsa_user_sgpr_kernarg_segment_ptr 1
		.amdhsa_user_sgpr_dispatch_id 0
		.amdhsa_user_sgpr_flat_scratch_init 0
		.amdhsa_user_sgpr_private_segment_size 0
		.amdhsa_uses_dynamic_stack 0
		.amdhsa_system_sgpr_private_segment_wavefront_offset 0
		.amdhsa_system_sgpr_workgroup_id_x 1
		.amdhsa_system_sgpr_workgroup_id_y 0
		.amdhsa_system_sgpr_workgroup_id_z 0
		.amdhsa_system_sgpr_workgroup_info 0
		.amdhsa_system_vgpr_workitem_id 0
		.amdhsa_next_free_vgpr 37
		.amdhsa_next_free_sgpr 93
		.amdhsa_reserve_vcc 1
		.amdhsa_reserve_flat_scratch 0
		.amdhsa_float_round_mode_32 0
		.amdhsa_float_round_mode_16_64 0
		.amdhsa_float_denorm_mode_32 3
		.amdhsa_float_denorm_mode_16_64 3
		.amdhsa_dx10_clamp 1
		.amdhsa_ieee_mode 1
		.amdhsa_fp16_overflow 0
		.amdhsa_exception_fp_ieee_invalid_op 0
		.amdhsa_exception_fp_denorm_src 0
		.amdhsa_exception_fp_ieee_div_zero 0
		.amdhsa_exception_fp_ieee_overflow 0
		.amdhsa_exception_fp_ieee_underflow 0
		.amdhsa_exception_fp_ieee_inexact 0
		.amdhsa_exception_int_div_zero 0
	.end_amdhsa_kernel
	.section	.text._Z11rank_kernelIhLj4ELb0EL18RadixRankAlgorithm1ELj512ELj4ELj10EEvPKT_Pi,"axG",@progbits,_Z11rank_kernelIhLj4ELb0EL18RadixRankAlgorithm1ELj512ELj4ELj10EEvPKT_Pi,comdat
.Lfunc_end79:
	.size	_Z11rank_kernelIhLj4ELb0EL18RadixRankAlgorithm1ELj512ELj4ELj10EEvPKT_Pi, .Lfunc_end79-_Z11rank_kernelIhLj4ELb0EL18RadixRankAlgorithm1ELj512ELj4ELj10EEvPKT_Pi
                                        ; -- End function
	.set _Z11rank_kernelIhLj4ELb0EL18RadixRankAlgorithm1ELj512ELj4ELj10EEvPKT_Pi.num_vgpr, 28
	.set _Z11rank_kernelIhLj4ELb0EL18RadixRankAlgorithm1ELj512ELj4ELj10EEvPKT_Pi.num_agpr, 0
	.set _Z11rank_kernelIhLj4ELb0EL18RadixRankAlgorithm1ELj512ELj4ELj10EEvPKT_Pi.numbered_sgpr, 34
	.set _Z11rank_kernelIhLj4ELb0EL18RadixRankAlgorithm1ELj512ELj4ELj10EEvPKT_Pi.num_named_barrier, 0
	.set _Z11rank_kernelIhLj4ELb0EL18RadixRankAlgorithm1ELj512ELj4ELj10EEvPKT_Pi.private_seg_size, 0
	.set _Z11rank_kernelIhLj4ELb0EL18RadixRankAlgorithm1ELj512ELj4ELj10EEvPKT_Pi.uses_vcc, 1
	.set _Z11rank_kernelIhLj4ELb0EL18RadixRankAlgorithm1ELj512ELj4ELj10EEvPKT_Pi.uses_flat_scratch, 0
	.set _Z11rank_kernelIhLj4ELb0EL18RadixRankAlgorithm1ELj512ELj4ELj10EEvPKT_Pi.has_dyn_sized_stack, 0
	.set _Z11rank_kernelIhLj4ELb0EL18RadixRankAlgorithm1ELj512ELj4ELj10EEvPKT_Pi.has_recursion, 0
	.set _Z11rank_kernelIhLj4ELb0EL18RadixRankAlgorithm1ELj512ELj4ELj10EEvPKT_Pi.has_indirect_call, 0
	.section	.AMDGPU.csdata,"",@progbits
; Kernel info:
; codeLenInByte = 1816
; TotalNumSgprs: 38
; NumVgprs: 28
; ScratchSize: 0
; MemoryBound: 0
; FloatMode: 240
; IeeeMode: 1
; LDSByteSize: 16416 bytes/workgroup (compile time only)
; SGPRBlocks: 12
; VGPRBlocks: 9
; NumSGPRsForWavesPerEU: 97
; NumVGPRsForWavesPerEU: 37
; Occupancy: 6
; WaveLimiterHint : 0
; COMPUTE_PGM_RSRC2:SCRATCH_EN: 0
; COMPUTE_PGM_RSRC2:USER_SGPR: 6
; COMPUTE_PGM_RSRC2:TRAP_HANDLER: 0
; COMPUTE_PGM_RSRC2:TGID_X_EN: 1
; COMPUTE_PGM_RSRC2:TGID_Y_EN: 0
; COMPUTE_PGM_RSRC2:TGID_Z_EN: 0
; COMPUTE_PGM_RSRC2:TIDIG_COMP_CNT: 0
	.section	.text._Z11rank_kernelIhLj4ELb0EL18RadixRankAlgorithm2ELj512ELj4ELj10EEvPKT_Pi,"axG",@progbits,_Z11rank_kernelIhLj4ELb0EL18RadixRankAlgorithm2ELj512ELj4ELj10EEvPKT_Pi,comdat
	.protected	_Z11rank_kernelIhLj4ELb0EL18RadixRankAlgorithm2ELj512ELj4ELj10EEvPKT_Pi ; -- Begin function _Z11rank_kernelIhLj4ELb0EL18RadixRankAlgorithm2ELj512ELj4ELj10EEvPKT_Pi
	.globl	_Z11rank_kernelIhLj4ELb0EL18RadixRankAlgorithm2ELj512ELj4ELj10EEvPKT_Pi
	.p2align	8
	.type	_Z11rank_kernelIhLj4ELb0EL18RadixRankAlgorithm2ELj512ELj4ELj10EEvPKT_Pi,@function
_Z11rank_kernelIhLj4ELb0EL18RadixRankAlgorithm2ELj512ELj4ELj10EEvPKT_Pi: ; @_Z11rank_kernelIhLj4ELb0EL18RadixRankAlgorithm2ELj512ELj4ELj10EEvPKT_Pi
; %bb.0:
	s_load_dwordx4 s[0:3], s[4:5], 0x0
	s_load_dword s7, s[4:5], 0x1c
	s_lshl_b32 s94, s6, 11
                                        ; implicit-def: $vgpr88 : SGPR spill to VGPR lane
	v_lshlrev_b32_e32 v4, 2, v0
	v_or_b32_e32 v6, 63, v0
	s_waitcnt lgkmcnt(0)
	s_add_u32 s0, s0, s94
	v_writelane_b32 v88, s0, 0
	v_writelane_b32 v88, s1, 1
	;; [unrolled: 1-line block ×4, first 2 shown]
	s_addc_u32 s1, s1, 0
	s_lshr_b32 s4, s7, 16
	global_load_dword v22, v4, s[0:1]
	s_and_b32 s5, s7, 0xffff
	v_mad_u32_u24 v1, v2, s4, v1
	v_cmp_gt_u32_e32 vcc, 8, v0
	v_cmp_lt_u32_e64 s[0:1], 63, v0
	v_lshrrev_b32_e32 v29, 4, v0
	v_cmp_eq_u32_e64 s[2:3], v0, v6
	v_mad_u64_u32 v[0:1], s[4:5], v1, s5, v[0:1]
	v_mov_b32_e32 v3, 0
	v_mov_b32_e32 v28, 28
	;; [unrolled: 1-line block ×3, first 2 shown]
	v_mbcnt_lo_u32_b32 v5, -1, 0
	v_mov_b32_e32 v23, v3
	v_lshrrev_b32_e32 v32, 4, v0
	v_mov_b32_e32 v0, v3
	v_mov_b32_e32 v14, 29
	v_mbcnt_hi_u32_b32 v69, -1, v5
	v_mov_b32_e32 v5, v3
	v_mov_b32_e32 v25, v3
	;; [unrolled: 1-line block ×5, first 2 shown]
	v_subrev_co_u32_e64 v30, s[4:5], 1, v69
	v_and_b32_e32 v31, 64, v69
	v_mov_b32_e32 v9, v3
	v_cmp_lt_i32_e64 s[64:65], v30, v31
	v_mov_b32_e32 v12, 30
	v_mov_b32_e32 v13, v3
	;; [unrolled: 1-line block ×5, first 2 shown]
	v_and_b32_e32 v65, 16, v69
	v_and_b32_e32 v81, 7, v69
	s_mov_b32 s95, 0
	s_mov_b32 s33, 10
	v_cmp_lt_u32_e64 s[84:85], 1, v81
	v_cmp_lt_u32_e64 s[88:89], 3, v81
	s_waitcnt vmcnt(0)
	v_lshlrev_b32_e32 v8, 29, v22
	v_lshrrev_b32_e32 v34, 16, v22
	v_cmp_gt_i64_e64 s[8:9], 0, v[7:8]
	v_not_b32_e32 v36, v8
	v_lshlrev_b32_e32 v24, 29, v34
	v_lshlrev_b32_sdwa v1, v28, v22 dst_sel:DWORD dst_unused:UNUSED_PAD src0_sel:DWORD src1_sel:BYTE_3
	v_lshrrev_b32_e32 v8, 4, v22
	v_lshlrev_b32_e32 v6, 30, v22
	v_lshrrev_b32_e32 v33, 8, v22
	v_and_b32_e32 v2, 1, v22
	v_lshlrev_b32_e32 v26, 28, v34
	v_cmp_gt_i64_e64 s[26:27], 0, v[23:24]
	v_cmp_gt_i64_e64 s[36:37], 0, v[0:1]
	v_not_b32_e32 v23, v1
	v_lshlrev_b32_e32 v1, 30, v8
	v_lshlrev_b32_sdwa v19, v14, v22 dst_sel:DWORD dst_unused:UNUSED_PAD src0_sel:DWORD src1_sel:BYTE_3
	v_cmp_gt_i64_e64 s[6:7], 0, v[5:6]
	v_lshlrev_b32_e32 v21, 30, v34
	v_cmp_ne_u64_e64 s[16:17], 0, v[2:3]
	v_add_co_u32_e64 v5, s[68:69], -1, v2
	v_and_b32_e32 v2, 1, v33
	v_cmp_gt_i64_e64 s[28:29], 0, v[25:26]
	v_cmp_gt_i64_e64 s[38:39], 0, v[0:1]
	v_not_b32_e32 v25, v1
	v_lshlrev_b32_e32 v1, 29, v8
	v_not_b32_e32 v35, v6
	v_cmp_gt_i64_e64 s[14:15], 0, v[18:19]
	v_not_b32_e32 v39, v19
	v_cmp_gt_i64_e64 s[24:25], 0, v[20:21]
	v_not_b32_e32 v19, v21
	v_not_b32_e32 v21, v26
	v_cmp_ne_u64_e64 s[30:31], 0, v[2:3]
	v_add_co_u32_e64 v6, s[72:73], -1, v2
	v_and_b32_e32 v2, 1, v34
	v_cmp_gt_i64_e64 s[40:41], 0, v[0:1]
	v_not_b32_e32 v26, v1
	v_lshlrev_b32_e32 v1, 28, v8
	v_lshrrev_b32_e32 v8, 4, v33
	v_cmp_ne_u64_e64 s[34:35], 0, v[2:3]
	v_add_co_u32_e64 v7, s[74:75], -1, v2
	v_and_b32_sdwa v2, v22, v27 dst_sel:DWORD dst_unused:UNUSED_PAD src0_sel:BYTE_3 src1_sel:DWORD
	v_cmp_gt_i64_e64 s[42:43], 0, v[0:1]
	v_not_b32_e32 v27, v1
	v_lshlrev_b32_e32 v1, 30, v8
	v_cmp_gt_i64_e64 s[44:45], 0, v[0:1]
	v_not_b32_e32 v40, v1
	v_lshlrev_b32_e32 v1, 29, v8
	;; [unrolled: 3-line block ×3, first 2 shown]
	v_lshrrev_b32_e32 v8, 4, v34
	v_cmp_gt_i64_e64 s[48:49], 0, v[0:1]
	v_not_b32_e32 v42, v1
	v_lshlrev_b32_e32 v1, 30, v8
	v_lshlrev_b32_e32 v10, 28, v22
	v_cmp_gt_i64_e64 s[50:51], 0, v[0:1]
	v_not_b32_e32 v43, v1
	v_lshlrev_b32_e32 v1, 29, v8
	v_cmp_gt_i64_e64 s[10:11], 0, v[9:10]
	v_not_b32_e32 v37, v10
	v_lshlrev_b32_e32 v14, 29, v33
	v_not_b32_e32 v20, v24
	v_cmp_gt_i64_e64 s[52:53], 0, v[0:1]
	v_not_b32_e32 v44, v1
	v_lshlrev_b32_e32 v1, 28, v8
	v_cndmask_b32_e64 v8, v30, v69, s[64:65]
	v_and_b32_e32 v10, 28, v29
	v_cmp_ne_u64_e64 s[64:65], 0, v[2:3]
	v_add_co_u32_e64 v24, s[76:77], -1, v2
	v_bfe_u32 v2, v22, 4, 1
	v_bfe_u32 v29, v33, 4, 4
	v_lshlrev_b32_sdwa v17, v12, v22 dst_sel:DWORD dst_unused:UNUSED_PAD src0_sel:DWORD src1_sel:BYTE_3
	v_cmp_gt_i64_e64 s[20:21], 0, v[13:14]
	v_not_b32_e32 v18, v14
	v_lshrrev_b32_e32 v46, 28, v22
	v_and_b32_e32 v14, 15, v22
	v_cmp_ne_u64_e64 s[66:67], 0, v[2:3]
	v_add_co_u32_e64 v28, s[78:79], -1, v2
	v_bfe_u32 v2, v33, 4, 1
	v_mul_u32_u24_e32 v53, 36, v29
	v_addc_co_u32_e64 v29, s[68:69], 0, -1, s[68:69]
	v_cmp_gt_i64_e64 s[12:13], 0, v[16:17]
	v_lshlrev_b32_e32 v12, 30, v33
	v_lshlrev_b32_e32 v16, 28, v33
	v_cmp_gt_i64_e64 s[54:55], 0, v[0:1]
	v_not_b32_e32 v45, v1
	v_lshlrev_b32_e32 v1, 30, v46
	v_mul_u32_u24_e32 v49, 36, v14
	v_and_b32_e32 v14, 15, v33
	v_cmp_ne_u64_e64 s[68:69], 0, v[2:3]
	v_add_co_u32_e64 v33, s[80:81], -1, v2
	v_bfe_u32 v2, v34, 4, 1
	v_cmp_gt_i64_e64 s[22:23], 0, v[15:16]
	v_cmp_gt_i64_e64 s[56:57], 0, v[0:1]
	v_not_b32_e32 v47, v1
	v_lshlrev_b32_e32 v1, 29, v46
	v_ashrrev_i32_e32 v13, 31, v37
	v_ashrrev_i32_e32 v15, 31, v18
	;; [unrolled: 1-line block ×3, first 2 shown]
	v_mov_b32_e32 v20, 15
	v_add_co_u32_e64 v37, s[82:83], -1, v2
	v_not_b32_e32 v38, v17
	v_not_b32_e32 v17, v12
	v_cmp_gt_i64_e64 s[58:59], 0, v[0:1]
	v_not_b32_e32 v48, v1
	v_lshlrev_b32_e32 v1, 28, v46
	v_and_b32_sdwa v20, v22, v20 dst_sel:DWORD dst_unused:UNUSED_PAD src0_sel:BYTE_3 src1_sel:DWORD
	v_cmp_ne_u64_e64 s[70:71], 0, v[2:3]
	v_and_b32_e32 v2, 1, v46
	v_addc_co_u32_e64 v72, s[82:83], 0, -1, s[82:83]
	v_not_b32_e32 v16, v16
	v_cmp_gt_i64_e64 s[60:61], 0, v[0:1]
	v_not_b32_e32 v0, v1
	v_lshlrev_b32_e32 v9, 2, v8
	v_and_b32_e32 v8, 0xffffffc, v32
	v_mul_u32_u24_e32 v50, 36, v14
	v_ashrrev_i32_e32 v14, 31, v17
	v_and_b32_e32 v17, 15, v34
	v_mul_u32_u24_e32 v52, 36, v20
	v_bfe_u32 v34, v34, 4, 4
	v_add_co_u32_e64 v73, s[82:83], -1, v2
	v_cmp_gt_i64_e64 s[18:19], 0, v[11:12]
	v_and_b32_e32 v1, 15, v69
	v_ashrrev_i32_e32 v11, 31, v35
	v_ashrrev_i32_e32 v12, 31, v36
	;; [unrolled: 1-line block ×3, first 2 shown]
	v_mul_u32_u24_e32 v51, 36, v17
	v_ashrrev_i32_e32 v17, 31, v19
	v_ashrrev_i32_e32 v19, 31, v21
	;; [unrolled: 1-line block ×5, first 2 shown]
	v_bfe_u32 v22, v22, 4, 4
	v_ashrrev_i32_e32 v25, 31, v25
	v_ashrrev_i32_e32 v26, 31, v26
	v_ashrrev_i32_e32 v27, 31, v27
	v_ashrrev_i32_e32 v30, 31, v40
	v_ashrrev_i32_e32 v31, 31, v41
	v_ashrrev_i32_e32 v32, 31, v42
	v_mul_u32_u24_e32 v54, 36, v34
	v_ashrrev_i32_e32 v34, 31, v43
	v_ashrrev_i32_e32 v35, 31, v44
	;; [unrolled: 1-line block ×3, first 2 shown]
	v_mul_u32_u24_e32 v44, 36, v46
	v_ashrrev_i32_e32 v38, 31, v47
	v_ashrrev_i32_e32 v39, 31, v48
	;; [unrolled: 1-line block ×3, first 2 shown]
	v_add_u32_e32 v48, v8, v52
	v_addc_co_u32_e64 v52, s[72:73], 0, -1, s[72:73]
	v_addc_co_u32_e64 v56, s[74:75], 0, -1, s[74:75]
	v_addc_co_u32_e64 v60, s[76:77], 0, -1, s[76:77]
	v_addc_co_u32_e64 v64, s[78:79], 0, -1, s[78:79]
	v_addc_co_u32_e64 v68, s[80:81], 0, -1, s[80:81]
	v_addc_co_u32_e64 v74, s[82:83], 0, -1, s[82:83]
	v_cmp_ne_u64_e64 s[86:87], 0, v[2:3]
	v_cmp_eq_u32_e64 s[62:63], 0, v1
	v_mul_u32_u24_e32 v22, 36, v22
	v_add_u32_e32 v41, -4, v10
	v_add_u32_e32 v45, v8, v49
	v_add_u32_e32 v46, v8, v50
	;; [unrolled: 1-line block ×6, first 2 shown]
	v_mov_b32_e32 v49, v11
	v_mov_b32_e32 v50, v12
	v_mov_b32_e32 v51, v13
	v_cmp_lt_u32_e64 s[72:73], 1, v1
	v_mov_b32_e32 v53, v14
	v_mov_b32_e32 v54, v15
	v_mov_b32_e32 v55, v16
	v_cmp_lt_u32_e64 s[74:75], 3, v1
	;; [unrolled: 4-line block ×3, first 2 shown]
	v_mov_b32_e32 v61, v20
	v_mov_b32_e32 v62, v21
	;; [unrolled: 1-line block ×3, first 2 shown]
	v_cmp_eq_u32_e64 s[78:79], 0, v65
	v_mov_b32_e32 v65, v25
	v_mov_b32_e32 v66, v26
	v_mov_b32_e32 v67, v27
	v_cmp_lt_u32_e64 s[80:81], 31, v69
	v_mov_b32_e32 v69, v30
	v_mov_b32_e32 v70, v31
	;; [unrolled: 1-line block ×3, first 2 shown]
	v_cmp_eq_u32_e64 s[82:83], 0, v81
	v_mov_b32_e32 v75, v34
	v_mov_b32_e32 v76, v35
	;; [unrolled: 1-line block ×6, first 2 shown]
	s_branch .LBB80_2
.LBB80_1:                               ;   in Loop: Header=BB80_2 Depth=1
	s_or_b64 exec, exec, s[90:91]
	s_waitcnt lgkmcnt(0)
	v_add_u32_e32 v0, v1, v0
	ds_bpermute_b32 v0, v9, v0
	s_add_i32 s33, s33, -1
	s_cmp_eq_u32 s33, 0
	s_waitcnt lgkmcnt(0)
	v_cndmask_b32_e64 v0, v0, v1, s[4:5]
	ds_write_b32 v4, v0 offset:32
	s_waitcnt lgkmcnt(0)
	s_barrier
	s_cbranch_scc1 .LBB80_30
.LBB80_2:                               ; =>This Inner Loop Header: Depth=1
	v_cndmask_b32_e64 v0, 0, 1, s[16:17]
	v_cmp_ne_u32_e64 s[90:91], 0, v0
	v_cndmask_b32_e64 v2, 0, 1, s[6:7]
	v_xor_b32_e32 v0, s91, v29
	v_xor_b32_e32 v1, s90, v5
	v_cmp_ne_u32_e64 s[90:91], 0, v2
	v_and_b32_e32 v0, exec_hi, v0
	v_xor_b32_e32 v2, s91, v49
	v_and_b32_e32 v0, v0, v2
	v_cndmask_b32_e64 v2, 0, 1, s[8:9]
	v_and_b32_e32 v1, exec_lo, v1
	v_xor_b32_e32 v81, s90, v11
	v_cmp_ne_u32_e64 s[90:91], 0, v2
	v_and_b32_e32 v1, v1, v81
	v_xor_b32_e32 v2, s91, v50
	v_xor_b32_e32 v81, s90, v12
	v_and_b32_e32 v0, v0, v2
	v_and_b32_e32 v2, v1, v81
	v_cndmask_b32_e64 v1, 0, 1, s[10:11]
	v_cmp_ne_u32_e64 s[90:91], 0, v1
	v_xor_b32_e32 v1, s91, v51
	v_xor_b32_e32 v81, s90, v13
	v_and_b32_e32 v1, v0, v1
	v_and_b32_e32 v0, v2, v81
	v_mbcnt_lo_u32_b32 v2, v0, 0
	v_mbcnt_hi_u32_b32 v2, v1, v2
	v_cmp_ne_u64_e64 s[90:91], 0, v[0:1]
	v_cmp_eq_u32_e64 s[92:93], 0, v2
	s_and_b64 s[92:93], s[90:91], s[92:93]
	ds_write_b32 v4, v3 offset:32
	s_waitcnt lgkmcnt(0)
	s_barrier
	; wave barrier
	s_and_saveexec_b64 s[90:91], s[92:93]
; %bb.3:                                ;   in Loop: Header=BB80_2 Depth=1
	v_bcnt_u32_b32 v0, v0, 0
	v_bcnt_u32_b32 v0, v1, v0
	ds_write_b32 v45, v0 offset:32
; %bb.4:                                ;   in Loop: Header=BB80_2 Depth=1
	s_or_b64 exec, exec, s[90:91]
	v_cndmask_b32_e64 v0, 0, 1, s[30:31]
	v_cmp_ne_u32_e64 s[90:91], 0, v0
	v_cndmask_b32_e64 v81, 0, 1, s[18:19]
	v_xor_b32_e32 v0, s91, v52
	v_xor_b32_e32 v1, s90, v6
	v_cmp_ne_u32_e64 s[90:91], 0, v81
	v_and_b32_e32 v0, exec_hi, v0
	v_xor_b32_e32 v81, s91, v53
	v_and_b32_e32 v0, v0, v81
	v_cndmask_b32_e64 v81, 0, 1, s[20:21]
	v_and_b32_e32 v1, exec_lo, v1
	v_xor_b32_e32 v82, s90, v14
	v_cmp_ne_u32_e64 s[90:91], 0, v81
	v_and_b32_e32 v1, v1, v82
	v_xor_b32_e32 v81, s91, v54
	v_xor_b32_e32 v82, s90, v15
	v_and_b32_e32 v0, v0, v81
	v_and_b32_e32 v81, v1, v82
	v_cndmask_b32_e64 v1, 0, 1, s[22:23]
	v_cmp_ne_u32_e64 s[90:91], 0, v1
	v_xor_b32_e32 v1, s91, v55
	v_xor_b32_e32 v82, s90, v16
	; wave barrier
	ds_read_b32 v2, v46 offset:32
	v_and_b32_e32 v1, v0, v1
	v_and_b32_e32 v0, v81, v82
	v_mbcnt_lo_u32_b32 v81, v0, 0
	v_mbcnt_hi_u32_b32 v81, v1, v81
	v_cmp_ne_u64_e64 s[90:91], 0, v[0:1]
	v_cmp_eq_u32_e64 s[92:93], 0, v81
	s_and_b64 s[92:93], s[90:91], s[92:93]
	; wave barrier
	s_and_saveexec_b64 s[90:91], s[92:93]
	s_cbranch_execz .LBB80_6
; %bb.5:                                ;   in Loop: Header=BB80_2 Depth=1
	v_bcnt_u32_b32 v0, v0, 0
	v_bcnt_u32_b32 v0, v1, v0
	s_waitcnt lgkmcnt(0)
	v_add_u32_e32 v0, v2, v0
	ds_write_b32 v46, v0 offset:32
.LBB80_6:                               ;   in Loop: Header=BB80_2 Depth=1
	s_or_b64 exec, exec, s[90:91]
	v_cndmask_b32_e64 v0, 0, 1, s[34:35]
	v_cmp_ne_u32_e64 s[90:91], 0, v0
	v_cndmask_b32_e64 v81, 0, 1, s[24:25]
	v_xor_b32_e32 v0, s91, v56
	v_xor_b32_e32 v1, s90, v7
	v_cmp_ne_u32_e64 s[90:91], 0, v81
	v_and_b32_e32 v0, exec_hi, v0
	v_xor_b32_e32 v81, s91, v57
	v_and_b32_e32 v0, v0, v81
	v_cndmask_b32_e64 v81, 0, 1, s[26:27]
	v_and_b32_e32 v1, exec_lo, v1
	v_xor_b32_e32 v82, s90, v17
	v_cmp_ne_u32_e64 s[90:91], 0, v81
	v_and_b32_e32 v1, v1, v82
	v_xor_b32_e32 v81, s91, v58
	v_xor_b32_e32 v82, s90, v18
	v_and_b32_e32 v0, v0, v81
	v_and_b32_e32 v81, v1, v82
	v_cndmask_b32_e64 v1, 0, 1, s[28:29]
	v_cmp_ne_u32_e64 s[90:91], 0, v1
	v_xor_b32_e32 v1, s91, v59
	v_xor_b32_e32 v82, s90, v19
	; wave barrier
	s_waitcnt lgkmcnt(0)
	ds_read_b32 v2, v47 offset:32
	v_and_b32_e32 v1, v0, v1
	v_and_b32_e32 v0, v81, v82
	v_mbcnt_lo_u32_b32 v81, v0, 0
	v_mbcnt_hi_u32_b32 v81, v1, v81
	v_cmp_ne_u64_e64 s[90:91], 0, v[0:1]
	v_cmp_eq_u32_e64 s[92:93], 0, v81
	s_and_b64 s[92:93], s[90:91], s[92:93]
	; wave barrier
	s_and_saveexec_b64 s[90:91], s[92:93]
	s_cbranch_execz .LBB80_8
; %bb.7:                                ;   in Loop: Header=BB80_2 Depth=1
	v_bcnt_u32_b32 v0, v0, 0
	v_bcnt_u32_b32 v0, v1, v0
	s_waitcnt lgkmcnt(0)
	v_add_u32_e32 v0, v2, v0
	ds_write_b32 v47, v0 offset:32
.LBB80_8:                               ;   in Loop: Header=BB80_2 Depth=1
	s_or_b64 exec, exec, s[90:91]
	v_cndmask_b32_e64 v0, 0, 1, s[64:65]
	v_cmp_ne_u32_e64 s[90:91], 0, v0
	v_cndmask_b32_e64 v81, 0, 1, s[12:13]
	v_xor_b32_e32 v0, s91, v60
	v_xor_b32_e32 v1, s90, v24
	v_cmp_ne_u32_e64 s[90:91], 0, v81
	v_and_b32_e32 v0, exec_hi, v0
	v_xor_b32_e32 v81, s91, v61
	v_and_b32_e32 v0, v0, v81
	v_cndmask_b32_e64 v81, 0, 1, s[14:15]
	v_and_b32_e32 v1, exec_lo, v1
	v_xor_b32_e32 v82, s90, v20
	v_cmp_ne_u32_e64 s[90:91], 0, v81
	v_and_b32_e32 v1, v1, v82
	v_xor_b32_e32 v81, s91, v62
	v_xor_b32_e32 v82, s90, v21
	v_and_b32_e32 v0, v0, v81
	v_and_b32_e32 v81, v1, v82
	v_cndmask_b32_e64 v1, 0, 1, s[36:37]
	v_cmp_ne_u32_e64 s[90:91], 0, v1
	v_xor_b32_e32 v1, s91, v63
	v_xor_b32_e32 v82, s90, v23
	; wave barrier
	s_waitcnt lgkmcnt(0)
	ds_read_b32 v2, v48 offset:32
	v_and_b32_e32 v1, v0, v1
	v_and_b32_e32 v0, v81, v82
	v_mbcnt_lo_u32_b32 v81, v0, 0
	v_mbcnt_hi_u32_b32 v81, v1, v81
	v_cmp_ne_u64_e64 s[90:91], 0, v[0:1]
	v_cmp_eq_u32_e64 s[92:93], 0, v81
	s_and_b64 s[92:93], s[90:91], s[92:93]
	; wave barrier
	s_and_saveexec_b64 s[90:91], s[92:93]
	s_cbranch_execz .LBB80_10
; %bb.9:                                ;   in Loop: Header=BB80_2 Depth=1
	v_bcnt_u32_b32 v0, v0, 0
	v_bcnt_u32_b32 v0, v1, v0
	s_waitcnt lgkmcnt(0)
	v_add_u32_e32 v0, v2, v0
	ds_write_b32 v48, v0 offset:32
.LBB80_10:                              ;   in Loop: Header=BB80_2 Depth=1
	s_or_b64 exec, exec, s[90:91]
	; wave barrier
	s_waitcnt lgkmcnt(0)
	s_barrier
	ds_read_b32 v0, v4 offset:32
	s_waitcnt lgkmcnt(0)
	s_nop 0
	v_mov_b32_dpp v1, v0 row_shr:1 row_mask:0xf bank_mask:0xf
	v_cndmask_b32_e64 v1, v1, 0, s[62:63]
	v_add_u32_e32 v0, v1, v0
	s_nop 1
	v_mov_b32_dpp v1, v0 row_shr:2 row_mask:0xf bank_mask:0xf
	v_cndmask_b32_e64 v1, 0, v1, s[72:73]
	v_add_u32_e32 v0, v0, v1
	;; [unrolled: 4-line block ×4, first 2 shown]
	s_nop 1
	v_mov_b32_dpp v1, v0 row_bcast:15 row_mask:0xf bank_mask:0xf
	v_cndmask_b32_e64 v1, v1, 0, s[78:79]
	v_add_u32_e32 v0, v0, v1
	s_nop 1
	v_mov_b32_dpp v1, v0 row_bcast:31 row_mask:0xf bank_mask:0xf
	v_cndmask_b32_e64 v1, 0, v1, s[80:81]
	v_add_u32_e32 v0, v0, v1
	s_and_saveexec_b64 s[90:91], s[2:3]
; %bb.11:                               ;   in Loop: Header=BB80_2 Depth=1
	ds_write_b32 v10, v0
; %bb.12:                               ;   in Loop: Header=BB80_2 Depth=1
	s_or_b64 exec, exec, s[90:91]
	s_waitcnt lgkmcnt(0)
	s_barrier
	s_and_saveexec_b64 s[90:91], vcc
	s_cbranch_execz .LBB80_14
; %bb.13:                               ;   in Loop: Header=BB80_2 Depth=1
	ds_read_b32 v1, v4
	s_waitcnt lgkmcnt(0)
	s_nop 0
	v_mov_b32_dpp v2, v1 row_shr:1 row_mask:0xf bank_mask:0xf
	v_cndmask_b32_e64 v2, v2, 0, s[82:83]
	v_add_u32_e32 v1, v2, v1
	s_nop 1
	v_mov_b32_dpp v2, v1 row_shr:2 row_mask:0xf bank_mask:0xf
	v_cndmask_b32_e64 v2, 0, v2, s[84:85]
	v_add_u32_e32 v1, v1, v2
	;; [unrolled: 4-line block ×3, first 2 shown]
	ds_write_b32 v4, v1
.LBB80_14:                              ;   in Loop: Header=BB80_2 Depth=1
	s_or_b64 exec, exec, s[90:91]
	v_mov_b32_e32 v1, 0
	s_waitcnt lgkmcnt(0)
	s_barrier
	s_and_saveexec_b64 s[90:91], s[0:1]
; %bb.15:                               ;   in Loop: Header=BB80_2 Depth=1
	ds_read_b32 v1, v41
; %bb.16:                               ;   in Loop: Header=BB80_2 Depth=1
	s_or_b64 exec, exec, s[90:91]
	s_waitcnt lgkmcnt(0)
	v_add_u32_e32 v0, v1, v0
	ds_bpermute_b32 v0, v9, v0
	v_cndmask_b32_e64 v2, 0, 1, s[38:39]
	s_waitcnt lgkmcnt(0)
	v_cndmask_b32_e64 v0, v0, v1, s[4:5]
	ds_write_b32 v4, v0 offset:32
	v_cndmask_b32_e64 v0, 0, 1, s[66:67]
	v_cmp_ne_u32_e64 s[90:91], 0, v0
	v_xor_b32_e32 v0, s91, v64
	v_xor_b32_e32 v1, s90, v28
	v_cmp_ne_u32_e64 s[90:91], 0, v2
	v_and_b32_e32 v0, exec_hi, v0
	v_xor_b32_e32 v2, s91, v65
	v_and_b32_e32 v0, v0, v2
	v_cndmask_b32_e64 v2, 0, 1, s[40:41]
	v_and_b32_e32 v1, exec_lo, v1
	v_xor_b32_e32 v81, s90, v25
	v_cmp_ne_u32_e64 s[90:91], 0, v2
	v_and_b32_e32 v1, v1, v81
	v_xor_b32_e32 v2, s91, v66
	v_xor_b32_e32 v81, s90, v26
	v_and_b32_e32 v0, v0, v2
	v_and_b32_e32 v2, v1, v81
	v_cndmask_b32_e64 v1, 0, 1, s[42:43]
	v_cmp_ne_u32_e64 s[90:91], 0, v1
	v_xor_b32_e32 v1, s91, v67
	v_xor_b32_e32 v81, s90, v27
	v_and_b32_e32 v1, v0, v1
	v_and_b32_e32 v0, v2, v81
	v_mbcnt_lo_u32_b32 v2, v0, 0
	v_mbcnt_hi_u32_b32 v2, v1, v2
	v_cmp_ne_u64_e64 s[90:91], 0, v[0:1]
	v_cmp_eq_u32_e64 s[92:93], 0, v2
	s_and_b64 s[92:93], s[90:91], s[92:93]
	s_waitcnt lgkmcnt(0)
	s_barrier
	ds_write_b32 v4, v3 offset:32
	s_waitcnt lgkmcnt(0)
	s_barrier
	; wave barrier
	s_and_saveexec_b64 s[90:91], s[92:93]
; %bb.17:                               ;   in Loop: Header=BB80_2 Depth=1
	v_bcnt_u32_b32 v0, v0, 0
	v_bcnt_u32_b32 v0, v1, v0
	v_add_u32_e32 v1, v8, v22
	ds_write_b32 v1, v0 offset:32
; %bb.18:                               ;   in Loop: Header=BB80_2 Depth=1
	s_or_b64 exec, exec, s[90:91]
	v_cndmask_b32_e64 v0, 0, 1, s[68:69]
	v_cmp_ne_u32_e64 s[90:91], 0, v0
	v_cndmask_b32_e64 v82, 0, 1, s[44:45]
	v_xor_b32_e32 v0, s91, v68
	v_xor_b32_e32 v1, s90, v33
	v_cmp_ne_u32_e64 s[90:91], 0, v82
	v_and_b32_e32 v0, exec_hi, v0
	v_xor_b32_e32 v82, s91, v69
	v_and_b32_e32 v0, v0, v82
	v_cndmask_b32_e64 v82, 0, 1, s[46:47]
	v_and_b32_e32 v1, exec_lo, v1
	v_xor_b32_e32 v83, s90, v30
	v_cmp_ne_u32_e64 s[90:91], 0, v82
	v_and_b32_e32 v1, v1, v83
	v_xor_b32_e32 v82, s91, v70
	v_xor_b32_e32 v83, s90, v31
	v_and_b32_e32 v0, v0, v82
	v_and_b32_e32 v82, v1, v83
	v_cndmask_b32_e64 v1, 0, 1, s[48:49]
	v_cmp_ne_u32_e64 s[90:91], 0, v1
	v_xor_b32_e32 v1, s91, v71
	v_xor_b32_e32 v83, s90, v32
	; wave barrier
	ds_read_b32 v81, v42 offset:32
	v_and_b32_e32 v1, v0, v1
	v_and_b32_e32 v0, v82, v83
	v_mbcnt_lo_u32_b32 v82, v0, 0
	v_mbcnt_hi_u32_b32 v82, v1, v82
	v_cmp_ne_u64_e64 s[90:91], 0, v[0:1]
	v_cmp_eq_u32_e64 s[92:93], 0, v82
	s_and_b64 s[92:93], s[90:91], s[92:93]
	; wave barrier
	s_and_saveexec_b64 s[90:91], s[92:93]
	s_cbranch_execz .LBB80_20
; %bb.19:                               ;   in Loop: Header=BB80_2 Depth=1
	v_bcnt_u32_b32 v0, v0, 0
	v_bcnt_u32_b32 v0, v1, v0
	s_waitcnt lgkmcnt(0)
	v_add_u32_e32 v0, v81, v0
	ds_write_b32 v42, v0 offset:32
.LBB80_20:                              ;   in Loop: Header=BB80_2 Depth=1
	s_or_b64 exec, exec, s[90:91]
	v_cndmask_b32_e64 v0, 0, 1, s[70:71]
	v_cmp_ne_u32_e64 s[90:91], 0, v0
	v_cndmask_b32_e64 v84, 0, 1, s[50:51]
	v_xor_b32_e32 v0, s91, v72
	v_xor_b32_e32 v1, s90, v37
	v_cmp_ne_u32_e64 s[90:91], 0, v84
	v_and_b32_e32 v0, exec_hi, v0
	v_xor_b32_e32 v84, s91, v75
	v_and_b32_e32 v0, v0, v84
	v_cndmask_b32_e64 v84, 0, 1, s[52:53]
	v_and_b32_e32 v1, exec_lo, v1
	v_xor_b32_e32 v85, s90, v34
	v_cmp_ne_u32_e64 s[90:91], 0, v84
	v_and_b32_e32 v1, v1, v85
	v_xor_b32_e32 v84, s91, v76
	v_xor_b32_e32 v85, s90, v35
	v_and_b32_e32 v0, v0, v84
	v_and_b32_e32 v84, v1, v85
	v_cndmask_b32_e64 v1, 0, 1, s[54:55]
	v_cmp_ne_u32_e64 s[90:91], 0, v1
	v_xor_b32_e32 v1, s91, v77
	v_xor_b32_e32 v85, s90, v36
	; wave barrier
	ds_read_b32 v83, v43 offset:32
	v_and_b32_e32 v1, v0, v1
	v_and_b32_e32 v0, v84, v85
	v_mbcnt_lo_u32_b32 v84, v0, 0
	v_mbcnt_hi_u32_b32 v84, v1, v84
	v_cmp_ne_u64_e64 s[90:91], 0, v[0:1]
	v_cmp_eq_u32_e64 s[92:93], 0, v84
	s_and_b64 s[92:93], s[90:91], s[92:93]
	; wave barrier
	s_and_saveexec_b64 s[90:91], s[92:93]
	s_cbranch_execz .LBB80_22
; %bb.21:                               ;   in Loop: Header=BB80_2 Depth=1
	v_bcnt_u32_b32 v0, v0, 0
	v_bcnt_u32_b32 v0, v1, v0
	s_waitcnt lgkmcnt(0)
	v_add_u32_e32 v0, v83, v0
	ds_write_b32 v43, v0 offset:32
.LBB80_22:                              ;   in Loop: Header=BB80_2 Depth=1
	;; [unrolled: 42-line block ×3, first 2 shown]
	s_or_b64 exec, exec, s[90:91]
	; wave barrier
	s_waitcnt lgkmcnt(0)
	s_barrier
	ds_read_b32 v0, v4 offset:32
	s_waitcnt lgkmcnt(0)
	s_nop 0
	v_mov_b32_dpp v1, v0 row_shr:1 row_mask:0xf bank_mask:0xf
	v_cndmask_b32_e64 v1, v1, 0, s[62:63]
	v_add_u32_e32 v0, v1, v0
	s_nop 1
	v_mov_b32_dpp v1, v0 row_shr:2 row_mask:0xf bank_mask:0xf
	v_cndmask_b32_e64 v1, 0, v1, s[72:73]
	v_add_u32_e32 v0, v0, v1
	;; [unrolled: 4-line block ×4, first 2 shown]
	s_nop 1
	v_mov_b32_dpp v1, v0 row_bcast:15 row_mask:0xf bank_mask:0xf
	v_cndmask_b32_e64 v1, v1, 0, s[78:79]
	v_add_u32_e32 v0, v0, v1
	s_nop 1
	v_mov_b32_dpp v1, v0 row_bcast:31 row_mask:0xf bank_mask:0xf
	v_cndmask_b32_e64 v1, 0, v1, s[80:81]
	v_add_u32_e32 v0, v0, v1
	s_and_saveexec_b64 s[90:91], s[2:3]
; %bb.25:                               ;   in Loop: Header=BB80_2 Depth=1
	ds_write_b32 v10, v0
; %bb.26:                               ;   in Loop: Header=BB80_2 Depth=1
	s_or_b64 exec, exec, s[90:91]
	s_waitcnt lgkmcnt(0)
	s_barrier
	s_and_saveexec_b64 s[90:91], vcc
	s_cbranch_execz .LBB80_28
; %bb.27:                               ;   in Loop: Header=BB80_2 Depth=1
	ds_read_b32 v1, v4
	s_waitcnt lgkmcnt(0)
	s_nop 0
	v_mov_b32_dpp v87, v1 row_shr:1 row_mask:0xf bank_mask:0xf
	v_cndmask_b32_e64 v87, v87, 0, s[82:83]
	v_add_u32_e32 v1, v87, v1
	s_nop 1
	v_mov_b32_dpp v87, v1 row_shr:2 row_mask:0xf bank_mask:0xf
	v_cndmask_b32_e64 v87, 0, v87, s[84:85]
	v_add_u32_e32 v1, v1, v87
	;; [unrolled: 4-line block ×3, first 2 shown]
	ds_write_b32 v4, v1
.LBB80_28:                              ;   in Loop: Header=BB80_2 Depth=1
	s_or_b64 exec, exec, s[90:91]
	v_mov_b32_e32 v1, 0
	s_waitcnt lgkmcnt(0)
	s_barrier
	s_and_saveexec_b64 s[90:91], s[0:1]
	s_cbranch_execz .LBB80_1
; %bb.29:                               ;   in Loop: Header=BB80_2 Depth=1
	ds_read_b32 v1, v41
	s_branch .LBB80_1
.LBB80_30:
	v_add_u32_e32 v0, v8, v22
	ds_read_b32 v0, v0 offset:32
	ds_read_b32 v1, v42 offset:32
	;; [unrolled: 1-line block ×4, first 2 shown]
	v_readlane_b32 s4, v88, 0
	v_readlane_b32 s6, v88, 2
	;; [unrolled: 1-line block ×3, first 2 shown]
	s_lshl_b64 s[0:1], s[94:95], 2
	s_mov_b64 s[2:3], s[6:7]
	s_add_u32 s0, s2, s0
	s_waitcnt lgkmcnt(3)
	v_add_u32_e32 v0, v0, v2
	s_waitcnt lgkmcnt(2)
	v_add3_u32 v1, v82, v81, v1
	s_waitcnt lgkmcnt(1)
	v_add3_u32 v2, v84, v83, v3
	;; [unrolled: 2-line block ×3, first 2 shown]
	s_addc_u32 s1, s3, s1
	v_lshlrev_b32_e32 v4, 2, v4
	v_readlane_b32 s5, v88, 1
	global_store_dwordx4 v4, v[0:3], s[0:1]
	s_endpgm
	.section	.rodata,"a",@progbits
	.p2align	6, 0x0
	.amdhsa_kernel _Z11rank_kernelIhLj4ELb0EL18RadixRankAlgorithm2ELj512ELj4ELj10EEvPKT_Pi
		.amdhsa_group_segment_fixed_size 2080
		.amdhsa_private_segment_fixed_size 0
		.amdhsa_kernarg_size 272
		.amdhsa_user_sgpr_count 6
		.amdhsa_user_sgpr_private_segment_buffer 1
		.amdhsa_user_sgpr_dispatch_ptr 0
		.amdhsa_user_sgpr_queue_ptr 0
		.amdhsa_user_sgpr_kernarg_segment_ptr 1
		.amdhsa_user_sgpr_dispatch_id 0
		.amdhsa_user_sgpr_flat_scratch_init 0
		.amdhsa_user_sgpr_private_segment_size 0
		.amdhsa_uses_dynamic_stack 0
		.amdhsa_system_sgpr_private_segment_wavefront_offset 0
		.amdhsa_system_sgpr_workgroup_id_x 1
		.amdhsa_system_sgpr_workgroup_id_y 0
		.amdhsa_system_sgpr_workgroup_id_z 0
		.amdhsa_system_sgpr_workgroup_info 0
		.amdhsa_system_vgpr_workitem_id 2
		.amdhsa_next_free_vgpr 89
		.amdhsa_next_free_sgpr 96
		.amdhsa_reserve_vcc 1
		.amdhsa_reserve_flat_scratch 0
		.amdhsa_float_round_mode_32 0
		.amdhsa_float_round_mode_16_64 0
		.amdhsa_float_denorm_mode_32 3
		.amdhsa_float_denorm_mode_16_64 3
		.amdhsa_dx10_clamp 1
		.amdhsa_ieee_mode 1
		.amdhsa_fp16_overflow 0
		.amdhsa_exception_fp_ieee_invalid_op 0
		.amdhsa_exception_fp_denorm_src 0
		.amdhsa_exception_fp_ieee_div_zero 0
		.amdhsa_exception_fp_ieee_overflow 0
		.amdhsa_exception_fp_ieee_underflow 0
		.amdhsa_exception_fp_ieee_inexact 0
		.amdhsa_exception_int_div_zero 0
	.end_amdhsa_kernel
	.section	.text._Z11rank_kernelIhLj4ELb0EL18RadixRankAlgorithm2ELj512ELj4ELj10EEvPKT_Pi,"axG",@progbits,_Z11rank_kernelIhLj4ELb0EL18RadixRankAlgorithm2ELj512ELj4ELj10EEvPKT_Pi,comdat
.Lfunc_end80:
	.size	_Z11rank_kernelIhLj4ELb0EL18RadixRankAlgorithm2ELj512ELj4ELj10EEvPKT_Pi, .Lfunc_end80-_Z11rank_kernelIhLj4ELb0EL18RadixRankAlgorithm2ELj512ELj4ELj10EEvPKT_Pi
                                        ; -- End function
	.set _Z11rank_kernelIhLj4ELb0EL18RadixRankAlgorithm2ELj512ELj4ELj10EEvPKT_Pi.num_vgpr, 89
	.set _Z11rank_kernelIhLj4ELb0EL18RadixRankAlgorithm2ELj512ELj4ELj10EEvPKT_Pi.num_agpr, 0
	.set _Z11rank_kernelIhLj4ELb0EL18RadixRankAlgorithm2ELj512ELj4ELj10EEvPKT_Pi.numbered_sgpr, 96
	.set _Z11rank_kernelIhLj4ELb0EL18RadixRankAlgorithm2ELj512ELj4ELj10EEvPKT_Pi.num_named_barrier, 0
	.set _Z11rank_kernelIhLj4ELb0EL18RadixRankAlgorithm2ELj512ELj4ELj10EEvPKT_Pi.private_seg_size, 0
	.set _Z11rank_kernelIhLj4ELb0EL18RadixRankAlgorithm2ELj512ELj4ELj10EEvPKT_Pi.uses_vcc, 1
	.set _Z11rank_kernelIhLj4ELb0EL18RadixRankAlgorithm2ELj512ELj4ELj10EEvPKT_Pi.uses_flat_scratch, 0
	.set _Z11rank_kernelIhLj4ELb0EL18RadixRankAlgorithm2ELj512ELj4ELj10EEvPKT_Pi.has_dyn_sized_stack, 0
	.set _Z11rank_kernelIhLj4ELb0EL18RadixRankAlgorithm2ELj512ELj4ELj10EEvPKT_Pi.has_recursion, 0
	.set _Z11rank_kernelIhLj4ELb0EL18RadixRankAlgorithm2ELj512ELj4ELj10EEvPKT_Pi.has_indirect_call, 0
	.section	.AMDGPU.csdata,"",@progbits
; Kernel info:
; codeLenInByte = 3952
; TotalNumSgprs: 100
; NumVgprs: 89
; ScratchSize: 0
; MemoryBound: 0
; FloatMode: 240
; IeeeMode: 1
; LDSByteSize: 2080 bytes/workgroup (compile time only)
; SGPRBlocks: 12
; VGPRBlocks: 22
; NumSGPRsForWavesPerEU: 100
; NumVGPRsForWavesPerEU: 89
; Occupancy: 2
; WaveLimiterHint : 0
; COMPUTE_PGM_RSRC2:SCRATCH_EN: 0
; COMPUTE_PGM_RSRC2:USER_SGPR: 6
; COMPUTE_PGM_RSRC2:TRAP_HANDLER: 0
; COMPUTE_PGM_RSRC2:TGID_X_EN: 1
; COMPUTE_PGM_RSRC2:TGID_Y_EN: 0
; COMPUTE_PGM_RSRC2:TGID_Z_EN: 0
; COMPUTE_PGM_RSRC2:TIDIG_COMP_CNT: 2
	.section	.text._Z11rank_kernelIhLj4ELb0EL18RadixRankAlgorithm0ELj512ELj8ELj10EEvPKT_Pi,"axG",@progbits,_Z11rank_kernelIhLj4ELb0EL18RadixRankAlgorithm0ELj512ELj8ELj10EEvPKT_Pi,comdat
	.protected	_Z11rank_kernelIhLj4ELb0EL18RadixRankAlgorithm0ELj512ELj8ELj10EEvPKT_Pi ; -- Begin function _Z11rank_kernelIhLj4ELb0EL18RadixRankAlgorithm0ELj512ELj8ELj10EEvPKT_Pi
	.globl	_Z11rank_kernelIhLj4ELb0EL18RadixRankAlgorithm0ELj512ELj8ELj10EEvPKT_Pi
	.p2align	8
	.type	_Z11rank_kernelIhLj4ELb0EL18RadixRankAlgorithm0ELj512ELj8ELj10EEvPKT_Pi,@function
_Z11rank_kernelIhLj4ELb0EL18RadixRankAlgorithm0ELj512ELj8ELj10EEvPKT_Pi: ; @_Z11rank_kernelIhLj4ELb0EL18RadixRankAlgorithm0ELj512ELj8ELj10EEvPKT_Pi
; %bb.0:
	s_load_dwordx4 s[24:27], s[4:5], 0x0
	s_lshl_b32 s28, s6, 12
	v_lshlrev_b32_e32 v1, 3, v0
	v_mbcnt_lo_u32_b32 v4, -1, 0
	v_mbcnt_hi_u32_b32 v5, -1, v4
	s_waitcnt lgkmcnt(0)
	s_add_u32 s0, s24, s28
	s_addc_u32 s1, s25, 0
	global_load_dwordx2 v[20:21], v1, s[0:1]
	v_or_b32_e32 v4, 63, v0
	v_lshrrev_b32_e32 v6, 4, v0
	v_subrev_co_u32_e64 v9, s[6:7], 1, v5
	v_and_b32_e32 v10, 64, v5
	v_and_b32_e32 v7, 15, v5
	;; [unrolled: 1-line block ×3, first 2 shown]
	v_cmp_eq_u32_e64 s[4:5], v0, v4
	v_and_b32_e32 v4, 28, v6
	v_and_b32_e32 v6, 7, v5
	v_cmp_lt_i32_e64 s[18:19], v9, v10
	s_movk_i32 s24, 0xe00
	v_cmp_lt_u32_e64 s[2:3], 31, v5
	v_cmp_eq_u32_e64 s[8:9], 0, v7
	v_cmp_lt_u32_e64 s[10:11], 1, v7
	v_cmp_lt_u32_e64 s[12:13], 3, v7
	;; [unrolled: 1-line block ×3, first 2 shown]
	v_cmp_eq_u32_e64 s[16:17], 0, v8
	v_cndmask_b32_e64 v5, v9, v5, s[18:19]
	v_cmp_eq_u32_e64 s[18:19], 0, v6
	v_cmp_lt_u32_e64 s[20:21], 1, v6
	v_cmp_lt_u32_e64 s[22:23], 3, v6
	v_lshlrev_b32_e32 v3, 5, v0
	v_cmp_gt_u32_e32 vcc, 8, v0
	v_cmp_lt_u32_e64 s[0:1], 63, v0
	v_mul_i32_i24_e32 v23, 0xffffffe4, v0
	s_mov_b32 s29, 0
	v_mov_b32_e32 v2, 0
	s_mov_b32 s33, 10
	v_lshlrev_b32_e32 v5, 2, v5
	s_waitcnt vmcnt(0)
	v_lshlrev_b32_e32 v6, 5, v20
	v_lshrrev_b32_e32 v7, 6, v20
	v_lshlrev_b32_e32 v8, 9, v20
	v_lshrrev_b32_e32 v9, 2, v20
	;; [unrolled: 2-line block ×3, first 2 shown]
	v_lshrrev_b32_e32 v12, 7, v20
	v_lshrrev_b32_e32 v13, 18, v20
	;; [unrolled: 1-line block ×4, first 2 shown]
	v_lshlrev_b32_e32 v16, 9, v21
	v_lshrrev_b32_e32 v17, 2, v21
	v_and_or_b32 v6, v6, s24, v0
	v_and_b32_e32 v7, 2, v7
	v_and_or_b32 v8, v8, s24, v0
	v_and_b32_e32 v9, 2, v9
	;; [unrolled: 2-line block ×6, first 2 shown]
	v_lshl_or_b32 v6, v6, 2, v7
	v_lshl_or_b32 v7, v8, 2, v9
	;; [unrolled: 1-line block ×6, first 2 shown]
	v_lshrrev_b32_e32 v15, 11, v20
	v_lshrrev_b32_e32 v17, 22, v20
	v_and_or_b32 v15, v15, s24, v0
	v_and_b32_e32 v17, 2, v17
	v_lshl_or_b32 v15, v15, 2, v17
	v_lshrrev_b32_e32 v17, 19, v20
	v_lshlrev_b32_e32 v18, 1, v21
	v_lshrrev_b32_e32 v19, 10, v21
	v_and_or_b32 v17, v17, s24, v0
	v_and_or_b32 v18, v18, s24, v0
	v_and_b32_e32 v19, 2, v19
	v_alignbit_b32 v17, v17, v20, 30
	v_lshl_or_b32 v13, v18, 2, v19
	v_and_b32_e32 v18, 0x3ffe, v17
	v_lshlrev_b32_e32 v17, 5, v21
	v_lshrrev_b32_e32 v19, 6, v21
	v_and_or_b32 v17, v17, s24, v0
	v_and_b32_e32 v19, 2, v19
	v_lshrrev_b32_e32 v22, 7, v21
	v_lshrrev_b32_e32 v24, 18, v21
	;; [unrolled: 1-line block ×4, first 2 shown]
	v_lshl_or_b32 v17, v17, 2, v19
	v_lshrrev_b32_e32 v19, 3, v21
	v_lshrrev_b32_e32 v20, 14, v21
	v_and_or_b32 v22, v22, s24, v0
	v_and_b32_e32 v24, 2, v24
	v_and_or_b32 v19, v19, s24, v0
	v_and_b32_e32 v20, 2, v20
	v_lshl_or_b32 v14, v22, 2, v24
	v_lshl_or_b32 v19, v19, 2, v20
	v_lshrrev_b32_e32 v20, 11, v21
	v_lshrrev_b32_e32 v22, 22, v21
	v_and_or_b32 v20, v20, s24, v0
	v_and_b32_e32 v22, 2, v22
	v_lshl_or_b32 v20, v20, 2, v22
	v_lshrrev_b32_e32 v22, 19, v21
	v_lshrrev_b32_e32 v25, 15, v21
	;; [unrolled: 1-line block ×3, first 2 shown]
	v_and_or_b32 v22, v22, s24, v0
	v_and_or_b32 v25, v25, s24, v0
	v_and_b32_e32 v26, 2, v26
	v_and_or_b32 v27, v27, s24, v0
	v_and_b32_e32 v28, 2, v28
	v_alignbit_b32 v21, v22, v21, 30
	v_lshlrev_b32_e32 v22, 2, v0
	v_or_b32_e32 v0, 0xc00, v0
	v_lshl_or_b32 v16, v25, 2, v26
	v_lshl_or_b32 v8, v27, 2, v28
	v_and_b32_e32 v21, 0x3ffe, v21
	v_cmp_gt_u32_e64 s[24:25], s24, v0
	v_add_u32_e32 v0, v3, v23
	s_branch .LBB81_2
.LBB81_1:                               ;   in Loop: Header=BB81_2 Depth=1
	s_or_b64 exec, exec, s[30:31]
	s_waitcnt lgkmcnt(0)
	v_add_u32_e32 v31, v32, v31
	ds_bpermute_b32 v31, v5, v31
	s_add_i32 s33, s33, -1
	s_cmp_eq_u32 s33, 0
	s_waitcnt lgkmcnt(0)
	v_cndmask_b32_e64 v31, v31, v32, s[6:7]
	ds_read_b32 v32, v2 offset:16412
	s_waitcnt lgkmcnt(0)
	v_lshl_add_u32 v35, v32, 16, v31
	ds_read2_b64 v[31:34], v3 offset1:1
	s_waitcnt lgkmcnt(0)
	v_add_u32_e32 v36, v35, v31
	v_add_u32_e32 v31, v32, v36
	;; [unrolled: 1-line block ×3, first 2 shown]
	ds_write2_b64 v3, v[35:36], v[31:32] offset1:1
	v_add_u32_e32 v31, v34, v32
	ds_read_b64 v[32:33], v3 offset:16
	ds_read_b32 v34, v3 offset:24
	s_waitcnt lgkmcnt(1)
	v_add_u32_e32 v32, v32, v31
	v_add_u32_e32 v33, v33, v32
	s_waitcnt lgkmcnt(0)
	v_add_u32_e32 v34, v34, v33
	ds_write2_b64 v3, v[31:32], v[33:34] offset0:2 offset1:3
	s_waitcnt lgkmcnt(0)
	s_barrier
	s_cbranch_scc1 .LBB81_18
.LBB81_2:                               ; =>This Inner Loop Header: Depth=1
	ds_write2st64_b32 v22, v2, v2 offset1:8
	ds_write2st64_b32 v22, v2, v2 offset0:16 offset1:24
	ds_write2st64_b32 v22, v2, v2 offset0:32 offset1:40
	ds_write_b32 v22, v2 offset:12288
	s_and_saveexec_b64 s[30:31], s[24:25]
; %bb.3:                                ;   in Loop: Header=BB81_2 Depth=1
	ds_write_b32 v22, v2 offset:14336
; %bb.4:                                ;   in Loop: Header=BB81_2 Depth=1
	s_or_b64 exec, exec, s[30:31]
	ds_read_u16 v23, v7
	s_waitcnt lgkmcnt(0)
	v_add_u16_e32 v23, 1, v23
	ds_write_b16 v7, v23
	ds_read_u16 v23, v9
	s_waitcnt lgkmcnt(0)
	v_add_u16_e32 v23, 1, v23
	ds_write_b16 v9, v23
	;; [unrolled: 4-line block ×8, first 2 shown]
	s_waitcnt lgkmcnt(0)
	s_barrier
	ds_read2_b64 v[23:26], v3 offset1:1
	ds_read2_b64 v[27:30], v3 offset0:2 offset1:3
	s_waitcnt lgkmcnt(1)
	v_add_u32_e32 v23, v24, v23
	v_add3_u32 v23, v23, v25, v26
	s_waitcnt lgkmcnt(0)
	v_add3_u32 v23, v23, v27, v28
	v_add3_u32 v23, v23, v29, v30
	s_nop 1
	v_mov_b32_dpp v24, v23 row_shr:1 row_mask:0xf bank_mask:0xf
	v_cndmask_b32_e64 v24, v24, 0, s[8:9]
	v_add_u32_e32 v23, v24, v23
	s_nop 1
	v_mov_b32_dpp v24, v23 row_shr:2 row_mask:0xf bank_mask:0xf
	v_cndmask_b32_e64 v24, 0, v24, s[10:11]
	v_add_u32_e32 v23, v23, v24
	;; [unrolled: 4-line block ×4, first 2 shown]
	s_nop 1
	v_mov_b32_dpp v24, v23 row_bcast:15 row_mask:0xf bank_mask:0xf
	v_cndmask_b32_e64 v24, v24, 0, s[16:17]
	v_add_u32_e32 v23, v23, v24
	s_nop 1
	v_mov_b32_dpp v24, v23 row_bcast:31 row_mask:0xf bank_mask:0xf
	v_cndmask_b32_e64 v24, 0, v24, s[2:3]
	v_add_u32_e32 v23, v23, v24
	s_and_saveexec_b64 s[30:31], s[4:5]
; %bb.5:                                ;   in Loop: Header=BB81_2 Depth=1
	ds_write_b32 v4, v23 offset:16384
; %bb.6:                                ;   in Loop: Header=BB81_2 Depth=1
	s_or_b64 exec, exec, s[30:31]
	s_waitcnt lgkmcnt(0)
	s_barrier
	s_and_saveexec_b64 s[30:31], vcc
	s_cbranch_execz .LBB81_8
; %bb.7:                                ;   in Loop: Header=BB81_2 Depth=1
	ds_read_b32 v24, v0 offset:16384
	s_waitcnt lgkmcnt(0)
	s_nop 0
	v_mov_b32_dpp v25, v24 row_shr:1 row_mask:0xf bank_mask:0xf
	v_cndmask_b32_e64 v25, v25, 0, s[18:19]
	v_add_u32_e32 v24, v25, v24
	s_nop 1
	v_mov_b32_dpp v25, v24 row_shr:2 row_mask:0xf bank_mask:0xf
	v_cndmask_b32_e64 v25, 0, v25, s[20:21]
	v_add_u32_e32 v24, v24, v25
	;; [unrolled: 4-line block ×3, first 2 shown]
	ds_write_b32 v0, v24 offset:16384
.LBB81_8:                               ;   in Loop: Header=BB81_2 Depth=1
	s_or_b64 exec, exec, s[30:31]
	v_mov_b32_e32 v24, 0
	s_waitcnt lgkmcnt(0)
	s_barrier
	s_and_saveexec_b64 s[30:31], s[0:1]
; %bb.9:                                ;   in Loop: Header=BB81_2 Depth=1
	ds_read_b32 v24, v4 offset:16380
; %bb.10:                               ;   in Loop: Header=BB81_2 Depth=1
	s_or_b64 exec, exec, s[30:31]
	s_waitcnt lgkmcnt(0)
	v_add_u32_e32 v23, v24, v23
	ds_bpermute_b32 v23, v5, v23
	ds_read_b32 v31, v2 offset:16412
	ds_read2_b64 v[25:28], v3 offset1:1
	ds_read_b64 v[29:30], v3 offset:16
	ds_read_b32 v32, v3 offset:24
	s_waitcnt lgkmcnt(4)
	v_cndmask_b32_e64 v23, v23, v24, s[6:7]
	s_waitcnt lgkmcnt(3)
	v_lshl_add_u32 v23, v31, 16, v23
	s_waitcnt lgkmcnt(2)
	v_add_u32_e32 v24, v23, v25
	v_add_u32_e32 v25, v26, v24
	;; [unrolled: 1-line block ×3, first 2 shown]
	ds_write2_b64 v3, v[23:24], v[25:26] offset1:1
	v_add_u32_e32 v23, v28, v26
	s_waitcnt lgkmcnt(2)
	v_add_u32_e32 v24, v29, v23
	v_add_u32_e32 v25, v30, v24
	s_waitcnt lgkmcnt(1)
	v_add_u32_e32 v26, v32, v25
	ds_write2_b64 v3, v[23:24], v[25:26] offset0:2 offset1:3
	s_waitcnt lgkmcnt(0)
	s_barrier
	ds_write2st64_b32 v22, v2, v2 offset1:8
	ds_write2st64_b32 v22, v2, v2 offset0:16 offset1:24
	ds_write2st64_b32 v22, v2, v2 offset0:32 offset1:40
	ds_write_b32 v22, v2 offset:12288
	s_and_saveexec_b64 s[30:31], s[24:25]
; %bb.11:                               ;   in Loop: Header=BB81_2 Depth=1
	ds_write_b32 v22, v2 offset:14336
; %bb.12:                               ;   in Loop: Header=BB81_2 Depth=1
	s_or_b64 exec, exec, s[30:31]
	ds_read_u16 v23, v6
	s_waitcnt lgkmcnt(0)
	v_add_u16_e32 v24, 1, v23
	ds_write_b16 v6, v24
	ds_read_u16 v24, v8
	s_waitcnt lgkmcnt(0)
	v_add_u16_e32 v25, 1, v24
	ds_write_b16 v8, v25
	;; [unrolled: 4-line block ×8, first 2 shown]
	s_waitcnt lgkmcnt(0)
	s_barrier
	ds_read2_b64 v[31:34], v3 offset1:1
	ds_read2_b64 v[35:38], v3 offset0:2 offset1:3
	s_waitcnt lgkmcnt(1)
	v_add_u32_e32 v31, v32, v31
	v_add3_u32 v31, v31, v33, v34
	s_waitcnt lgkmcnt(0)
	v_add3_u32 v31, v31, v35, v36
	v_add3_u32 v31, v31, v37, v38
	s_nop 1
	v_mov_b32_dpp v32, v31 row_shr:1 row_mask:0xf bank_mask:0xf
	v_cndmask_b32_e64 v32, v32, 0, s[8:9]
	v_add_u32_e32 v31, v32, v31
	s_nop 1
	v_mov_b32_dpp v32, v31 row_shr:2 row_mask:0xf bank_mask:0xf
	v_cndmask_b32_e64 v32, 0, v32, s[10:11]
	v_add_u32_e32 v31, v31, v32
	;; [unrolled: 4-line block ×4, first 2 shown]
	s_nop 1
	v_mov_b32_dpp v32, v31 row_bcast:15 row_mask:0xf bank_mask:0xf
	v_cndmask_b32_e64 v32, v32, 0, s[16:17]
	v_add_u32_e32 v31, v31, v32
	s_nop 1
	v_mov_b32_dpp v32, v31 row_bcast:31 row_mask:0xf bank_mask:0xf
	v_cndmask_b32_e64 v32, 0, v32, s[2:3]
	v_add_u32_e32 v31, v31, v32
	s_and_saveexec_b64 s[30:31], s[4:5]
; %bb.13:                               ;   in Loop: Header=BB81_2 Depth=1
	ds_write_b32 v4, v31 offset:16384
; %bb.14:                               ;   in Loop: Header=BB81_2 Depth=1
	s_or_b64 exec, exec, s[30:31]
	s_waitcnt lgkmcnt(0)
	s_barrier
	s_and_saveexec_b64 s[30:31], vcc
	s_cbranch_execz .LBB81_16
; %bb.15:                               ;   in Loop: Header=BB81_2 Depth=1
	ds_read_b32 v32, v0 offset:16384
	s_waitcnt lgkmcnt(0)
	s_nop 0
	v_mov_b32_dpp v33, v32 row_shr:1 row_mask:0xf bank_mask:0xf
	v_cndmask_b32_e64 v33, v33, 0, s[18:19]
	v_add_u32_e32 v32, v33, v32
	s_nop 1
	v_mov_b32_dpp v33, v32 row_shr:2 row_mask:0xf bank_mask:0xf
	v_cndmask_b32_e64 v33, 0, v33, s[20:21]
	v_add_u32_e32 v32, v32, v33
	s_nop 1
	v_mov_b32_dpp v33, v32 row_shr:4 row_mask:0xf bank_mask:0xf
	v_cndmask_b32_e64 v33, 0, v33, s[22:23]
	v_add_u32_e32 v32, v32, v33
	ds_write_b32 v0, v32 offset:16384
.LBB81_16:                              ;   in Loop: Header=BB81_2 Depth=1
	s_or_b64 exec, exec, s[30:31]
	v_mov_b32_e32 v32, 0
	s_waitcnt lgkmcnt(0)
	s_barrier
	s_and_saveexec_b64 s[30:31], s[0:1]
	s_cbranch_execz .LBB81_1
; %bb.17:                               ;   in Loop: Header=BB81_2 Depth=1
	ds_read_b32 v32, v4 offset:16380
	s_branch .LBB81_1
.LBB81_18:
	ds_read_u16 v0, v18
	ds_read_u16 v4, v15
	;; [unrolled: 1-line block ×8, first 2 shown]
	s_lshl_b64 s[0:1], s[28:29], 2
	s_add_u32 s0, s26, s0
	s_waitcnt lgkmcnt(4)
	v_add_u32_sdwa v2, v2, v23 dst_sel:DWORD dst_unused:UNUSED_PAD src0_sel:DWORD src1_sel:WORD_0
	v_add_u32_sdwa v3, v3, v24 dst_sel:DWORD dst_unused:UNUSED_PAD src0_sel:DWORD src1_sel:WORD_0
	;; [unrolled: 1-line block ×4, first 2 shown]
	s_addc_u32 s1, s27, s1
	v_lshlrev_b32_e32 v0, 2, v1
	s_waitcnt lgkmcnt(0)
	v_add_u32_sdwa v6, v6, v27 dst_sel:DWORD dst_unused:UNUSED_PAD src0_sel:DWORD src1_sel:WORD_0
	v_add_u32_sdwa v7, v7, v28 dst_sel:DWORD dst_unused:UNUSED_PAD src0_sel:DWORD src1_sel:WORD_0
	;; [unrolled: 1-line block ×4, first 2 shown]
	global_store_dwordx4 v0, v[2:5], s[0:1]
	global_store_dwordx4 v0, v[6:9], s[0:1] offset:16
	s_endpgm
	.section	.rodata,"a",@progbits
	.p2align	6, 0x0
	.amdhsa_kernel _Z11rank_kernelIhLj4ELb0EL18RadixRankAlgorithm0ELj512ELj8ELj10EEvPKT_Pi
		.amdhsa_group_segment_fixed_size 16416
		.amdhsa_private_segment_fixed_size 0
		.amdhsa_kernarg_size 16
		.amdhsa_user_sgpr_count 6
		.amdhsa_user_sgpr_private_segment_buffer 1
		.amdhsa_user_sgpr_dispatch_ptr 0
		.amdhsa_user_sgpr_queue_ptr 0
		.amdhsa_user_sgpr_kernarg_segment_ptr 1
		.amdhsa_user_sgpr_dispatch_id 0
		.amdhsa_user_sgpr_flat_scratch_init 0
		.amdhsa_user_sgpr_private_segment_size 0
		.amdhsa_uses_dynamic_stack 0
		.amdhsa_system_sgpr_private_segment_wavefront_offset 0
		.amdhsa_system_sgpr_workgroup_id_x 1
		.amdhsa_system_sgpr_workgroup_id_y 0
		.amdhsa_system_sgpr_workgroup_id_z 0
		.amdhsa_system_sgpr_workgroup_info 0
		.amdhsa_system_vgpr_workitem_id 0
		.amdhsa_next_free_vgpr 39
		.amdhsa_next_free_sgpr 93
		.amdhsa_reserve_vcc 1
		.amdhsa_reserve_flat_scratch 0
		.amdhsa_float_round_mode_32 0
		.amdhsa_float_round_mode_16_64 0
		.amdhsa_float_denorm_mode_32 3
		.amdhsa_float_denorm_mode_16_64 3
		.amdhsa_dx10_clamp 1
		.amdhsa_ieee_mode 1
		.amdhsa_fp16_overflow 0
		.amdhsa_exception_fp_ieee_invalid_op 0
		.amdhsa_exception_fp_denorm_src 0
		.amdhsa_exception_fp_ieee_div_zero 0
		.amdhsa_exception_fp_ieee_overflow 0
		.amdhsa_exception_fp_ieee_underflow 0
		.amdhsa_exception_fp_ieee_inexact 0
		.amdhsa_exception_int_div_zero 0
	.end_amdhsa_kernel
	.section	.text._Z11rank_kernelIhLj4ELb0EL18RadixRankAlgorithm0ELj512ELj8ELj10EEvPKT_Pi,"axG",@progbits,_Z11rank_kernelIhLj4ELb0EL18RadixRankAlgorithm0ELj512ELj8ELj10EEvPKT_Pi,comdat
.Lfunc_end81:
	.size	_Z11rank_kernelIhLj4ELb0EL18RadixRankAlgorithm0ELj512ELj8ELj10EEvPKT_Pi, .Lfunc_end81-_Z11rank_kernelIhLj4ELb0EL18RadixRankAlgorithm0ELj512ELj8ELj10EEvPKT_Pi
                                        ; -- End function
	.set _Z11rank_kernelIhLj4ELb0EL18RadixRankAlgorithm0ELj512ELj8ELj10EEvPKT_Pi.num_vgpr, 39
	.set _Z11rank_kernelIhLj4ELb0EL18RadixRankAlgorithm0ELj512ELj8ELj10EEvPKT_Pi.num_agpr, 0
	.set _Z11rank_kernelIhLj4ELb0EL18RadixRankAlgorithm0ELj512ELj8ELj10EEvPKT_Pi.numbered_sgpr, 34
	.set _Z11rank_kernelIhLj4ELb0EL18RadixRankAlgorithm0ELj512ELj8ELj10EEvPKT_Pi.num_named_barrier, 0
	.set _Z11rank_kernelIhLj4ELb0EL18RadixRankAlgorithm0ELj512ELj8ELj10EEvPKT_Pi.private_seg_size, 0
	.set _Z11rank_kernelIhLj4ELb0EL18RadixRankAlgorithm0ELj512ELj8ELj10EEvPKT_Pi.uses_vcc, 1
	.set _Z11rank_kernelIhLj4ELb0EL18RadixRankAlgorithm0ELj512ELj8ELj10EEvPKT_Pi.uses_flat_scratch, 0
	.set _Z11rank_kernelIhLj4ELb0EL18RadixRankAlgorithm0ELj512ELj8ELj10EEvPKT_Pi.has_dyn_sized_stack, 0
	.set _Z11rank_kernelIhLj4ELb0EL18RadixRankAlgorithm0ELj512ELj8ELj10EEvPKT_Pi.has_recursion, 0
	.set _Z11rank_kernelIhLj4ELb0EL18RadixRankAlgorithm0ELj512ELj8ELj10EEvPKT_Pi.has_indirect_call, 0
	.section	.AMDGPU.csdata,"",@progbits
; Kernel info:
; codeLenInByte = 2372
; TotalNumSgprs: 38
; NumVgprs: 39
; ScratchSize: 0
; MemoryBound: 0
; FloatMode: 240
; IeeeMode: 1
; LDSByteSize: 16416 bytes/workgroup (compile time only)
; SGPRBlocks: 12
; VGPRBlocks: 9
; NumSGPRsForWavesPerEU: 97
; NumVGPRsForWavesPerEU: 39
; Occupancy: 6
; WaveLimiterHint : 0
; COMPUTE_PGM_RSRC2:SCRATCH_EN: 0
; COMPUTE_PGM_RSRC2:USER_SGPR: 6
; COMPUTE_PGM_RSRC2:TRAP_HANDLER: 0
; COMPUTE_PGM_RSRC2:TGID_X_EN: 1
; COMPUTE_PGM_RSRC2:TGID_Y_EN: 0
; COMPUTE_PGM_RSRC2:TGID_Z_EN: 0
; COMPUTE_PGM_RSRC2:TIDIG_COMP_CNT: 0
	.section	.text._Z11rank_kernelIhLj4ELb0EL18RadixRankAlgorithm1ELj512ELj8ELj10EEvPKT_Pi,"axG",@progbits,_Z11rank_kernelIhLj4ELb0EL18RadixRankAlgorithm1ELj512ELj8ELj10EEvPKT_Pi,comdat
	.protected	_Z11rank_kernelIhLj4ELb0EL18RadixRankAlgorithm1ELj512ELj8ELj10EEvPKT_Pi ; -- Begin function _Z11rank_kernelIhLj4ELb0EL18RadixRankAlgorithm1ELj512ELj8ELj10EEvPKT_Pi
	.globl	_Z11rank_kernelIhLj4ELb0EL18RadixRankAlgorithm1ELj512ELj8ELj10EEvPKT_Pi
	.p2align	8
	.type	_Z11rank_kernelIhLj4ELb0EL18RadixRankAlgorithm1ELj512ELj8ELj10EEvPKT_Pi,@function
_Z11rank_kernelIhLj4ELb0EL18RadixRankAlgorithm1ELj512ELj8ELj10EEvPKT_Pi: ; @_Z11rank_kernelIhLj4ELb0EL18RadixRankAlgorithm1ELj512ELj8ELj10EEvPKT_Pi
; %bb.0:
	s_load_dwordx4 s[24:27], s[4:5], 0x0
	s_lshl_b32 s28, s6, 12
	v_lshlrev_b32_e32 v8, 3, v0
	v_mbcnt_lo_u32_b32 v3, -1, 0
	v_mbcnt_hi_u32_b32 v3, -1, v3
	s_waitcnt lgkmcnt(0)
	s_add_u32 s0, s24, s28
	s_addc_u32 s1, s25, 0
	global_load_dwordx2 v[1:2], v8, s[0:1]
	v_or_b32_e32 v4, 63, v0
	v_cmp_eq_u32_e64 s[4:5], v0, v4
	v_subrev_co_u32_e64 v4, s[6:7], 1, v3
	v_and_b32_e32 v13, 64, v3
	v_lshrrev_b32_e32 v5, 4, v0
	v_cmp_lt_i32_e64 s[18:19], v4, v13
	v_and_b32_e32 v7, 15, v3
	v_and_b32_e32 v12, 16, v3
	v_cmp_lt_u32_e64 s[2:3], 31, v3
	v_and_b32_e32 v11, 28, v5
	v_and_b32_e32 v5, 7, v3
	v_cndmask_b32_e64 v3, v4, v3, s[18:19]
	s_movk_i32 s24, 0xe00
	v_cmp_eq_u32_e64 s[16:17], 0, v12
	v_lshlrev_b32_e32 v12, 2, v3
	v_cmp_eq_u32_e64 s[8:9], 0, v7
	v_cmp_lt_u32_e64 s[10:11], 1, v7
	v_cmp_lt_u32_e64 s[12:13], 3, v7
	;; [unrolled: 1-line block ×3, first 2 shown]
	v_cmp_eq_u32_e64 s[18:19], 0, v5
	v_cmp_lt_u32_e64 s[20:21], 1, v5
	v_cmp_lt_u32_e64 s[22:23], 3, v5
	v_lshlrev_b32_e32 v10, 5, v0
	v_cmp_gt_u32_e32 vcc, 8, v0
	v_cmp_lt_u32_e64 s[0:1], 63, v0
	v_mul_i32_i24_e32 v6, 0xffffffe4, v0
	s_mov_b32 s29, 0
	v_mov_b32_e32 v9, 0
	s_mov_b32 s33, 10
	s_waitcnt vmcnt(0)
	v_lshlrev_b32_e32 v3, 5, v1
	v_lshrrev_b32_e32 v4, 6, v1
	v_lshlrev_b32_e32 v13, 1, v1
	v_and_or_b32 v3, v3, s24, v0
	v_and_b32_e32 v4, 2, v4
	v_lshlrev_b32_e32 v19, 9, v2
	v_lshrrev_b32_e32 v20, 2, v2
	v_lshlrev_b32_e32 v21, 1, v2
	v_lshrrev_b32_e32 v22, 10, v2
	v_and_or_b32 v29, v13, s24, v0
	v_lshl_or_b32 v13, v3, 2, v4
	v_lshrrev_b32_e32 v3, 11, v1
	v_lshrrev_b32_e32 v4, 22, v1
	v_and_or_b32 v19, v19, s24, v0
	v_and_b32_e32 v20, 2, v20
	v_and_or_b32 v21, v21, s24, v0
	v_and_b32_e32 v22, 2, v22
	;; [unrolled: 2-line block ×3, first 2 shown]
	v_lshl_or_b32 v19, v19, 2, v20
	v_lshl_or_b32 v20, v21, 2, v22
	;; [unrolled: 1-line block ×3, first 2 shown]
	v_lshrrev_b32_e32 v3, 19, v1
	v_lshrrev_b32_e32 v23, 7, v2
	;; [unrolled: 1-line block ×5, first 2 shown]
	v_and_or_b32 v3, v3, s24, v0
	v_lshlrev_b32_e32 v5, 9, v1
	v_lshrrev_b32_e32 v7, 2, v1
	v_lshrrev_b32_e32 v14, 10, v1
	;; [unrolled: 1-line block ×8, first 2 shown]
	v_and_or_b32 v23, v23, s24, v0
	v_and_b32_e32 v24, 2, v24
	v_and_or_b32 v25, v25, s24, v0
	v_and_b32_e32 v26, 2, v26
	v_alignbit_b32 v1, v3, v1, 30
	v_lshl_or_b32 v21, v23, 2, v24
	v_lshl_or_b32 v23, v25, 2, v26
	v_and_b32_e32 v25, 0x3ffe, v1
	v_lshlrev_b32_e32 v1, 5, v2
	v_lshrrev_b32_e32 v3, 6, v2
	v_and_or_b32 v1, v1, s24, v0
	v_and_b32_e32 v3, 2, v3
	v_lshl_or_b32 v24, v1, 2, v3
	v_lshrrev_b32_e32 v1, 3, v2
	v_lshrrev_b32_e32 v3, 14, v2
	v_and_or_b32 v1, v1, s24, v0
	v_and_b32_e32 v3, 2, v3
	v_lshl_or_b32 v26, v1, 2, v3
	v_lshrrev_b32_e32 v1, 11, v2
	v_lshrrev_b32_e32 v3, 22, v2
	v_and_or_b32 v15, v15, s24, v0
	v_and_b32_e32 v31, 2, v16
	v_and_or_b32 v27, v27, s24, v0
	v_and_b32_e32 v28, 2, v28
	;; [unrolled: 2-line block ×3, first 2 shown]
	v_and_or_b32 v32, v17, s24, v0
	v_lshl_or_b32 v17, v15, 2, v31
	v_lshl_or_b32 v15, v27, 2, v28
	;; [unrolled: 1-line block ×3, first 2 shown]
	v_lshrrev_b32_e32 v1, 19, v2
	v_and_b32_e32 v30, 2, v14
	v_and_or_b32 v1, v1, s24, v0
	v_and_or_b32 v5, v5, s24, v0
	v_and_b32_e32 v7, 2, v7
	v_and_b32_e32 v18, 2, v18
	v_lshl_or_b32 v16, v29, 2, v30
	v_alignbit_b32 v1, v1, v2, 30
	v_lshlrev_b32_e32 v29, 2, v0
	v_or_b32_e32 v0, 0xc00, v0
	v_lshl_or_b32 v14, v5, 2, v7
	v_lshl_or_b32 v18, v32, 2, v18
	v_and_b32_e32 v28, 0x3ffe, v1
	v_cmp_gt_u32_e64 s[24:25], s24, v0
	v_add_u32_e32 v30, v10, v6
	s_branch .LBB82_2
.LBB82_1:                               ;   in Loop: Header=BB82_2 Depth=1
	s_or_b64 exec, exec, s[30:31]
	s_waitcnt lgkmcnt(0)
	v_add_u32_e32 v3, v39, v3
	ds_bpermute_b32 v3, v12, v3
	ds_read_b32 v40, v9 offset:16412
	s_add_i32 s33, s33, -1
	s_cmp_eq_u32 s33, 0
	s_waitcnt lgkmcnt(1)
	v_cndmask_b32_e64 v3, v3, v39, s[6:7]
	s_waitcnt lgkmcnt(0)
	v_lshl_add_u32 v3, v40, 16, v3
	v_add_u32_e32 v4, v3, v4
	v_add_u32_e32 v5, v4, v5
	;; [unrolled: 1-line block ×7, first 2 shown]
	ds_write2_b64 v10, v[3:4], v[5:6] offset1:1
	ds_write2_b64 v10, v[39:40], v[0:1] offset0:2 offset1:3
	s_waitcnt lgkmcnt(0)
	s_barrier
	s_cbranch_scc1 .LBB82_18
.LBB82_2:                               ; =>This Inner Loop Header: Depth=1
	ds_write2st64_b32 v29, v9, v9 offset1:8
	ds_write2st64_b32 v29, v9, v9 offset0:16 offset1:24
	ds_write2st64_b32 v29, v9, v9 offset0:32 offset1:40
	ds_write_b32 v29, v9 offset:12288
	s_and_saveexec_b64 s[30:31], s[24:25]
; %bb.3:                                ;   in Loop: Header=BB82_2 Depth=1
	ds_write_b32 v29, v9 offset:14336
; %bb.4:                                ;   in Loop: Header=BB82_2 Depth=1
	s_or_b64 exec, exec, s[30:31]
	ds_read_u16 v0, v14
	s_waitcnt lgkmcnt(0)
	v_add_u16_e32 v0, 1, v0
	ds_write_b16 v14, v0
	ds_read_u16 v0, v16
	s_waitcnt lgkmcnt(0)
	v_add_u16_e32 v0, 1, v0
	ds_write_b16 v16, v0
	;; [unrolled: 4-line block ×8, first 2 shown]
	s_waitcnt lgkmcnt(0)
	s_barrier
	ds_read2_b64 v[4:7], v10 offset1:1
	ds_read2_b64 v[0:3], v10 offset0:2 offset1:3
	s_waitcnt lgkmcnt(1)
	v_add_u32_e32 v31, v5, v4
	v_add3_u32 v31, v31, v6, v7
	s_waitcnt lgkmcnt(0)
	v_add3_u32 v31, v31, v0, v1
	v_add3_u32 v3, v31, v2, v3
	s_nop 1
	v_mov_b32_dpp v31, v3 row_shr:1 row_mask:0xf bank_mask:0xf
	v_cndmask_b32_e64 v31, v31, 0, s[8:9]
	v_add_u32_e32 v3, v31, v3
	s_nop 1
	v_mov_b32_dpp v31, v3 row_shr:2 row_mask:0xf bank_mask:0xf
	v_cndmask_b32_e64 v31, 0, v31, s[10:11]
	v_add_u32_e32 v3, v3, v31
	;; [unrolled: 4-line block ×4, first 2 shown]
	s_nop 1
	v_mov_b32_dpp v31, v3 row_bcast:15 row_mask:0xf bank_mask:0xf
	v_cndmask_b32_e64 v31, v31, 0, s[16:17]
	v_add_u32_e32 v3, v3, v31
	s_nop 1
	v_mov_b32_dpp v31, v3 row_bcast:31 row_mask:0xf bank_mask:0xf
	v_cndmask_b32_e64 v31, 0, v31, s[2:3]
	v_add_u32_e32 v3, v3, v31
	s_and_saveexec_b64 s[30:31], s[4:5]
; %bb.5:                                ;   in Loop: Header=BB82_2 Depth=1
	ds_write_b32 v11, v3 offset:16384
; %bb.6:                                ;   in Loop: Header=BB82_2 Depth=1
	s_or_b64 exec, exec, s[30:31]
	s_waitcnt lgkmcnt(0)
	s_barrier
	s_and_saveexec_b64 s[30:31], vcc
	s_cbranch_execz .LBB82_8
; %bb.7:                                ;   in Loop: Header=BB82_2 Depth=1
	ds_read_b32 v31, v30 offset:16384
	s_waitcnt lgkmcnt(0)
	s_nop 0
	v_mov_b32_dpp v32, v31 row_shr:1 row_mask:0xf bank_mask:0xf
	v_cndmask_b32_e64 v32, v32, 0, s[18:19]
	v_add_u32_e32 v31, v32, v31
	s_nop 1
	v_mov_b32_dpp v32, v31 row_shr:2 row_mask:0xf bank_mask:0xf
	v_cndmask_b32_e64 v32, 0, v32, s[20:21]
	v_add_u32_e32 v31, v31, v32
	;; [unrolled: 4-line block ×3, first 2 shown]
	ds_write_b32 v30, v31 offset:16384
.LBB82_8:                               ;   in Loop: Header=BB82_2 Depth=1
	s_or_b64 exec, exec, s[30:31]
	v_mov_b32_e32 v31, 0
	s_waitcnt lgkmcnt(0)
	s_barrier
	s_and_saveexec_b64 s[30:31], s[0:1]
; %bb.9:                                ;   in Loop: Header=BB82_2 Depth=1
	ds_read_b32 v31, v11 offset:16380
; %bb.10:                               ;   in Loop: Header=BB82_2 Depth=1
	s_or_b64 exec, exec, s[30:31]
	s_waitcnt lgkmcnt(0)
	v_add_u32_e32 v3, v31, v3
	ds_bpermute_b32 v3, v12, v3
	ds_read_b32 v32, v9 offset:16412
	s_waitcnt lgkmcnt(1)
	v_cndmask_b32_e64 v3, v3, v31, s[6:7]
	s_waitcnt lgkmcnt(0)
	v_lshl_add_u32 v3, v32, 16, v3
	v_add_u32_e32 v4, v3, v4
	v_add_u32_e32 v5, v4, v5
	;; [unrolled: 1-line block ×7, first 2 shown]
	ds_write2_b64 v10, v[3:4], v[5:6] offset1:1
	ds_write2_b64 v10, v[31:32], v[0:1] offset0:2 offset1:3
	s_waitcnt lgkmcnt(0)
	s_barrier
	ds_write2st64_b32 v29, v9, v9 offset1:8
	ds_write2st64_b32 v29, v9, v9 offset0:16 offset1:24
	ds_write2st64_b32 v29, v9, v9 offset0:32 offset1:40
	ds_write_b32 v29, v9 offset:12288
	s_and_saveexec_b64 s[30:31], s[24:25]
; %bb.11:                               ;   in Loop: Header=BB82_2 Depth=1
	ds_write_b32 v29, v9 offset:14336
; %bb.12:                               ;   in Loop: Header=BB82_2 Depth=1
	s_or_b64 exec, exec, s[30:31]
	ds_read_u16 v31, v13
	s_waitcnt lgkmcnt(0)
	v_add_u16_e32 v0, 1, v31
	ds_write_b16 v13, v0
	ds_read_u16 v32, v15
	s_waitcnt lgkmcnt(0)
	v_add_u16_e32 v0, 1, v32
	ds_write_b16 v15, v0
	;; [unrolled: 4-line block ×8, first 2 shown]
	s_waitcnt lgkmcnt(0)
	s_barrier
	ds_read2_b64 v[4:7], v10 offset1:1
	ds_read2_b64 v[0:3], v10 offset0:2 offset1:3
	s_waitcnt lgkmcnt(1)
	v_add_u32_e32 v39, v5, v4
	v_add3_u32 v39, v39, v6, v7
	s_waitcnt lgkmcnt(0)
	v_add3_u32 v39, v39, v0, v1
	v_add3_u32 v3, v39, v2, v3
	s_nop 1
	v_mov_b32_dpp v39, v3 row_shr:1 row_mask:0xf bank_mask:0xf
	v_cndmask_b32_e64 v39, v39, 0, s[8:9]
	v_add_u32_e32 v3, v39, v3
	s_nop 1
	v_mov_b32_dpp v39, v3 row_shr:2 row_mask:0xf bank_mask:0xf
	v_cndmask_b32_e64 v39, 0, v39, s[10:11]
	v_add_u32_e32 v3, v3, v39
	;; [unrolled: 4-line block ×4, first 2 shown]
	s_nop 1
	v_mov_b32_dpp v39, v3 row_bcast:15 row_mask:0xf bank_mask:0xf
	v_cndmask_b32_e64 v39, v39, 0, s[16:17]
	v_add_u32_e32 v3, v3, v39
	s_nop 1
	v_mov_b32_dpp v39, v3 row_bcast:31 row_mask:0xf bank_mask:0xf
	v_cndmask_b32_e64 v39, 0, v39, s[2:3]
	v_add_u32_e32 v3, v3, v39
	s_and_saveexec_b64 s[30:31], s[4:5]
; %bb.13:                               ;   in Loop: Header=BB82_2 Depth=1
	ds_write_b32 v11, v3 offset:16384
; %bb.14:                               ;   in Loop: Header=BB82_2 Depth=1
	s_or_b64 exec, exec, s[30:31]
	s_waitcnt lgkmcnt(0)
	s_barrier
	s_and_saveexec_b64 s[30:31], vcc
	s_cbranch_execz .LBB82_16
; %bb.15:                               ;   in Loop: Header=BB82_2 Depth=1
	ds_read_b32 v39, v30 offset:16384
	s_waitcnt lgkmcnt(0)
	s_nop 0
	v_mov_b32_dpp v40, v39 row_shr:1 row_mask:0xf bank_mask:0xf
	v_cndmask_b32_e64 v40, v40, 0, s[18:19]
	v_add_u32_e32 v39, v40, v39
	s_nop 1
	v_mov_b32_dpp v40, v39 row_shr:2 row_mask:0xf bank_mask:0xf
	v_cndmask_b32_e64 v40, 0, v40, s[20:21]
	v_add_u32_e32 v39, v39, v40
	;; [unrolled: 4-line block ×3, first 2 shown]
	ds_write_b32 v30, v39 offset:16384
.LBB82_16:                              ;   in Loop: Header=BB82_2 Depth=1
	s_or_b64 exec, exec, s[30:31]
	v_mov_b32_e32 v39, 0
	s_waitcnt lgkmcnt(0)
	s_barrier
	s_and_saveexec_b64 s[30:31], s[0:1]
	s_cbranch_execz .LBB82_1
; %bb.17:                               ;   in Loop: Header=BB82_2 Depth=1
	ds_read_b32 v39, v11 offset:16380
	s_branch .LBB82_1
.LBB82_18:
	ds_read_u16 v3, v25
	ds_read_u16 v2, v22
	;; [unrolled: 1-line block ×8, first 2 shown]
	s_lshl_b64 s[0:1], s[28:29], 2
	s_add_u32 s0, s26, s0
	s_waitcnt lgkmcnt(4)
	v_add_u32_sdwa v0, v0, v31 dst_sel:DWORD dst_unused:UNUSED_PAD src0_sel:DWORD src1_sel:WORD_0
	v_add_u32_sdwa v1, v1, v32 dst_sel:DWORD dst_unused:UNUSED_PAD src0_sel:DWORD src1_sel:WORD_0
	;; [unrolled: 1-line block ×4, first 2 shown]
	s_addc_u32 s1, s27, s1
	v_lshlrev_b32_e32 v8, 2, v8
	s_waitcnt lgkmcnt(0)
	v_add_u32_sdwa v4, v4, v35 dst_sel:DWORD dst_unused:UNUSED_PAD src0_sel:DWORD src1_sel:WORD_0
	v_add_u32_sdwa v5, v5, v36 dst_sel:DWORD dst_unused:UNUSED_PAD src0_sel:DWORD src1_sel:WORD_0
	;; [unrolled: 1-line block ×4, first 2 shown]
	global_store_dwordx4 v8, v[0:3], s[0:1]
	global_store_dwordx4 v8, v[4:7], s[0:1] offset:16
	s_endpgm
	.section	.rodata,"a",@progbits
	.p2align	6, 0x0
	.amdhsa_kernel _Z11rank_kernelIhLj4ELb0EL18RadixRankAlgorithm1ELj512ELj8ELj10EEvPKT_Pi
		.amdhsa_group_segment_fixed_size 16416
		.amdhsa_private_segment_fixed_size 0
		.amdhsa_kernarg_size 16
		.amdhsa_user_sgpr_count 6
		.amdhsa_user_sgpr_private_segment_buffer 1
		.amdhsa_user_sgpr_dispatch_ptr 0
		.amdhsa_user_sgpr_queue_ptr 0
		.amdhsa_user_sgpr_kernarg_segment_ptr 1
		.amdhsa_user_sgpr_dispatch_id 0
		.amdhsa_user_sgpr_flat_scratch_init 0
		.amdhsa_user_sgpr_private_segment_size 0
		.amdhsa_uses_dynamic_stack 0
		.amdhsa_system_sgpr_private_segment_wavefront_offset 0
		.amdhsa_system_sgpr_workgroup_id_x 1
		.amdhsa_system_sgpr_workgroup_id_y 0
		.amdhsa_system_sgpr_workgroup_id_z 0
		.amdhsa_system_sgpr_workgroup_info 0
		.amdhsa_system_vgpr_workitem_id 0
		.amdhsa_next_free_vgpr 41
		.amdhsa_next_free_sgpr 93
		.amdhsa_reserve_vcc 1
		.amdhsa_reserve_flat_scratch 0
		.amdhsa_float_round_mode_32 0
		.amdhsa_float_round_mode_16_64 0
		.amdhsa_float_denorm_mode_32 3
		.amdhsa_float_denorm_mode_16_64 3
		.amdhsa_dx10_clamp 1
		.amdhsa_ieee_mode 1
		.amdhsa_fp16_overflow 0
		.amdhsa_exception_fp_ieee_invalid_op 0
		.amdhsa_exception_fp_denorm_src 0
		.amdhsa_exception_fp_ieee_div_zero 0
		.amdhsa_exception_fp_ieee_overflow 0
		.amdhsa_exception_fp_ieee_underflow 0
		.amdhsa_exception_fp_ieee_inexact 0
		.amdhsa_exception_int_div_zero 0
	.end_amdhsa_kernel
	.section	.text._Z11rank_kernelIhLj4ELb0EL18RadixRankAlgorithm1ELj512ELj8ELj10EEvPKT_Pi,"axG",@progbits,_Z11rank_kernelIhLj4ELb0EL18RadixRankAlgorithm1ELj512ELj8ELj10EEvPKT_Pi,comdat
.Lfunc_end82:
	.size	_Z11rank_kernelIhLj4ELb0EL18RadixRankAlgorithm1ELj512ELj8ELj10EEvPKT_Pi, .Lfunc_end82-_Z11rank_kernelIhLj4ELb0EL18RadixRankAlgorithm1ELj512ELj8ELj10EEvPKT_Pi
                                        ; -- End function
	.set _Z11rank_kernelIhLj4ELb0EL18RadixRankAlgorithm1ELj512ELj8ELj10EEvPKT_Pi.num_vgpr, 41
	.set _Z11rank_kernelIhLj4ELb0EL18RadixRankAlgorithm1ELj512ELj8ELj10EEvPKT_Pi.num_agpr, 0
	.set _Z11rank_kernelIhLj4ELb0EL18RadixRankAlgorithm1ELj512ELj8ELj10EEvPKT_Pi.numbered_sgpr, 34
	.set _Z11rank_kernelIhLj4ELb0EL18RadixRankAlgorithm1ELj512ELj8ELj10EEvPKT_Pi.num_named_barrier, 0
	.set _Z11rank_kernelIhLj4ELb0EL18RadixRankAlgorithm1ELj512ELj8ELj10EEvPKT_Pi.private_seg_size, 0
	.set _Z11rank_kernelIhLj4ELb0EL18RadixRankAlgorithm1ELj512ELj8ELj10EEvPKT_Pi.uses_vcc, 1
	.set _Z11rank_kernelIhLj4ELb0EL18RadixRankAlgorithm1ELj512ELj8ELj10EEvPKT_Pi.uses_flat_scratch, 0
	.set _Z11rank_kernelIhLj4ELb0EL18RadixRankAlgorithm1ELj512ELj8ELj10EEvPKT_Pi.has_dyn_sized_stack, 0
	.set _Z11rank_kernelIhLj4ELb0EL18RadixRankAlgorithm1ELj512ELj8ELj10EEvPKT_Pi.has_recursion, 0
	.set _Z11rank_kernelIhLj4ELb0EL18RadixRankAlgorithm1ELj512ELj8ELj10EEvPKT_Pi.has_indirect_call, 0
	.section	.AMDGPU.csdata,"",@progbits
; Kernel info:
; codeLenInByte = 2300
; TotalNumSgprs: 38
; NumVgprs: 41
; ScratchSize: 0
; MemoryBound: 0
; FloatMode: 240
; IeeeMode: 1
; LDSByteSize: 16416 bytes/workgroup (compile time only)
; SGPRBlocks: 12
; VGPRBlocks: 10
; NumSGPRsForWavesPerEU: 97
; NumVGPRsForWavesPerEU: 41
; Occupancy: 5
; WaveLimiterHint : 0
; COMPUTE_PGM_RSRC2:SCRATCH_EN: 0
; COMPUTE_PGM_RSRC2:USER_SGPR: 6
; COMPUTE_PGM_RSRC2:TRAP_HANDLER: 0
; COMPUTE_PGM_RSRC2:TGID_X_EN: 1
; COMPUTE_PGM_RSRC2:TGID_Y_EN: 0
; COMPUTE_PGM_RSRC2:TGID_Z_EN: 0
; COMPUTE_PGM_RSRC2:TIDIG_COMP_CNT: 0
	.section	.text._Z11rank_kernelIhLj4ELb0EL18RadixRankAlgorithm2ELj512ELj8ELj10EEvPKT_Pi,"axG",@progbits,_Z11rank_kernelIhLj4ELb0EL18RadixRankAlgorithm2ELj512ELj8ELj10EEvPKT_Pi,comdat
	.protected	_Z11rank_kernelIhLj4ELb0EL18RadixRankAlgorithm2ELj512ELj8ELj10EEvPKT_Pi ; -- Begin function _Z11rank_kernelIhLj4ELb0EL18RadixRankAlgorithm2ELj512ELj8ELj10EEvPKT_Pi
	.globl	_Z11rank_kernelIhLj4ELb0EL18RadixRankAlgorithm2ELj512ELj8ELj10EEvPKT_Pi
	.p2align	8
	.type	_Z11rank_kernelIhLj4ELb0EL18RadixRankAlgorithm2ELj512ELj8ELj10EEvPKT_Pi,@function
_Z11rank_kernelIhLj4ELb0EL18RadixRankAlgorithm2ELj512ELj8ELj10EEvPKT_Pi: ; @_Z11rank_kernelIhLj4ELb0EL18RadixRankAlgorithm2ELj512ELj8ELj10EEvPKT_Pi
; %bb.0:
	s_load_dwordx4 s[8:11], s[4:5], 0x0
	s_mov_b64 s[98:99], s[2:3]
	s_mov_b64 s[96:97], s[0:1]
	s_add_u32 s96, s96, s7
	s_addc_u32 s97, s97, 0
	s_lshl_b32 s26, s6, 12
	s_load_dword s2, s[4:5], 0x1c
	s_waitcnt lgkmcnt(0)
	s_add_u32 s0, s8, s26
	s_addc_u32 s1, s9, 0
	v_lshlrev_b32_e32 v3, 3, v0
	global_load_dwordx2 v[5:6], v3, s[0:1]
	s_mov_b64 s[6:7], s[10:11]
                                        ; implicit-def: $vgpr126 : SGPR spill to VGPR lane
	s_lshr_b32 s0, s2, 16
	v_writelane_b32 v126, s4, 0
	s_and_b32 s1, s2, 0xffff
	v_mad_u32_u24 v1, v2, s0, v1
	v_writelane_b32 v126, s5, 1
	buffer_store_dword v3, off, s[96:99], 0 offset:168 ; 4-byte Folded Spill
	v_mov_b32_e32 v3, 0
	v_mad_u64_u32 v[1:2], s[0:1], v1, s1, v[0:1]
	v_writelane_b32 v126, s6, 2
	v_writelane_b32 v126, s7, 3
	v_mov_b32_e32 v9, 30
	v_mov_b32_e32 v10, 29
	;; [unrolled: 1-line block ×3, first 2 shown]
                                        ; implicit-def: $vgpr127 : SGPR spill to VGPR lane
	v_mov_b32_e32 v44, 15
	v_lshrrev_b32_e32 v1, 4, v1
	v_lshlrev_b32_e32 v58, 2, v0
	v_cmp_gt_u32_e64 s[92:93], 8, v0
	v_cmp_lt_u32_e64 s[94:95], 63, v0
	s_mov_b32 s27, 0
	s_mov_b32 s33, 10
	s_waitcnt vmcnt(1)
	v_lshlrev_b32_e32 v4, 30, v5
	v_cmp_gt_i64_e64 s[0:1], 0, v[3:4]
	v_not_b32_e32 v15, v4
	v_writelane_b32 v126, s0, 4
	v_lshlrev_b32_e32 v4, 29, v5
	v_writelane_b32 v126, s1, 5
	v_cmp_gt_i64_e64 s[0:1], 0, v[3:4]
	v_not_b32_e32 v17, v4
	v_writelane_b32 v126, s0, 6
	v_lshlrev_b32_e32 v4, 28, v5
	v_writelane_b32 v126, s1, 7
	v_cmp_gt_i64_e64 s[0:1], 0, v[3:4]
	v_lshrrev_b32_e32 v2, 8, v5
	v_writelane_b32 v126, s0, 8
	v_not_b32_e32 v20, v4
	v_lshlrev_b32_e32 v4, 30, v2
	v_writelane_b32 v126, s1, 9
	v_cmp_gt_i64_e64 s[0:1], 0, v[3:4]
	v_not_b32_e32 v23, v4
	v_writelane_b32 v126, s0, 10
	v_lshlrev_b32_e32 v4, 29, v2
	v_writelane_b32 v126, s1, 11
	v_cmp_gt_i64_e64 s[0:1], 0, v[3:4]
	v_not_b32_e32 v24, v4
	v_writelane_b32 v126, s0, 12
	;; [unrolled: 5-line block ×3, first 2 shown]
	v_lshlrev_b32_sdwa v4, v9, v5 dst_sel:DWORD dst_unused:UNUSED_PAD src0_sel:DWORD src1_sel:WORD_1
	v_writelane_b32 v126, s1, 15
	v_cmp_gt_i64_e64 s[0:1], 0, v[3:4]
	v_not_b32_e32 v27, v4
	v_writelane_b32 v126, s0, 16
	v_lshlrev_b32_sdwa v4, v10, v5 dst_sel:DWORD dst_unused:UNUSED_PAD src0_sel:DWORD src1_sel:WORD_1
	v_writelane_b32 v126, s1, 17
	v_cmp_gt_i64_e64 s[0:1], 0, v[3:4]
	v_not_b32_e32 v28, v4
	v_writelane_b32 v126, s0, 18
	;; [unrolled: 5-line block ×3, first 2 shown]
	v_lshlrev_b32_sdwa v4, v9, v5 dst_sel:DWORD dst_unused:UNUSED_PAD src0_sel:DWORD src1_sel:BYTE_3
	v_writelane_b32 v126, s1, 21
	v_cmp_gt_i64_e64 s[0:1], 0, v[3:4]
	v_not_b32_e32 v49, v4
	v_writelane_b32 v126, s0, 22
	v_lshlrev_b32_sdwa v4, v10, v5 dst_sel:DWORD dst_unused:UNUSED_PAD src0_sel:DWORD src1_sel:BYTE_3
	v_writelane_b32 v126, s1, 23
	v_cmp_gt_i64_e64 s[0:1], 0, v[3:4]
	v_not_b32_e32 v50, v4
	v_writelane_b32 v126, s0, 24
	;; [unrolled: 5-line block ×3, first 2 shown]
	v_lshlrev_b32_e32 v4, 30, v6
	v_writelane_b32 v126, s1, 27
	v_cmp_gt_i64_e64 s[0:1], 0, v[3:4]
	v_not_b32_e32 v52, v4
	v_writelane_b32 v126, s0, 28
	v_lshlrev_b32_e32 v4, 29, v6
	v_writelane_b32 v126, s1, 29
	v_cmp_gt_i64_e64 s[0:1], 0, v[3:4]
	v_not_b32_e32 v53, v4
	v_writelane_b32 v126, s0, 30
	v_lshlrev_b32_e32 v4, 28, v6
	v_writelane_b32 v126, s1, 31
	v_cmp_gt_i64_e64 s[0:1], 0, v[3:4]
	v_lshrrev_b32_e32 v18, 8, v6
	v_writelane_b32 v126, s0, 32
	v_not_b32_e32 v54, v4
	v_lshlrev_b32_e32 v4, 30, v18
	v_writelane_b32 v126, s1, 33
	v_cmp_gt_i64_e64 s[0:1], 0, v[3:4]
	v_not_b32_e32 v55, v4
	v_writelane_b32 v126, s0, 34
	v_lshlrev_b32_e32 v4, 29, v18
	v_writelane_b32 v126, s1, 35
	v_cmp_gt_i64_e64 s[0:1], 0, v[3:4]
	v_not_b32_e32 v56, v4
	v_writelane_b32 v126, s0, 36
	v_lshlrev_b32_e32 v4, 28, v18
	v_writelane_b32 v126, s1, 37
	v_cmp_gt_i64_e64 s[0:1], 0, v[3:4]
	v_lshrrev_b32_e32 v21, 16, v6
	v_writelane_b32 v126, s0, 38
	v_not_b32_e32 v57, v4
	v_lshlrev_b32_e32 v4, 30, v21
	v_writelane_b32 v126, s1, 39
	v_cmp_gt_i64_e64 s[0:1], 0, v[3:4]
	v_not_b32_e32 v2, v4
	v_writelane_b32 v126, s0, 40
	v_lshlrev_b32_e32 v4, 29, v21
	v_writelane_b32 v126, s1, 41
	v_cmp_gt_i64_e64 s[0:1], 0, v[3:4]
	v_not_b32_e32 v7, v4
	v_writelane_b32 v126, s0, 42
	;; [unrolled: 5-line block ×3, first 2 shown]
	v_lshlrev_b32_sdwa v4, v9, v6 dst_sel:DWORD dst_unused:UNUSED_PAD src0_sel:DWORD src1_sel:BYTE_3
	v_writelane_b32 v126, s1, 45
	v_cmp_gt_i64_e64 s[0:1], 0, v[3:4]
	v_not_b32_e32 v9, v4
	v_writelane_b32 v126, s0, 46
	v_lshlrev_b32_sdwa v4, v10, v6 dst_sel:DWORD dst_unused:UNUSED_PAD src0_sel:DWORD src1_sel:BYTE_3
	v_writelane_b32 v126, s1, 47
	v_cmp_gt_i64_e64 s[0:1], 0, v[3:4]
	v_not_b32_e32 v10, v4
	v_writelane_b32 v126, s0, 48
	v_lshlrev_b32_sdwa v4, v11, v6 dst_sel:DWORD dst_unused:UNUSED_PAD src0_sel:DWORD src1_sel:BYTE_3
	v_writelane_b32 v126, s1, 49
	v_cmp_gt_i64_e64 s[0:1], 0, v[3:4]
	v_lshrrev_b32_e32 v14, 4, v5
	v_writelane_b32 v126, s0, 50
	v_not_b32_e32 v11, v4
	v_lshlrev_b32_e32 v4, 30, v14
	v_writelane_b32 v126, s1, 51
	v_cmp_gt_i64_e64 s[0:1], 0, v[3:4]
	v_not_b32_e32 v12, v4
	v_writelane_b32 v126, s0, 52
	v_lshlrev_b32_e32 v4, 29, v14
	v_writelane_b32 v126, s1, 53
	v_cmp_gt_i64_e64 s[0:1], 0, v[3:4]
	v_not_b32_e32 v13, v4
	v_writelane_b32 v126, s0, 54
	v_lshlrev_b32_e32 v4, 28, v14
	v_writelane_b32 v126, s1, 55
	v_cmp_gt_i64_e64 s[0:1], 0, v[3:4]
	v_lshrrev_b32_e32 v22, 12, v5
	v_writelane_b32 v126, s0, 56
	v_not_b32_e32 v14, v4
	v_lshlrev_b32_e32 v4, 30, v22
	v_writelane_b32 v126, s1, 57
	v_cmp_gt_i64_e64 s[0:1], 0, v[3:4]
	v_not_b32_e32 v16, v4
	v_writelane_b32 v126, s0, 58
	v_lshlrev_b32_e32 v4, 29, v22
	v_writelane_b32 v126, s1, 59
	v_cmp_gt_i64_e64 s[0:1], 0, v[3:4]
	v_not_b32_e32 v19, v4
	v_writelane_b32 v126, s0, 60
	v_lshlrev_b32_e32 v4, 28, v22
	v_writelane_b32 v126, s1, 61
	v_cmp_gt_i64_e64 s[0:1], 0, v[3:4]
	v_lshrrev_b32_e32 v30, 20, v5
	v_writelane_b32 v126, s0, 62
	v_not_b32_e32 v22, v4
	v_lshlrev_b32_e32 v4, 30, v30
	v_writelane_b32 v126, s1, 63
	v_cmp_gt_i64_e64 s[0:1], 0, v[3:4]
	v_not_b32_e32 v26, v4
	v_lshlrev_b32_e32 v4, 29, v30
	v_cmp_gt_i64_e64 s[62:63], 0, v[3:4]
	v_not_b32_e32 v29, v4
	v_lshlrev_b32_e32 v4, 28, v30
	v_mbcnt_lo_u32_b32 v30, -1, 0
	v_mbcnt_hi_u32_b32 v32, -1, v30
	v_subrev_co_u32_e64 v30, s[74:75], 1, v32
	v_and_b32_e32 v31, 64, v32
	v_cmp_lt_i32_e32 vcc, v30, v31
	v_and_b32_e32 v70, 1, v5
	v_writelane_b32 v127, s0, 0
	v_cndmask_b32_e32 v59, v30, v32, vcc
	v_add_co_u32_e32 v31, vcc, -1, v70
	v_writelane_b32 v127, s1, 1
	buffer_store_dword v31, off, s[96:99], 0 ; 4-byte Folded Spill
	v_addc_co_u32_e64 v31, s[0:1], 0, -1, vcc
	buffer_store_dword v31, off, s[96:99], 0 offset:4 ; 4-byte Folded Spill
	v_bfe_u32 v31, v5, 8, 1
	v_add_co_u32_e32 v31, vcc, -1, v31
	buffer_store_dword v31, off, s[96:99], 0 offset:8 ; 4-byte Folded Spill
	v_addc_co_u32_e64 v31, s[0:1], 0, -1, vcc
	buffer_store_dword v31, off, s[96:99], 0 offset:12 ; 4-byte Folded Spill
	v_bfe_u32 v31, v5, 16, 1
	v_mov_b32_e32 v30, 1
	v_add_co_u32_e32 v31, vcc, -1, v31
	v_and_b32_sdwa v71, v5, v30 dst_sel:DWORD dst_unused:UNUSED_PAD src0_sel:BYTE_3 src1_sel:DWORD
	buffer_store_dword v31, off, s[96:99], 0 offset:16 ; 4-byte Folded Spill
	v_addc_co_u32_e64 v31, s[0:1], 0, -1, vcc
	buffer_store_dword v31, off, s[96:99], 0 offset:20 ; 4-byte Folded Spill
	v_add_co_u32_e32 v31, vcc, -1, v71
	buffer_store_dword v31, off, s[96:99], 0 offset:24 ; 4-byte Folded Spill
	v_addc_co_u32_e64 v31, s[0:1], 0, -1, vcc
	v_and_b32_e32 v33, 1, v6
	buffer_store_dword v31, off, s[96:99], 0 offset:28 ; 4-byte Folded Spill
	v_add_co_u32_e32 v31, vcc, -1, v33
	buffer_store_dword v31, off, s[96:99], 0 offset:32 ; 4-byte Folded Spill
	v_addc_co_u32_e64 v31, s[0:1], 0, -1, vcc
	buffer_store_dword v31, off, s[96:99], 0 offset:36 ; 4-byte Folded Spill
	v_and_b32_e32 v31, 1, v18
	v_add_co_u32_e32 v34, vcc, -1, v31
	buffer_store_dword v34, off, s[96:99], 0 offset:40 ; 4-byte Folded Spill
	v_addc_co_u32_e64 v34, s[0:1], 0, -1, vcc
	v_and_b32_e32 v83, 1, v21
	buffer_store_dword v34, off, s[96:99], 0 offset:44 ; 4-byte Folded Spill
	v_add_co_u32_e32 v34, vcc, -1, v83
	v_and_b32_sdwa v30, v6, v30 dst_sel:DWORD dst_unused:UNUSED_PAD src0_sel:BYTE_3 src1_sel:DWORD
	buffer_store_dword v34, off, s[96:99], 0 offset:48 ; 4-byte Folded Spill
	v_addc_co_u32_e64 v34, s[0:1], 0, -1, vcc
	buffer_store_dword v34, off, s[96:99], 0 offset:52 ; 4-byte Folded Spill
	v_add_co_u32_e32 v34, vcc, -1, v30
	buffer_store_dword v34, off, s[96:99], 0 offset:56 ; 4-byte Folded Spill
	v_addc_co_u32_e64 v34, s[0:1], 0, -1, vcc
	buffer_store_dword v34, off, s[96:99], 0 offset:60 ; 4-byte Folded Spill
	v_bfe_u32 v34, v5, 4, 1
	v_add_co_u32_e32 v34, vcc, -1, v34
	buffer_store_dword v34, off, s[96:99], 0 offset:64 ; 4-byte Folded Spill
	v_addc_co_u32_e64 v34, s[0:1], 0, -1, vcc
	buffer_store_dword v34, off, s[96:99], 0 offset:68 ; 4-byte Folded Spill
	v_bfe_u32 v34, v5, 12, 1
	;; [unrolled: 5-line block ×3, first 2 shown]
	v_add_co_u32_e32 v34, vcc, -1, v34
	v_bfe_u32 v35, v5, 28, 1
	buffer_store_dword v34, off, s[96:99], 0 offset:80 ; 4-byte Folded Spill
	v_addc_co_u32_e64 v34, s[0:1], 0, -1, vcc
	v_bfe_u32 v36, v6, 4, 1
	v_add_co_u32_e32 v35, vcc, -1, v35
	buffer_store_dword v35, off, s[96:99], 0 offset:88 ; 4-byte Folded Spill
	v_addc_co_u32_e64 v35, s[0:1], 0, -1, vcc
	v_add_co_u32_e32 v36, vcc, -1, v36
	v_lshrrev_b32_e32 v78, 28, v5
	buffer_store_dword v35, off, s[96:99], 0 offset:92 ; 4-byte Folded Spill
	v_bfe_u32 v35, v18, 4, 1
	buffer_store_dword v36, off, s[96:99], 0 offset:96 ; 4-byte Folded Spill
	v_addc_co_u32_e64 v36, s[0:1], 0, -1, vcc
	v_cmp_gt_i64_e64 s[64:65], 0, v[3:4]
	v_not_b32_e32 v77, v4
	v_lshlrev_b32_e32 v4, 30, v78
	buffer_store_dword v36, off, s[96:99], 0 offset:100 ; 4-byte Folded Spill
	v_bfe_u32 v36, v21, 4, 1
	v_add_co_u32_e32 v35, vcc, -1, v35
	v_cmp_gt_i64_e64 s[66:67], 0, v[3:4]
	v_not_b32_e32 v79, v4
	v_lshlrev_b32_e32 v4, 29, v78
	buffer_store_dword v34, off, s[96:99], 0 offset:84 ; 4-byte Folded Spill
	v_lshrrev_b32_e32 v34, 28, v6
	buffer_store_dword v35, off, s[96:99], 0 offset:104 ; 4-byte Folded Spill
	v_addc_co_u32_e64 v35, s[0:1], 0, -1, vcc
	v_add_co_u32_e32 v36, vcc, -1, v36
	v_cmp_gt_i64_e64 s[68:69], 0, v[3:4]
	v_not_b32_e32 v80, v4
	v_and_b32_e32 v4, 0xf0000000, v5
	v_lshrrev_b32_e32 v39, 4, v6
	buffer_store_dword v35, off, s[96:99], 0 offset:108 ; 4-byte Folded Spill
	v_and_b32_e32 v35, 1, v34
	buffer_store_dword v36, off, s[96:99], 0 offset:112 ; 4-byte Folded Spill
	v_addc_co_u32_e64 v36, s[0:1], 0, -1, vcc
	v_cmp_gt_i64_e64 s[70:71], 0, v[3:4]
	v_not_b32_e32 v81, v4
	v_lshlrev_b32_e32 v4, 30, v39
	buffer_store_dword v36, off, s[96:99], 0 offset:116 ; 4-byte Folded Spill
	v_add_co_u32_e32 v36, vcc, -1, v35
	v_cmp_gt_i64_e64 s[72:73], 0, v[3:4]
	v_not_b32_e32 v82, v4
	v_lshlrev_b32_e32 v4, 29, v39
	buffer_store_dword v36, off, s[96:99], 0 offset:120 ; 4-byte Folded Spill
	v_addc_co_u32_e64 v36, s[0:1], 0, -1, vcc
	buffer_store_dword v36, off, s[96:99], 0 offset:124 ; 4-byte Folded Spill
	v_cmp_gt_i64_e64 s[76:77], 0, v[3:4]
	v_not_b32_e32 v36, v4
	v_lshlrev_b32_e32 v4, 28, v39
	v_lshrrev_b32_e32 v38, 4, v18
	v_not_b32_e32 v37, v4
	v_cmp_gt_i64_e64 s[78:79], 0, v[3:4]
	v_lshlrev_b32_e32 v4, 30, v38
	v_not_b32_e32 v39, v4
	v_cmp_gt_i64_e64 s[80:81], 0, v[3:4]
	v_lshlrev_b32_e32 v4, 29, v38
	;; [unrolled: 3-line block ×3, first 2 shown]
	v_ashrrev_i32_e32 v45, 31, v15
	v_lshrrev_b32_e32 v15, 4, v21
	v_ashrrev_i32_e32 v62, 31, v23
	v_not_b32_e32 v23, v4
	v_cmp_gt_i64_e64 s[84:85], 0, v[3:4]
	v_lshlrev_b32_e32 v4, 30, v15
	v_lshrrev_b32_e32 v38, 4, v0
	v_ashrrev_i32_e32 v63, 31, v24
	v_not_b32_e32 v24, v4
	v_cmp_gt_i64_e64 s[86:87], 0, v[3:4]
	v_lshlrev_b32_e32 v4, 29, v15
	v_and_b32_e32 v38, 28, v38
	v_and_b32_e32 v41, 0x100, v5
	v_bfe_u32 v42, v5, 16, 4
	v_and_b32_sdwa v73, v5, v44 dst_sel:DWORD dst_unused:UNUSED_PAD src0_sel:BYTE_3 src1_sel:DWORD
	v_not_b32_e32 v93, v4
	v_cmp_gt_i64_e64 s[88:89], 0, v[3:4]
	v_lshlrev_b32_e32 v4, 28, v15
	v_ashrrev_i32_e32 v65, 31, v27
	v_ashrrev_i32_e32 v66, 31, v28
	v_and_b32_e32 v27, 7, v32
	v_add_u32_e32 v28, -4, v38
	v_cmp_ne_u32_e64 s[18:19], 0, v41
	v_mul_u32_u24_e32 v41, 36, v42
	v_mul_u32_u24_e32 v42, 36, v73
	v_ashrrev_i32_e32 v73, 31, v12
	v_ashrrev_i32_e32 v12, 31, v26
	v_not_b32_e32 v26, v4
	v_cmp_gt_i64_e64 s[28:29], 0, v[3:4]
	v_lshlrev_b32_e32 v4, 30, v34
	buffer_store_dword v28, off, s[96:99], 0 offset:144 ; 4-byte Folded Spill
	v_and_b32_e32 v28, 15, v5
	v_and_b32_e32 v43, 0x10000, v5
	;; [unrolled: 1-line block ×3, first 2 shown]
	v_bfe_u32 v84, v5, 4, 4
	v_cmp_eq_u32_e64 s[10:11], 0, v27
	v_cmp_lt_u32_e64 s[12:13], 1, v27
	v_cmp_lt_u32_e64 s[14:15], 3, v27
	v_not_b32_e32 v27, v4
	v_cmp_gt_i64_e64 s[34:35], 0, v[3:4]
	v_lshlrev_b32_e32 v4, 29, v34
	v_ashrrev_i32_e32 v64, 31, v25
	v_or_b32_e32 v25, 63, v0
	v_cmp_ne_u32_e64 s[20:21], 0, v43
	v_cmp_eq_u32_e64 s[22:23], 1, v71
	v_and_b32_e32 v71, 0xffffffc, v1
	v_mul_u32_u24_e32 v1, 36, v28
	v_mul_u32_u24_e32 v43, 36, v74
	v_ashrrev_i32_e32 v74, 31, v2
	v_mul_u32_u24_e32 v2, 36, v84
	v_not_b32_e32 v28, v4
	v_cmp_gt_i64_e64 s[38:39], 0, v[3:4]
	v_lshlrev_b32_e32 v4, 28, v34
	v_ashrrev_i32_e32 v60, 31, v17
	v_ashrrev_i32_e32 v61, 31, v20
	;; [unrolled: 1-line block ×7, first 2 shown]
	v_and_b32_e32 v17, 15, v32
	v_and_b32_e32 v20, 16, v32
	buffer_store_dword v38, off, s[96:99], 0 offset:128 ; 4-byte Folded Spill
	v_bfe_u32 v38, v5, 8, 4
	v_bfe_u32 v86, v5, 12, 4
	;; [unrolled: 1-line block ×3, first 2 shown]
	v_and_b32_sdwa v44, v6, v44 dst_sel:DWORD dst_unused:UNUSED_PAD src0_sel:BYTE_3 src1_sel:DWORD
	v_bfe_u32 v92, v6, 4, 4
	buffer_store_dword v45, off, s[96:99], 0 offset:132 ; 4-byte Folded Spill
	buffer_store_dword v45, off, s[96:99], 0 offset:148 ; 4-byte Folded Spill
	;; [unrolled: 1-line block ×6, first 2 shown]
	v_cmp_eq_u32_e64 s[90:91], v0, v25
	v_and_b32_e32 v0, 15, v18
	v_and_b32_e32 v15, 15, v21
	v_ashrrev_i32_e32 v110, 31, v11
	buffer_store_dword v2, off, s[96:99], 0 offset:160 ; 4-byte Folded Spill
	v_ashrrev_i32_e32 v2, 31, v13
	v_ashrrev_i32_e32 v11, 31, v22
	;; [unrolled: 1-line block ×3, first 2 shown]
	v_bfe_u32 v22, v18, 4, 4
	v_bfe_u32 v25, v21, 4, 4
	v_not_b32_e32 v29, v4
	v_ashrrev_i32_e32 v119, 31, v53
	v_ashrrev_i32_e32 v120, 31, v54
	;; [unrolled: 1-line block ×5, first 2 shown]
	v_and_b32_e32 v85, 16, v5
	v_and_b32_e32 v87, 0x1000, v5
	;; [unrolled: 1-line block ×5, first 2 shown]
	v_mov_b32_e32 v49, v62
	v_mov_b32_e32 v61, v62
	;; [unrolled: 1-line block ×10, first 2 shown]
	v_cmp_eq_u32_e64 s[0:1], 0, v17
	v_cmp_lt_u32_e64 s[2:3], 1, v17
	v_cmp_lt_u32_e64 s[4:5], 3, v17
	;; [unrolled: 1-line block ×3, first 2 shown]
	v_mov_b32_e32 v54, v67
	v_mov_b32_e32 v66, v67
	v_cmp_eq_u32_e64 s[8:9], 0, v20
	v_mov_b32_e32 v55, v68
	v_mov_b32_e32 v67, v68
	v_cmp_lt_u32_e64 s[58:59], 31, v32
	v_mov_b32_e32 v46, v69
	v_mov_b32_e32 v68, v69
	;; [unrolled: 1-line block ×4, first 2 shown]
	v_cmp_eq_u32_e64 s[16:17], 1, v70
	v_mov_b32_e32 v5, v75
	v_mov_b32_e32 v70, v75
	v_and_b32_e32 v32, 16, v18
	v_cmp_eq_u32_e64 s[24:25], 1, v33
	v_and_b32_e32 v33, 16, v21
	v_writelane_b32 v127, s26, 2
	v_lshlrev_b32_e32 v72, 2, v59
	v_mul_u32_u24_e32 v38, 36, v38
	v_mul_u32_u24_e32 v0, 36, v0
	;; [unrolled: 1-line block ×3, first 2 shown]
	v_ashrrev_i32_e32 v75, 31, v7
	v_ashrrev_i32_e32 v76, 31, v8
	v_mul_u32_u24_e32 v44, 36, v44
	v_ashrrev_i32_e32 v7, 31, v9
	v_ashrrev_i32_e32 v59, 31, v10
	;; [unrolled: 1-line block ×3, first 2 shown]
	v_mul_u32_u24_e32 v84, 36, v86
	v_ashrrev_i32_e32 v9, 31, v16
	v_ashrrev_i32_e32 v10, 31, v19
	v_mul_u32_u24_e32 v86, 36, v88
	v_ashrrev_i32_e32 v14, 31, v77
	v_mul_u32_u24_e32 v77, 36, v78
	v_ashrrev_i32_e32 v15, 31, v79
	v_ashrrev_i32_e32 v16, 31, v80
	v_ashrrev_i32_e32 v17, 31, v81
	v_mul_u32_u24_e32 v78, 36, v92
	v_ashrrev_i32_e32 v18, 31, v82
	v_ashrrev_i32_e32 v19, 31, v36
	;; [unrolled: 4-line block ×3, first 2 shown]
	v_ashrrev_i32_e32 v23, 31, v23
	v_mul_u32_u24_e32 v37, 36, v25
	v_cmp_eq_u32_e64 s[36:37], 1, v30
	v_mul_u32_u24_e32 v30, 36, v34
	v_ashrrev_i32_e32 v24, 31, v24
	v_ashrrev_i32_e32 v25, 31, v93
	;; [unrolled: 1-line block ×6, first 2 shown]
	v_cmp_gt_i64_e64 s[56:57], 0, v[3:4]
	v_writelane_b32 v127, s27, 3
	v_cmp_eq_u32_e64 s[26:27], 1, v31
	v_cmp_eq_u32_e64 s[30:31], 1, v83
	v_cmp_ne_u32_e64 s[40:41], 0, v85
	v_add_u32_e32 v1, v71, v1
	v_add_u32_e32 v111, v71, v38
	;; [unrolled: 1-line block ×15, first 2 shown]
	v_cmp_ne_u32_e64 s[42:43], 0, v87
	v_mov_b32_e32 v47, v119
	v_cmp_ne_u32_e64 s[44:45], 0, v89
	v_mov_b32_e32 v57, v120
	;; [unrolled: 2-line block ×6, first 2 shown]
	v_cmp_eq_u32_e64 s[54:55], 1, v35
	v_mov_b32_e32 v125, v75
	v_mov_b32_e32 v4, v76
	;; [unrolled: 1-line block ×29, first 2 shown]
	buffer_store_dword v1, off, s[96:99], 0 offset:164 ; 4-byte Folded Spill
	s_branch .LBB83_2
.LBB83_1:                               ;   in Loop: Header=BB83_2 Depth=1
	s_or_b64 exec, exec, s[60:61]
	s_waitcnt lgkmcnt(0)
	v_add_u32_e32 v0, v1, v0
	ds_bpermute_b32 v0, v72, v0
	s_add_i32 s33, s33, -1
	s_cmp_eq_u32 s33, 0
	s_waitcnt lgkmcnt(0)
	v_cndmask_b32_e64 v0, v0, v1, s[74:75]
	ds_write_b32 v58, v0 offset:32
	s_waitcnt lgkmcnt(0)
	s_barrier
	s_cbranch_scc1 .LBB83_46
.LBB83_2:                               ; =>This Inner Loop Header: Depth=1
	v_cndmask_b32_e64 v0, 0, 1, s[16:17]
	ds_write_b32 v58, v3 offset:32
	s_waitcnt vmcnt(0) lgkmcnt(0)
	s_barrier
	v_cmp_ne_u32_e32 vcc, 0, v0
	buffer_load_dword v0, off, s[96:99], 0 offset:4 ; 4-byte Folded Reload
	buffer_load_dword v31, off, s[96:99], 0 offset:132 ; 4-byte Folded Reload
	buffer_load_dword v1, off, s[96:99], 0  ; 4-byte Folded Reload
	v_readlane_b32 s60, v126, 4
	v_readlane_b32 s61, v126, 5
	v_cndmask_b32_e64 v30, 0, 1, s[60:61]
	v_readlane_b32 s60, v126, 6
	v_readlane_b32 s61, v126, 7
	s_waitcnt vmcnt(2)
	v_xor_b32_e32 v0, vcc_hi, v0
	v_and_b32_e32 v0, exec_hi, v0
	s_waitcnt vmcnt(0)
	v_xor_b32_e32 v1, vcc_lo, v1
	v_cmp_ne_u32_e32 vcc, 0, v30
	buffer_load_dword v30, off, s[96:99], 0 offset:148 ; 4-byte Folded Reload
	v_and_b32_e32 v1, exec_lo, v1
	v_xor_b32_e32 v31, vcc_lo, v31
	v_and_b32_e32 v1, v1, v31
	buffer_load_dword v31, off, s[96:99], 0 offset:136 ; 4-byte Folded Reload
	s_waitcnt vmcnt(1)
	v_xor_b32_e32 v30, vcc_hi, v30
	v_and_b32_e32 v0, v0, v30
	v_cndmask_b32_e64 v30, 0, 1, s[60:61]
	v_cmp_ne_u32_e32 vcc, 0, v30
	buffer_load_dword v30, off, s[96:99], 0 offset:152 ; 4-byte Folded Reload
	v_readlane_b32 s60, v126, 8
	s_waitcnt vmcnt(1)
	v_xor_b32_e32 v31, vcc_lo, v31
	v_readlane_b32 s61, v126, 9
	s_waitcnt vmcnt(0)
	v_xor_b32_e32 v30, vcc_hi, v30
	v_and_b32_e32 v0, v0, v30
	v_and_b32_e32 v30, v1, v31
	v_cndmask_b32_e64 v1, 0, 1, s[60:61]
	v_cmp_ne_u32_e32 vcc, 0, v1
	buffer_load_dword v1, off, s[96:99], 0 offset:156 ; 4-byte Folded Reload
	buffer_load_dword v31, off, s[96:99], 0 offset:140 ; 4-byte Folded Reload
	; wave barrier
	s_waitcnt vmcnt(1)
	v_xor_b32_e32 v1, vcc_hi, v1
	s_waitcnt vmcnt(0)
	v_xor_b32_e32 v31, vcc_lo, v31
	v_and_b32_e32 v1, v0, v1
	v_and_b32_e32 v0, v30, v31
	v_mbcnt_lo_u32_b32 v30, v0, 0
	v_mbcnt_hi_u32_b32 v30, v1, v30
	v_cmp_ne_u64_e64 s[60:61], 0, v[0:1]
	v_cmp_eq_u32_e32 vcc, 0, v30
	s_and_b64 vcc, s[60:61], vcc
	s_and_saveexec_b64 s[60:61], vcc
	s_cbranch_execz .LBB83_4
; %bb.3:                                ;   in Loop: Header=BB83_2 Depth=1
	v_bcnt_u32_b32 v0, v0, 0
	v_bcnt_u32_b32 v0, v1, v0
	buffer_load_dword v1, off, s[96:99], 0 offset:164 ; 4-byte Folded Reload
	s_waitcnt vmcnt(0)
	ds_write_b32 v1, v0 offset:32
.LBB83_4:                               ;   in Loop: Header=BB83_2 Depth=1
	s_or_b64 exec, exec, s[60:61]
	v_cndmask_b32_e64 v0, 0, 1, s[18:19]
	; wave barrier
	v_cmp_ne_u32_e32 vcc, 0, v0
	buffer_load_dword v0, off, s[96:99], 0 offset:12 ; 4-byte Folded Reload
	buffer_load_dword v1, off, s[96:99], 0 offset:8 ; 4-byte Folded Reload
	v_readlane_b32 s60, v126, 10
	v_readlane_b32 s61, v126, 11
	v_cndmask_b32_e64 v31, 0, 1, s[60:61]
	v_readlane_b32 s60, v126, 12
	v_readlane_b32 s61, v126, 13
	ds_read_b32 v30, v111 offset:32
	; wave barrier
	s_waitcnt vmcnt(1)
	v_xor_b32_e32 v0, vcc_hi, v0
	s_waitcnt vmcnt(0)
	v_xor_b32_e32 v1, vcc_lo, v1
	v_cmp_ne_u32_e32 vcc, 0, v31
	v_and_b32_e32 v0, exec_hi, v0
	v_xor_b32_e32 v31, vcc_hi, v61
	v_and_b32_e32 v0, v0, v31
	v_cndmask_b32_e64 v31, 0, 1, s[60:61]
	v_and_b32_e32 v1, exec_lo, v1
	v_xor_b32_e32 v32, vcc_lo, v49
	v_cmp_ne_u32_e32 vcc, 0, v31
	v_readlane_b32 s60, v126, 14
	v_and_b32_e32 v1, v1, v32
	v_xor_b32_e32 v31, vcc_hi, v62
	v_xor_b32_e32 v32, vcc_lo, v50
	v_readlane_b32 s61, v126, 15
	v_and_b32_e32 v0, v0, v31
	v_and_b32_e32 v31, v1, v32
	v_cndmask_b32_e64 v1, 0, 1, s[60:61]
	v_cmp_ne_u32_e32 vcc, 0, v1
	v_xor_b32_e32 v1, vcc_hi, v63
	v_xor_b32_e32 v32, vcc_lo, v51
	v_and_b32_e32 v1, v0, v1
	v_and_b32_e32 v0, v31, v32
	v_mbcnt_lo_u32_b32 v31, v0, 0
	v_mbcnt_hi_u32_b32 v31, v1, v31
	v_cmp_ne_u64_e32 vcc, 0, v[0:1]
	v_cmp_eq_u32_e64 s[60:61], 0, v31
	s_and_b64 vcc, vcc, s[60:61]
	s_and_saveexec_b64 s[60:61], vcc
	s_cbranch_execz .LBB83_6
; %bb.5:                                ;   in Loop: Header=BB83_2 Depth=1
	v_bcnt_u32_b32 v0, v0, 0
	v_bcnt_u32_b32 v0, v1, v0
	s_waitcnt lgkmcnt(0)
	v_add_u32_e32 v0, v30, v0
	ds_write_b32 v111, v0 offset:32
.LBB83_6:                               ;   in Loop: Header=BB83_2 Depth=1
	s_or_b64 exec, exec, s[60:61]
	v_cndmask_b32_e64 v0, 0, 1, s[20:21]
	; wave barrier
	v_cmp_ne_u32_e32 vcc, 0, v0
	buffer_load_dword v0, off, s[96:99], 0 offset:20 ; 4-byte Folded Reload
	buffer_load_dword v1, off, s[96:99], 0 offset:16 ; 4-byte Folded Reload
	v_readlane_b32 s60, v126, 16
	v_readlane_b32 s61, v126, 17
	v_cndmask_b32_e64 v31, 0, 1, s[60:61]
	v_readlane_b32 s60, v126, 18
	v_readlane_b32 s61, v126, 19
	s_waitcnt lgkmcnt(0)
	ds_read_b32 v30, v112 offset:32
	; wave barrier
	s_waitcnt vmcnt(1)
	v_xor_b32_e32 v0, vcc_hi, v0
	s_waitcnt vmcnt(0)
	v_xor_b32_e32 v1, vcc_lo, v1
	v_cmp_ne_u32_e32 vcc, 0, v31
	v_and_b32_e32 v0, exec_hi, v0
	v_xor_b32_e32 v31, vcc_hi, v64
	v_and_b32_e32 v0, v0, v31
	v_cndmask_b32_e64 v31, 0, 1, s[60:61]
	v_and_b32_e32 v1, exec_lo, v1
	v_xor_b32_e32 v32, vcc_lo, v52
	v_cmp_ne_u32_e32 vcc, 0, v31
	v_readlane_b32 s60, v126, 20
	v_and_b32_e32 v1, v1, v32
	v_xor_b32_e32 v31, vcc_hi, v65
	v_xor_b32_e32 v32, vcc_lo, v53
	v_readlane_b32 s61, v126, 21
	v_and_b32_e32 v0, v0, v31
	v_and_b32_e32 v31, v1, v32
	v_cndmask_b32_e64 v1, 0, 1, s[60:61]
	v_cmp_ne_u32_e32 vcc, 0, v1
	v_xor_b32_e32 v1, vcc_hi, v66
	v_xor_b32_e32 v32, vcc_lo, v54
	v_and_b32_e32 v1, v0, v1
	v_and_b32_e32 v0, v31, v32
	v_mbcnt_lo_u32_b32 v31, v0, 0
	v_mbcnt_hi_u32_b32 v31, v1, v31
	v_cmp_ne_u64_e32 vcc, 0, v[0:1]
	v_cmp_eq_u32_e64 s[60:61], 0, v31
	s_and_b64 vcc, vcc, s[60:61]
	s_and_saveexec_b64 s[60:61], vcc
	s_cbranch_execz .LBB83_8
; %bb.7:                                ;   in Loop: Header=BB83_2 Depth=1
	v_bcnt_u32_b32 v0, v0, 0
	v_bcnt_u32_b32 v0, v1, v0
	s_waitcnt lgkmcnt(0)
	v_add_u32_e32 v0, v30, v0
	ds_write_b32 v112, v0 offset:32
.LBB83_8:                               ;   in Loop: Header=BB83_2 Depth=1
	s_or_b64 exec, exec, s[60:61]
	v_cndmask_b32_e64 v0, 0, 1, s[22:23]
	; wave barrier
	v_cmp_ne_u32_e32 vcc, 0, v0
	buffer_load_dword v0, off, s[96:99], 0 offset:28 ; 4-byte Folded Reload
	buffer_load_dword v1, off, s[96:99], 0 offset:24 ; 4-byte Folded Reload
	v_readlane_b32 s60, v126, 22
	v_readlane_b32 s61, v126, 23
	v_cndmask_b32_e64 v31, 0, 1, s[60:61]
	v_readlane_b32 s60, v126, 24
	v_readlane_b32 s61, v126, 25
	s_waitcnt lgkmcnt(0)
	ds_read_b32 v30, v113 offset:32
	; wave barrier
	s_waitcnt vmcnt(1)
	v_xor_b32_e32 v0, vcc_hi, v0
	s_waitcnt vmcnt(0)
	v_xor_b32_e32 v1, vcc_lo, v1
	v_cmp_ne_u32_e32 vcc, 0, v31
	v_and_b32_e32 v0, exec_hi, v0
	v_xor_b32_e32 v31, vcc_hi, v67
	v_and_b32_e32 v0, v0, v31
	v_cndmask_b32_e64 v31, 0, 1, s[60:61]
	v_and_b32_e32 v1, exec_lo, v1
	v_xor_b32_e32 v32, vcc_lo, v55
	v_cmp_ne_u32_e32 vcc, 0, v31
	v_readlane_b32 s60, v126, 26
	v_and_b32_e32 v1, v1, v32
	v_xor_b32_e32 v31, vcc_hi, v68
	v_xor_b32_e32 v32, vcc_lo, v46
	v_readlane_b32 s61, v126, 27
	v_and_b32_e32 v0, v0, v31
	v_and_b32_e32 v31, v1, v32
	v_cndmask_b32_e64 v1, 0, 1, s[60:61]
	v_cmp_ne_u32_e32 vcc, 0, v1
	v_xor_b32_e32 v1, vcc_hi, v69
	v_xor_b32_e32 v32, vcc_lo, v56
	v_and_b32_e32 v1, v0, v1
	v_and_b32_e32 v0, v31, v32
	v_mbcnt_lo_u32_b32 v31, v0, 0
	v_mbcnt_hi_u32_b32 v31, v1, v31
	v_cmp_ne_u64_e32 vcc, 0, v[0:1]
	v_cmp_eq_u32_e64 s[60:61], 0, v31
	s_and_b64 vcc, vcc, s[60:61]
	s_and_saveexec_b64 s[60:61], vcc
	s_cbranch_execz .LBB83_10
; %bb.9:                                ;   in Loop: Header=BB83_2 Depth=1
	v_bcnt_u32_b32 v0, v0, 0
	v_bcnt_u32_b32 v0, v1, v0
	s_waitcnt lgkmcnt(0)
	v_add_u32_e32 v0, v30, v0
	ds_write_b32 v113, v0 offset:32
.LBB83_10:                              ;   in Loop: Header=BB83_2 Depth=1
	s_or_b64 exec, exec, s[60:61]
	v_cndmask_b32_e64 v0, 0, 1, s[24:25]
	; wave barrier
	v_cmp_ne_u32_e32 vcc, 0, v0
	buffer_load_dword v0, off, s[96:99], 0 offset:36 ; 4-byte Folded Reload
	buffer_load_dword v1, off, s[96:99], 0 offset:32 ; 4-byte Folded Reload
	v_readlane_b32 s60, v126, 28
	v_readlane_b32 s61, v126, 29
	v_cndmask_b32_e64 v31, 0, 1, s[60:61]
	v_readlane_b32 s60, v126, 30
	v_readlane_b32 s61, v126, 31
	s_waitcnt lgkmcnt(0)
	ds_read_b32 v30, v114 offset:32
	; wave barrier
	s_waitcnt vmcnt(1)
	v_xor_b32_e32 v0, vcc_hi, v0
	s_waitcnt vmcnt(0)
	v_xor_b32_e32 v1, vcc_lo, v1
	v_cmp_ne_u32_e32 vcc, 0, v31
	v_and_b32_e32 v0, exec_hi, v0
	v_xor_b32_e32 v31, vcc_hi, v70
	v_and_b32_e32 v0, v0, v31
	v_cndmask_b32_e64 v31, 0, 1, s[60:61]
	v_and_b32_e32 v1, exec_lo, v1
	v_xor_b32_e32 v32, vcc_lo, v5
	v_cmp_ne_u32_e32 vcc, 0, v31
	v_readlane_b32 s60, v126, 32
	v_and_b32_e32 v1, v1, v32
	v_xor_b32_e32 v31, vcc_hi, v119
	v_xor_b32_e32 v32, vcc_lo, v47
	v_readlane_b32 s61, v126, 33
	v_and_b32_e32 v0, v0, v31
	v_and_b32_e32 v31, v1, v32
	v_cndmask_b32_e64 v1, 0, 1, s[60:61]
	v_cmp_ne_u32_e32 vcc, 0, v1
	v_xor_b32_e32 v1, vcc_hi, v120
	v_xor_b32_e32 v32, vcc_lo, v57
	v_and_b32_e32 v1, v0, v1
	v_and_b32_e32 v0, v31, v32
	v_mbcnt_lo_u32_b32 v31, v0, 0
	v_mbcnt_hi_u32_b32 v31, v1, v31
	v_cmp_ne_u64_e32 vcc, 0, v[0:1]
	v_cmp_eq_u32_e64 s[60:61], 0, v31
	s_and_b64 vcc, vcc, s[60:61]
	s_and_saveexec_b64 s[60:61], vcc
	s_cbranch_execz .LBB83_12
; %bb.11:                               ;   in Loop: Header=BB83_2 Depth=1
	v_bcnt_u32_b32 v0, v0, 0
	v_bcnt_u32_b32 v0, v1, v0
	s_waitcnt lgkmcnt(0)
	v_add_u32_e32 v0, v30, v0
	ds_write_b32 v114, v0 offset:32
.LBB83_12:                              ;   in Loop: Header=BB83_2 Depth=1
	s_or_b64 exec, exec, s[60:61]
	v_cndmask_b32_e64 v0, 0, 1, s[26:27]
	; wave barrier
	v_cmp_ne_u32_e32 vcc, 0, v0
	buffer_load_dword v0, off, s[96:99], 0 offset:44 ; 4-byte Folded Reload
	buffer_load_dword v1, off, s[96:99], 0 offset:40 ; 4-byte Folded Reload
	v_readlane_b32 s60, v126, 34
	v_readlane_b32 s61, v126, 35
	v_cndmask_b32_e64 v31, 0, 1, s[60:61]
	v_readlane_b32 s60, v126, 36
	v_readlane_b32 s61, v126, 37
	s_waitcnt lgkmcnt(0)
	ds_read_b32 v30, v116 offset:32
	; wave barrier
	s_waitcnt vmcnt(1)
	v_xor_b32_e32 v0, vcc_hi, v0
	s_waitcnt vmcnt(0)
	v_xor_b32_e32 v1, vcc_lo, v1
	v_cmp_ne_u32_e32 vcc, 0, v31
	v_and_b32_e32 v0, exec_hi, v0
	v_xor_b32_e32 v31, vcc_hi, v121
	v_and_b32_e32 v0, v0, v31
	v_cndmask_b32_e64 v31, 0, 1, s[60:61]
	v_and_b32_e32 v1, exec_lo, v1
	v_xor_b32_e32 v32, vcc_lo, v6
	v_cmp_ne_u32_e32 vcc, 0, v31
	v_readlane_b32 s60, v126, 38
	v_and_b32_e32 v1, v1, v32
	v_xor_b32_e32 v31, vcc_hi, v122
	v_xor_b32_e32 v32, vcc_lo, v48
	v_readlane_b32 s61, v126, 39
	v_and_b32_e32 v0, v0, v31
	v_and_b32_e32 v31, v1, v32
	v_cndmask_b32_e64 v1, 0, 1, s[60:61]
	v_cmp_ne_u32_e32 vcc, 0, v1
	v_xor_b32_e32 v1, vcc_hi, v123
	v_xor_b32_e32 v32, vcc_lo, v60
	v_and_b32_e32 v1, v0, v1
	v_and_b32_e32 v0, v31, v32
	v_mbcnt_lo_u32_b32 v31, v0, 0
	v_mbcnt_hi_u32_b32 v31, v1, v31
	v_cmp_ne_u64_e32 vcc, 0, v[0:1]
	v_cmp_eq_u32_e64 s[60:61], 0, v31
	s_and_b64 vcc, vcc, s[60:61]
	s_and_saveexec_b64 s[60:61], vcc
	s_cbranch_execz .LBB83_14
; %bb.13:                               ;   in Loop: Header=BB83_2 Depth=1
	v_bcnt_u32_b32 v0, v0, 0
	v_bcnt_u32_b32 v0, v1, v0
	s_waitcnt lgkmcnt(0)
	v_add_u32_e32 v0, v30, v0
	ds_write_b32 v116, v0 offset:32
.LBB83_14:                              ;   in Loop: Header=BB83_2 Depth=1
	;; [unrolled: 53-line block ×4, first 2 shown]
	s_or_b64 exec, exec, s[60:61]
	; wave barrier
	s_waitcnt lgkmcnt(0)
	s_barrier
	ds_read_b32 v0, v58 offset:32
	s_waitcnt lgkmcnt(0)
	s_nop 0
	v_mov_b32_dpp v1, v0 row_shr:1 row_mask:0xf bank_mask:0xf
	v_cndmask_b32_e64 v1, v1, 0, s[0:1]
	v_add_u32_e32 v0, v1, v0
	s_nop 1
	v_mov_b32_dpp v1, v0 row_shr:2 row_mask:0xf bank_mask:0xf
	v_cndmask_b32_e64 v1, 0, v1, s[2:3]
	v_add_u32_e32 v0, v0, v1
	s_nop 1
	v_mov_b32_dpp v1, v0 row_shr:4 row_mask:0xf bank_mask:0xf
	v_cndmask_b32_e64 v1, 0, v1, s[4:5]
	v_add_u32_e32 v0, v0, v1
	s_nop 1
	v_mov_b32_dpp v1, v0 row_shr:8 row_mask:0xf bank_mask:0xf
	v_cndmask_b32_e64 v1, 0, v1, s[6:7]
	v_add_u32_e32 v0, v0, v1
	s_nop 1
	v_mov_b32_dpp v1, v0 row_bcast:15 row_mask:0xf bank_mask:0xf
	v_cndmask_b32_e64 v1, v1, 0, s[8:9]
	v_add_u32_e32 v0, v0, v1
	s_nop 1
	v_mov_b32_dpp v1, v0 row_bcast:31 row_mask:0xf bank_mask:0xf
	v_cndmask_b32_e64 v1, 0, v1, s[58:59]
	v_add_u32_e32 v0, v0, v1
	s_and_saveexec_b64 s[60:61], s[90:91]
	s_cbranch_execz .LBB83_20
; %bb.19:                               ;   in Loop: Header=BB83_2 Depth=1
	buffer_load_dword v1, off, s[96:99], 0 offset:128 ; 4-byte Folded Reload
	s_waitcnt vmcnt(0)
	ds_write_b32 v1, v0
.LBB83_20:                              ;   in Loop: Header=BB83_2 Depth=1
	s_or_b64 exec, exec, s[60:61]
	s_waitcnt lgkmcnt(0)
	s_barrier
	s_and_saveexec_b64 s[60:61], s[92:93]
	s_cbranch_execz .LBB83_22
; %bb.21:                               ;   in Loop: Header=BB83_2 Depth=1
	ds_read_b32 v1, v58
	s_waitcnt lgkmcnt(0)
	s_nop 0
	v_mov_b32_dpp v30, v1 row_shr:1 row_mask:0xf bank_mask:0xf
	v_cndmask_b32_e64 v30, v30, 0, s[10:11]
	v_add_u32_e32 v1, v30, v1
	s_nop 1
	v_mov_b32_dpp v30, v1 row_shr:2 row_mask:0xf bank_mask:0xf
	v_cndmask_b32_e64 v30, 0, v30, s[12:13]
	v_add_u32_e32 v1, v1, v30
	;; [unrolled: 4-line block ×3, first 2 shown]
	ds_write_b32 v58, v1
.LBB83_22:                              ;   in Loop: Header=BB83_2 Depth=1
	s_or_b64 exec, exec, s[60:61]
	v_mov_b32_e32 v1, 0
	s_waitcnt lgkmcnt(0)
	s_barrier
	s_and_saveexec_b64 s[60:61], s[94:95]
	s_cbranch_execz .LBB83_24
; %bb.23:                               ;   in Loop: Header=BB83_2 Depth=1
	buffer_load_dword v1, off, s[96:99], 0 offset:144 ; 4-byte Folded Reload
	s_waitcnt vmcnt(0)
	ds_read_b32 v1, v1
.LBB83_24:                              ;   in Loop: Header=BB83_2 Depth=1
	s_or_b64 exec, exec, s[60:61]
	s_waitcnt lgkmcnt(0)
	v_add_u32_e32 v0, v1, v0
	ds_bpermute_b32 v0, v72, v0
	v_readlane_b32 s60, v126, 52
	v_readlane_b32 s61, v126, 53
	v_cndmask_b32_e64 v30, 0, 1, s[60:61]
	v_readlane_b32 s60, v126, 54
	s_waitcnt lgkmcnt(0)
	v_cndmask_b32_e64 v0, v0, v1, s[74:75]
	ds_write_b32 v58, v0 offset:32
	v_cndmask_b32_e64 v0, 0, 1, s[40:41]
	s_waitcnt lgkmcnt(0)
	s_barrier
	ds_write_b32 v58, v3 offset:32
	s_waitcnt lgkmcnt(0)
	s_barrier
	v_cmp_ne_u32_e32 vcc, 0, v0
	buffer_load_dword v0, off, s[96:99], 0 offset:68 ; 4-byte Folded Reload
	buffer_load_dword v1, off, s[96:99], 0 offset:64 ; 4-byte Folded Reload
	v_readlane_b32 s61, v126, 55
	; wave barrier
	s_waitcnt vmcnt(1)
	v_xor_b32_e32 v0, vcc_hi, v0
	s_waitcnt vmcnt(0)
	v_xor_b32_e32 v1, vcc_lo, v1
	v_cmp_ne_u32_e32 vcc, 0, v30
	v_and_b32_e32 v0, exec_hi, v0
	v_xor_b32_e32 v30, vcc_hi, v80
	v_and_b32_e32 v0, v0, v30
	v_cndmask_b32_e64 v30, 0, 1, s[60:61]
	v_and_b32_e32 v1, exec_lo, v1
	v_xor_b32_e32 v31, vcc_lo, v73
	v_cmp_ne_u32_e32 vcc, 0, v30
	v_readlane_b32 s60, v126, 56
	v_and_b32_e32 v1, v1, v31
	v_xor_b32_e32 v30, vcc_hi, v81
	v_xor_b32_e32 v31, vcc_lo, v2
	v_readlane_b32 s61, v126, 57
	v_and_b32_e32 v0, v0, v30
	v_and_b32_e32 v30, v1, v31
	v_cndmask_b32_e64 v1, 0, 1, s[60:61]
	v_cmp_ne_u32_e32 vcc, 0, v1
	v_xor_b32_e32 v1, vcc_hi, v82
	v_xor_b32_e32 v31, vcc_lo, v8
	v_and_b32_e32 v1, v0, v1
	v_and_b32_e32 v0, v30, v31
	v_mbcnt_lo_u32_b32 v30, v0, 0
	v_mbcnt_hi_u32_b32 v30, v1, v30
	v_cmp_ne_u64_e32 vcc, 0, v[0:1]
	v_cmp_eq_u32_e64 s[60:61], 0, v30
	s_and_b64 vcc, vcc, s[60:61]
	s_and_saveexec_b64 s[60:61], vcc
	s_cbranch_execz .LBB83_26
; %bb.25:                               ;   in Loop: Header=BB83_2 Depth=1
	v_bcnt_u32_b32 v0, v0, 0
	v_bcnt_u32_b32 v0, v1, v0
	buffer_load_dword v1, off, s[96:99], 0 offset:160 ; 4-byte Folded Reload
	s_waitcnt vmcnt(0)
	v_add_u32_e32 v1, v71, v1
	ds_write_b32 v1, v0 offset:32
.LBB83_26:                              ;   in Loop: Header=BB83_2 Depth=1
	s_or_b64 exec, exec, s[60:61]
	v_cndmask_b32_e64 v0, 0, 1, s[42:43]
	; wave barrier
	v_cmp_ne_u32_e32 vcc, 0, v0
	buffer_load_dword v0, off, s[96:99], 0 offset:76 ; 4-byte Folded Reload
	buffer_load_dword v1, off, s[96:99], 0 offset:72 ; 4-byte Folded Reload
	v_readlane_b32 s60, v126, 58
	v_readlane_b32 s61, v126, 59
	v_cndmask_b32_e64 v32, 0, 1, s[60:61]
	v_readlane_b32 s60, v126, 60
	v_readlane_b32 s61, v126, 61
	ds_read_b32 v31, v99 offset:32
	; wave barrier
	s_waitcnt vmcnt(1)
	v_xor_b32_e32 v0, vcc_hi, v0
	s_waitcnt vmcnt(0)
	v_xor_b32_e32 v1, vcc_lo, v1
	v_cmp_ne_u32_e32 vcc, 0, v32
	v_and_b32_e32 v0, exec_hi, v0
	v_xor_b32_e32 v32, vcc_hi, v83
	v_and_b32_e32 v0, v0, v32
	v_cndmask_b32_e64 v32, 0, 1, s[60:61]
	v_and_b32_e32 v1, exec_lo, v1
	v_xor_b32_e32 v33, vcc_lo, v9
	v_cmp_ne_u32_e32 vcc, 0, v32
	v_readlane_b32 s60, v126, 62
	v_and_b32_e32 v1, v1, v33
	v_xor_b32_e32 v32, vcc_hi, v84
	v_xor_b32_e32 v33, vcc_lo, v10
	v_readlane_b32 s61, v126, 63
	v_and_b32_e32 v0, v0, v32
	v_and_b32_e32 v32, v1, v33
	v_cndmask_b32_e64 v1, 0, 1, s[60:61]
	v_cmp_ne_u32_e32 vcc, 0, v1
	v_xor_b32_e32 v1, vcc_hi, v85
	v_xor_b32_e32 v33, vcc_lo, v11
	v_and_b32_e32 v1, v0, v1
	v_and_b32_e32 v0, v32, v33
	v_mbcnt_lo_u32_b32 v32, v0, 0
	v_mbcnt_hi_u32_b32 v32, v1, v32
	v_cmp_ne_u64_e32 vcc, 0, v[0:1]
	v_cmp_eq_u32_e64 s[60:61], 0, v32
	s_and_b64 vcc, vcc, s[60:61]
	s_and_saveexec_b64 s[60:61], vcc
	s_cbranch_execz .LBB83_28
; %bb.27:                               ;   in Loop: Header=BB83_2 Depth=1
	v_bcnt_u32_b32 v0, v0, 0
	v_bcnt_u32_b32 v0, v1, v0
	s_waitcnt lgkmcnt(0)
	v_add_u32_e32 v0, v31, v0
	ds_write_b32 v99, v0 offset:32
.LBB83_28:                              ;   in Loop: Header=BB83_2 Depth=1
	s_or_b64 exec, exec, s[60:61]
	v_cndmask_b32_e64 v0, 0, 1, s[44:45]
	; wave barrier
	v_cmp_ne_u32_e32 vcc, 0, v0
	buffer_load_dword v0, off, s[96:99], 0 offset:84 ; 4-byte Folded Reload
	buffer_load_dword v1, off, s[96:99], 0 offset:80 ; 4-byte Folded Reload
	v_readlane_b32 s60, v127, 0
	v_readlane_b32 s61, v127, 1
	v_cndmask_b32_e64 v34, 0, 1, s[60:61]
	ds_read_b32 v33, v105 offset:32
	; wave barrier
	s_waitcnt vmcnt(1)
	v_xor_b32_e32 v0, vcc_hi, v0
	s_waitcnt vmcnt(0)
	v_xor_b32_e32 v1, vcc_lo, v1
	v_cmp_ne_u32_e32 vcc, 0, v34
	v_and_b32_e32 v0, exec_hi, v0
	v_xor_b32_e32 v34, vcc_hi, v86
	v_and_b32_e32 v0, v0, v34
	v_cndmask_b32_e64 v34, 0, 1, s[62:63]
	v_and_b32_e32 v1, exec_lo, v1
	v_xor_b32_e32 v35, vcc_lo, v12
	v_cmp_ne_u32_e32 vcc, 0, v34
	v_and_b32_e32 v1, v1, v35
	v_xor_b32_e32 v34, vcc_hi, v87
	v_xor_b32_e32 v35, vcc_lo, v13
	v_and_b32_e32 v0, v0, v34
	v_and_b32_e32 v34, v1, v35
	v_cndmask_b32_e64 v1, 0, 1, s[64:65]
	v_cmp_ne_u32_e32 vcc, 0, v1
	v_xor_b32_e32 v1, vcc_hi, v88
	v_xor_b32_e32 v35, vcc_lo, v14
	v_and_b32_e32 v1, v0, v1
	v_and_b32_e32 v0, v34, v35
	v_mbcnt_lo_u32_b32 v34, v0, 0
	v_mbcnt_hi_u32_b32 v34, v1, v34
	v_cmp_ne_u64_e32 vcc, 0, v[0:1]
	v_cmp_eq_u32_e64 s[60:61], 0, v34
	s_and_b64 vcc, vcc, s[60:61]
	s_and_saveexec_b64 s[60:61], vcc
	s_cbranch_execz .LBB83_30
; %bb.29:                               ;   in Loop: Header=BB83_2 Depth=1
	v_bcnt_u32_b32 v0, v0, 0
	v_bcnt_u32_b32 v0, v1, v0
	s_waitcnt lgkmcnt(0)
	v_add_u32_e32 v0, v33, v0
	ds_write_b32 v105, v0 offset:32
.LBB83_30:                              ;   in Loop: Header=BB83_2 Depth=1
	s_or_b64 exec, exec, s[60:61]
	v_cndmask_b32_e64 v0, 0, 1, s[46:47]
	; wave barrier
	v_cmp_ne_u32_e32 vcc, 0, v0
	buffer_load_dword v0, off, s[96:99], 0 offset:92 ; 4-byte Folded Reload
	buffer_load_dword v1, off, s[96:99], 0 offset:88 ; 4-byte Folded Reload
	v_cndmask_b32_e64 v36, 0, 1, s[66:67]
	ds_read_b32 v35, v109 offset:32
	; wave barrier
	s_waitcnt vmcnt(1)
	v_xor_b32_e32 v0, vcc_hi, v0
	s_waitcnt vmcnt(0)
	v_xor_b32_e32 v1, vcc_lo, v1
	v_cmp_ne_u32_e32 vcc, 0, v36
	v_and_b32_e32 v0, exec_hi, v0
	v_xor_b32_e32 v36, vcc_hi, v89
	v_and_b32_e32 v0, v0, v36
	v_cndmask_b32_e64 v36, 0, 1, s[68:69]
	v_and_b32_e32 v1, exec_lo, v1
	v_xor_b32_e32 v37, vcc_lo, v15
	v_cmp_ne_u32_e32 vcc, 0, v36
	v_and_b32_e32 v1, v1, v37
	v_xor_b32_e32 v36, vcc_hi, v90
	v_xor_b32_e32 v37, vcc_lo, v16
	v_and_b32_e32 v0, v0, v36
	v_and_b32_e32 v36, v1, v37
	v_cndmask_b32_e64 v1, 0, 1, s[70:71]
	v_cmp_ne_u32_e32 vcc, 0, v1
	v_xor_b32_e32 v1, vcc_hi, v91
	v_xor_b32_e32 v37, vcc_lo, v17
	v_and_b32_e32 v1, v0, v1
	v_and_b32_e32 v0, v36, v37
	v_mbcnt_lo_u32_b32 v36, v0, 0
	v_mbcnt_hi_u32_b32 v36, v1, v36
	v_cmp_ne_u64_e32 vcc, 0, v[0:1]
	v_cmp_eq_u32_e64 s[60:61], 0, v36
	s_and_b64 vcc, vcc, s[60:61]
	s_and_saveexec_b64 s[60:61], vcc
	s_cbranch_execz .LBB83_32
; %bb.31:                               ;   in Loop: Header=BB83_2 Depth=1
	v_bcnt_u32_b32 v0, v0, 0
	v_bcnt_u32_b32 v0, v1, v0
	s_waitcnt lgkmcnt(0)
	v_add_u32_e32 v0, v35, v0
	ds_write_b32 v109, v0 offset:32
.LBB83_32:                              ;   in Loop: Header=BB83_2 Depth=1
	s_or_b64 exec, exec, s[60:61]
	v_cndmask_b32_e64 v0, 0, 1, s[48:49]
	; wave barrier
	v_cmp_ne_u32_e32 vcc, 0, v0
	buffer_load_dword v0, off, s[96:99], 0 offset:100 ; 4-byte Folded Reload
	buffer_load_dword v1, off, s[96:99], 0 offset:96 ; 4-byte Folded Reload
	;; [unrolled: 46-line block ×5, first 2 shown]
	v_cndmask_b32_e64 v44, 0, 1, s[34:35]
	ds_read_b32 v43, v115 offset:32
	; wave barrier
	s_waitcnt vmcnt(1)
	v_xor_b32_e32 v0, vcc_hi, v0
	s_waitcnt vmcnt(0)
	v_xor_b32_e32 v1, vcc_lo, v1
	v_cmp_ne_u32_e32 vcc, 0, v44
	v_and_b32_e32 v0, exec_hi, v0
	v_xor_b32_e32 v44, vcc_hi, v104
	v_and_b32_e32 v0, v0, v44
	v_cndmask_b32_e64 v44, 0, 1, s[38:39]
	v_and_b32_e32 v1, exec_lo, v1
	v_xor_b32_e32 v45, vcc_lo, v27
	v_cmp_ne_u32_e32 vcc, 0, v44
	v_and_b32_e32 v1, v1, v45
	v_xor_b32_e32 v44, vcc_hi, v106
	v_xor_b32_e32 v45, vcc_lo, v28
	v_and_b32_e32 v0, v0, v44
	v_and_b32_e32 v44, v1, v45
	v_cndmask_b32_e64 v1, 0, 1, s[56:57]
	v_cmp_ne_u32_e32 vcc, 0, v1
	v_xor_b32_e32 v1, vcc_hi, v108
	v_xor_b32_e32 v45, vcc_lo, v29
	v_and_b32_e32 v1, v0, v1
	v_and_b32_e32 v0, v44, v45
	v_mbcnt_lo_u32_b32 v44, v0, 0
	v_mbcnt_hi_u32_b32 v44, v1, v44
	v_cmp_ne_u64_e32 vcc, 0, v[0:1]
	v_cmp_eq_u32_e64 s[60:61], 0, v44
	s_and_b64 vcc, vcc, s[60:61]
	s_and_saveexec_b64 s[60:61], vcc
	s_cbranch_execz .LBB83_40
; %bb.39:                               ;   in Loop: Header=BB83_2 Depth=1
	v_bcnt_u32_b32 v0, v0, 0
	v_bcnt_u32_b32 v0, v1, v0
	s_waitcnt lgkmcnt(0)
	v_add_u32_e32 v0, v43, v0
	ds_write_b32 v115, v0 offset:32
.LBB83_40:                              ;   in Loop: Header=BB83_2 Depth=1
	s_or_b64 exec, exec, s[60:61]
	; wave barrier
	s_waitcnt lgkmcnt(0)
	s_barrier
	ds_read_b32 v0, v58 offset:32
	s_waitcnt lgkmcnt(0)
	s_nop 0
	v_mov_b32_dpp v1, v0 row_shr:1 row_mask:0xf bank_mask:0xf
	v_cndmask_b32_e64 v1, v1, 0, s[0:1]
	v_add_u32_e32 v0, v1, v0
	s_nop 1
	v_mov_b32_dpp v1, v0 row_shr:2 row_mask:0xf bank_mask:0xf
	v_cndmask_b32_e64 v1, 0, v1, s[2:3]
	v_add_u32_e32 v0, v0, v1
	;; [unrolled: 4-line block ×4, first 2 shown]
	s_nop 1
	v_mov_b32_dpp v1, v0 row_bcast:15 row_mask:0xf bank_mask:0xf
	v_cndmask_b32_e64 v1, v1, 0, s[8:9]
	v_add_u32_e32 v0, v0, v1
	s_nop 1
	v_mov_b32_dpp v1, v0 row_bcast:31 row_mask:0xf bank_mask:0xf
	v_cndmask_b32_e64 v1, 0, v1, s[58:59]
	v_add_u32_e32 v0, v0, v1
	s_and_saveexec_b64 s[60:61], s[90:91]
	s_cbranch_execz .LBB83_42
; %bb.41:                               ;   in Loop: Header=BB83_2 Depth=1
	buffer_load_dword v1, off, s[96:99], 0 offset:128 ; 4-byte Folded Reload
	s_waitcnt vmcnt(0)
	ds_write_b32 v1, v0
.LBB83_42:                              ;   in Loop: Header=BB83_2 Depth=1
	s_or_b64 exec, exec, s[60:61]
	s_waitcnt lgkmcnt(0)
	s_barrier
	s_and_saveexec_b64 s[60:61], s[92:93]
	s_cbranch_execz .LBB83_44
; %bb.43:                               ;   in Loop: Header=BB83_2 Depth=1
	ds_read_b32 v1, v58
	s_waitcnt lgkmcnt(0)
	s_nop 0
	v_mov_b32_dpp v45, v1 row_shr:1 row_mask:0xf bank_mask:0xf
	v_cndmask_b32_e64 v45, v45, 0, s[10:11]
	v_add_u32_e32 v1, v45, v1
	s_nop 1
	v_mov_b32_dpp v45, v1 row_shr:2 row_mask:0xf bank_mask:0xf
	v_cndmask_b32_e64 v45, 0, v45, s[12:13]
	v_add_u32_e32 v1, v1, v45
	;; [unrolled: 4-line block ×3, first 2 shown]
	ds_write_b32 v58, v1
.LBB83_44:                              ;   in Loop: Header=BB83_2 Depth=1
	s_or_b64 exec, exec, s[60:61]
	v_mov_b32_e32 v1, 0
	s_waitcnt lgkmcnt(0)
	s_barrier
	s_and_saveexec_b64 s[60:61], s[94:95]
	s_cbranch_execz .LBB83_1
; %bb.45:                               ;   in Loop: Header=BB83_2 Depth=1
	buffer_load_dword v1, off, s[96:99], 0 offset:144 ; 4-byte Folded Reload
	s_waitcnt vmcnt(0)
	ds_read_b32 v1, v1
	s_branch .LBB83_1
.LBB83_46:
	buffer_load_dword v0, off, s[96:99], 0 offset:160 ; 4-byte Folded Reload
	v_readlane_b32 s0, v127, 2
	v_readlane_b32 s4, v126, 0
	;; [unrolled: 1-line block ×5, first 2 shown]
	s_lshl_b64 s[0:1], s[0:1], 2
	s_mov_b64 s[2:3], s[6:7]
	s_add_u32 s0, s2, s0
	s_addc_u32 s1, s3, s1
	v_readlane_b32 s5, v126, 1
	s_waitcnt vmcnt(0)
	v_add_u32_e32 v0, v71, v0
	ds_read_b32 v7, v115 offset:32
	ds_read_b32 v3, v109 offset:32
	;; [unrolled: 1-line block ×8, first 2 shown]
	buffer_load_dword v8, off, s[96:99], 0 offset:168 ; 4-byte Folded Reload
	s_waitcnt lgkmcnt(4)
	v_add_u32_e32 v0, v0, v30
	s_waitcnt lgkmcnt(3)
	v_add3_u32 v1, v32, v31, v1
	v_add3_u32 v2, v34, v33, v2
	;; [unrolled: 1-line block ×3, first 2 shown]
	s_waitcnt lgkmcnt(0)
	v_add3_u32 v4, v38, v37, v4
	v_add3_u32 v5, v40, v39, v5
	;; [unrolled: 1-line block ×4, first 2 shown]
	s_waitcnt vmcnt(0)
	v_lshlrev_b32_e32 v8, 2, v8
	global_store_dwordx4 v8, v[0:3], s[0:1]
	global_store_dwordx4 v8, v[4:7], s[0:1] offset:16
	s_endpgm
	.section	.rodata,"a",@progbits
	.p2align	6, 0x0
	.amdhsa_kernel _Z11rank_kernelIhLj4ELb0EL18RadixRankAlgorithm2ELj512ELj8ELj10EEvPKT_Pi
		.amdhsa_group_segment_fixed_size 2080
		.amdhsa_private_segment_fixed_size 176
		.amdhsa_kernarg_size 272
		.amdhsa_user_sgpr_count 6
		.amdhsa_user_sgpr_private_segment_buffer 1
		.amdhsa_user_sgpr_dispatch_ptr 0
		.amdhsa_user_sgpr_queue_ptr 0
		.amdhsa_user_sgpr_kernarg_segment_ptr 1
		.amdhsa_user_sgpr_dispatch_id 0
		.amdhsa_user_sgpr_flat_scratch_init 0
		.amdhsa_user_sgpr_private_segment_size 0
		.amdhsa_uses_dynamic_stack 0
		.amdhsa_system_sgpr_private_segment_wavefront_offset 1
		.amdhsa_system_sgpr_workgroup_id_x 1
		.amdhsa_system_sgpr_workgroup_id_y 0
		.amdhsa_system_sgpr_workgroup_id_z 0
		.amdhsa_system_sgpr_workgroup_info 0
		.amdhsa_system_vgpr_workitem_id 2
		.amdhsa_next_free_vgpr 128
		.amdhsa_next_free_sgpr 100
		.amdhsa_reserve_vcc 1
		.amdhsa_reserve_flat_scratch 0
		.amdhsa_float_round_mode_32 0
		.amdhsa_float_round_mode_16_64 0
		.amdhsa_float_denorm_mode_32 3
		.amdhsa_float_denorm_mode_16_64 3
		.amdhsa_dx10_clamp 1
		.amdhsa_ieee_mode 1
		.amdhsa_fp16_overflow 0
		.amdhsa_exception_fp_ieee_invalid_op 0
		.amdhsa_exception_fp_denorm_src 0
		.amdhsa_exception_fp_ieee_div_zero 0
		.amdhsa_exception_fp_ieee_overflow 0
		.amdhsa_exception_fp_ieee_underflow 0
		.amdhsa_exception_fp_ieee_inexact 0
		.amdhsa_exception_int_div_zero 0
	.end_amdhsa_kernel
	.section	.text._Z11rank_kernelIhLj4ELb0EL18RadixRankAlgorithm2ELj512ELj8ELj10EEvPKT_Pi,"axG",@progbits,_Z11rank_kernelIhLj4ELb0EL18RadixRankAlgorithm2ELj512ELj8ELj10EEvPKT_Pi,comdat
.Lfunc_end83:
	.size	_Z11rank_kernelIhLj4ELb0EL18RadixRankAlgorithm2ELj512ELj8ELj10EEvPKT_Pi, .Lfunc_end83-_Z11rank_kernelIhLj4ELb0EL18RadixRankAlgorithm2ELj512ELj8ELj10EEvPKT_Pi
                                        ; -- End function
	.set _Z11rank_kernelIhLj4ELb0EL18RadixRankAlgorithm2ELj512ELj8ELj10EEvPKT_Pi.num_vgpr, 128
	.set _Z11rank_kernelIhLj4ELb0EL18RadixRankAlgorithm2ELj512ELj8ELj10EEvPKT_Pi.num_agpr, 0
	.set _Z11rank_kernelIhLj4ELb0EL18RadixRankAlgorithm2ELj512ELj8ELj10EEvPKT_Pi.numbered_sgpr, 100
	.set _Z11rank_kernelIhLj4ELb0EL18RadixRankAlgorithm2ELj512ELj8ELj10EEvPKT_Pi.num_named_barrier, 0
	.set _Z11rank_kernelIhLj4ELb0EL18RadixRankAlgorithm2ELj512ELj8ELj10EEvPKT_Pi.private_seg_size, 176
	.set _Z11rank_kernelIhLj4ELb0EL18RadixRankAlgorithm2ELj512ELj8ELj10EEvPKT_Pi.uses_vcc, 1
	.set _Z11rank_kernelIhLj4ELb0EL18RadixRankAlgorithm2ELj512ELj8ELj10EEvPKT_Pi.uses_flat_scratch, 0
	.set _Z11rank_kernelIhLj4ELb0EL18RadixRankAlgorithm2ELj512ELj8ELj10EEvPKT_Pi.has_dyn_sized_stack, 0
	.set _Z11rank_kernelIhLj4ELb0EL18RadixRankAlgorithm2ELj512ELj8ELj10EEvPKT_Pi.has_recursion, 0
	.set _Z11rank_kernelIhLj4ELb0EL18RadixRankAlgorithm2ELj512ELj8ELj10EEvPKT_Pi.has_indirect_call, 0
	.section	.AMDGPU.csdata,"",@progbits
; Kernel info:
; codeLenInByte = 8364
; TotalNumSgprs: 104
; NumVgprs: 128
; ScratchSize: 176
; MemoryBound: 0
; FloatMode: 240
; IeeeMode: 1
; LDSByteSize: 2080 bytes/workgroup (compile time only)
; SGPRBlocks: 12
; VGPRBlocks: 31
; NumSGPRsForWavesPerEU: 104
; NumVGPRsForWavesPerEU: 128
; Occupancy: 2
; WaveLimiterHint : 0
; COMPUTE_PGM_RSRC2:SCRATCH_EN: 1
; COMPUTE_PGM_RSRC2:USER_SGPR: 6
; COMPUTE_PGM_RSRC2:TRAP_HANDLER: 0
; COMPUTE_PGM_RSRC2:TGID_X_EN: 1
; COMPUTE_PGM_RSRC2:TGID_Y_EN: 0
; COMPUTE_PGM_RSRC2:TGID_Z_EN: 0
; COMPUTE_PGM_RSRC2:TIDIG_COMP_CNT: 2
	.section	.text._Z11rank_kernelIhLj4ELb0EL18RadixRankAlgorithm0ELj512ELj16ELj10EEvPKT_Pi,"axG",@progbits,_Z11rank_kernelIhLj4ELb0EL18RadixRankAlgorithm0ELj512ELj16ELj10EEvPKT_Pi,comdat
	.protected	_Z11rank_kernelIhLj4ELb0EL18RadixRankAlgorithm0ELj512ELj16ELj10EEvPKT_Pi ; -- Begin function _Z11rank_kernelIhLj4ELb0EL18RadixRankAlgorithm0ELj512ELj16ELj10EEvPKT_Pi
	.globl	_Z11rank_kernelIhLj4ELb0EL18RadixRankAlgorithm0ELj512ELj16ELj10EEvPKT_Pi
	.p2align	8
	.type	_Z11rank_kernelIhLj4ELb0EL18RadixRankAlgorithm0ELj512ELj16ELj10EEvPKT_Pi,@function
_Z11rank_kernelIhLj4ELb0EL18RadixRankAlgorithm0ELj512ELj16ELj10EEvPKT_Pi: ; @_Z11rank_kernelIhLj4ELb0EL18RadixRankAlgorithm0ELj512ELj16ELj10EEvPKT_Pi
; %bb.0:
	s_load_dwordx4 s[24:27], s[4:5], 0x0
	s_lshl_b32 s28, s6, 13
	v_lshlrev_b32_e32 v5, 4, v0
	v_mbcnt_lo_u32_b32 v8, -1, 0
	v_mbcnt_hi_u32_b32 v9, -1, v8
	s_waitcnt lgkmcnt(0)
	s_add_u32 s0, s24, s28
	s_addc_u32 s1, s25, 0
	global_load_dwordx4 v[1:4], v5, s[0:1]
	v_subrev_co_u32_e64 v13, s[6:7], 1, v9
	v_and_b32_e32 v14, 64, v9
	v_or_b32_e32 v8, 63, v0
	v_lshrrev_b32_e32 v10, 4, v0
	v_and_b32_e32 v11, 15, v9
	v_cmp_lt_i32_e64 s[18:19], v13, v14
	s_movk_i32 s24, 0xe00
	v_and_b32_e32 v12, 16, v9
	v_cmp_lt_u32_e64 s[2:3], 31, v9
	v_cmp_eq_u32_e64 s[4:5], v0, v8
	v_and_b32_e32 v8, 28, v10
	v_and_b32_e32 v10, 7, v9
	v_cmp_eq_u32_e64 s[8:9], 0, v11
	v_cmp_lt_u32_e64 s[10:11], 1, v11
	v_cmp_lt_u32_e64 s[12:13], 3, v11
	;; [unrolled: 1-line block ×3, first 2 shown]
	v_cndmask_b32_e64 v9, v13, v9, s[18:19]
	v_cmp_eq_u32_e64 s[16:17], 0, v12
	v_cmp_eq_u32_e64 s[18:19], 0, v10
	v_cmp_lt_u32_e64 s[20:21], 1, v10
	v_cmp_lt_u32_e64 s[22:23], 3, v10
	s_mov_b32 s29, 0
	v_lshlrev_b32_e32 v7, 5, v0
	v_mul_i32_i24_e32 v38, 0xffffffe4, v0
	v_mov_b32_e32 v6, 0
	v_cmp_gt_u32_e32 vcc, 8, v0
	v_cmp_lt_u32_e64 s[0:1], 63, v0
	v_lshlrev_b32_e32 v9, 2, v9
	s_movk_i32 s33, 0xdff
	v_add_u32_e32 v38, v7, v38
	s_mov_b32 s34, s29
	s_waitcnt vmcnt(0)
	v_lshlrev_b32_e32 v11, 9, v1
	v_lshlrev_b32_e32 v13, 1, v1
	v_lshrrev_b32_e32 v17, 15, v1
	v_lshrrev_b32_e32 v23, 7, v2
	v_lshlrev_b32_e32 v10, 28, v1
	v_lshlrev_b32_e32 v12, 20, v1
	v_lshrrev_b32_e32 v15, 7, v1
	v_lshlrev_b32_e32 v16, 4, v1
	v_lshlrev_b32_e32 v21, 1, v2
	;; [unrolled: 1-line block ×3, first 2 shown]
	v_and_or_b32 v11, v11, s24, v0
	v_and_or_b32 v13, v13, s24, v0
	;; [unrolled: 1-line block ×4, first 2 shown]
	v_lshlrev_b32_e32 v14, 12, v1
	v_lshlrev_b32_e32 v20, 20, v2
	v_lshrrev_b32_e32 v25, 15, v2
	v_and_or_b32 v15, v15, s24, v0
	v_and_or_b32 v21, v21, s24, v0
	v_alignbit_b32 v10, v11, v10, 31
	v_alignbit_b32 v11, v13, v12, 31
	;; [unrolled: 1-line block ×4, first 2 shown]
	v_lshrrev_b32_e32 v22, 15, v3
	v_lshlrev_b32_e32 v24, 4, v2
	v_and_or_b32 v25, v25, s24, v0
	v_alignbit_b32 v12, v15, v14, 31
	v_alignbit_b32 v15, v21, v20, 31
	v_lshlrev_b32_e32 v21, 4, v3
	v_and_or_b32 v22, v22, s24, v0
	v_lshlrev_b32_e32 v23, 9, v4
	v_alignbit_b32 v17, v25, v24, 31
	v_alignbit_b32 v21, v22, v21, 31
	v_lshlrev_b32_e32 v22, 28, v4
	v_and_or_b32 v23, v23, s24, v0
	v_lshlrev_b32_e32 v24, 1, v4
	v_alignbit_b32 v22, v23, v22, 31
	v_lshlrev_b32_e32 v23, 20, v4
	v_and_or_b32 v24, v24, s24, v0
	v_alignbit_b32 v23, v24, v23, 31
	v_lshrrev_b32_e32 v25, 7, v4
	v_lshlrev_b32_e32 v19, 9, v2
	v_lshlrev_b32_e32 v27, 9, v3
	;; [unrolled: 1-line block ×4, first 2 shown]
	v_and_or_b32 v25, v25, s24, v0
	v_lshlrev_b32_e32 v18, 28, v2
	v_lshlrev_b32_e32 v26, 28, v3
	v_and_or_b32 v19, v19, s24, v0
	v_and_or_b32 v27, v27, s24, v0
	v_alignbit_b32 v23, v25, v23, 31
	v_lshrrev_b32_e32 v25, 15, v4
	v_lshlrev_b32_e32 v29, 1, v3
	v_alignbit_b32 v14, v19, v18, 31
	v_alignbit_b32 v18, v27, v26, 31
	v_lshlrev_b32_e32 v26, 1, v23
	v_lshlrev_b32_e32 v23, 4, v4
	v_and_or_b32 v25, v25, s24, v0
	v_lshlrev_b32_e32 v28, 20, v3
	v_and_or_b32 v29, v29, s24, v0
	v_alignbit_b32 v23, v25, v23, 31
	v_lshlrev_b32_e32 v25, 5, v1
	v_alignbit_b32 v19, v29, v28, 31
	v_lshlrev_b32_e32 v27, 1, v23
	v_lshlrev_b32_e32 v23, 24, v1
	v_and_or_b32 v25, v25, s24, v0
	v_lshrrev_b32_e32 v28, 3, v1
	v_alignbit_b32 v23, v25, v23, 31
	v_lshlrev_b32_e32 v25, 16, v1
	v_and_or_b32 v28, v28, s24, v0
	v_lshrrev_b32_e32 v29, 11, v1
	v_lshrrev_b32_e32 v31, 7, v3
	v_alignbit_b32 v25, v28, v25, 31
	v_lshlrev_b32_e32 v28, 8, v1
	v_and_or_b32 v29, v29, s24, v0
	v_lshlrev_b32_e32 v30, 12, v3
	v_and_or_b32 v20, v31, s24, v0
	v_alignbit_b32 v28, v29, v28, 31
	v_lshrrev_b32_e32 v29, 19, v1
	v_alignbit_b32 v20, v20, v30, 31
	v_and_or_b32 v29, v29, s24, v0
	v_lshlrev_b32_e32 v30, 5, v2
	v_alignbit_b32 v1, v29, v1, 31
	v_lshlrev_b32_e32 v29, 24, v2
	v_and_or_b32 v30, v30, s24, v0
	v_lshrrev_b32_e32 v31, 3, v2
	v_alignbit_b32 v29, v30, v29, 31
	v_lshlrev_b32_e32 v30, 16, v2
	v_and_or_b32 v31, v31, s24, v0
	v_lshrrev_b32_e32 v32, 11, v2
	v_alignbit_b32 v30, v31, v30, 31
	v_lshlrev_b32_e32 v31, 8, v2
	v_and_or_b32 v32, v32, s24, v0
	v_alignbit_b32 v31, v32, v31, 31
	v_lshrrev_b32_e32 v32, 19, v2
	v_and_or_b32 v32, v32, s24, v0
	v_lshlrev_b32_e32 v33, 5, v3
	v_alignbit_b32 v2, v32, v2, 31
	v_lshlrev_b32_e32 v32, 24, v3
	v_and_or_b32 v33, v33, s24, v0
	v_lshrrev_b32_e32 v34, 3, v3
	v_alignbit_b32 v32, v33, v32, 31
	v_lshlrev_b32_e32 v33, 16, v3
	v_and_or_b32 v34, v34, s24, v0
	v_lshrrev_b32_e32 v35, 11, v3
	v_alignbit_b32 v33, v34, v33, 31
	v_lshlrev_b32_e32 v34, 8, v3
	v_and_or_b32 v35, v35, s24, v0
	v_alignbit_b32 v34, v35, v34, 31
	v_lshrrev_b32_e32 v35, 19, v3
	;; [unrolled: 15-line block ×3, first 2 shown]
	v_and_or_b32 v39, v39, s24, v0
	v_alignbit_b32 v4, v39, v4, 31
	v_lshlrev_b32_e32 v10, 1, v10
	v_lshlrev_b32_e32 v11, 1, v11
	;; [unrolled: 1-line block ×30, first 2 shown]
	v_or_b32_e32 v0, 0xfffffe00, v0
	s_branch .LBB84_2
.LBB84_1:                               ;   in Loop: Header=BB84_2 Depth=1
	s_or_b64 exec, exec, s[24:25]
	s_waitcnt lgkmcnt(0)
	v_add_u32_e32 v56, v57, v56
	ds_bpermute_b32 v56, v9, v56
	s_add_i32 s34, s34, 1
	s_cmp_eq_u32 s34, 10
	s_waitcnt lgkmcnt(0)
	v_cndmask_b32_e64 v56, v56, v57, s[6:7]
	ds_read_b32 v57, v6 offset:16412
	s_waitcnt lgkmcnt(0)
	v_lshl_add_u32 v60, v57, 16, v56
	ds_read2_b64 v[56:59], v7 offset1:1
	s_waitcnt lgkmcnt(0)
	v_add_u32_e32 v61, v60, v56
	v_add_u32_e32 v56, v57, v61
	;; [unrolled: 1-line block ×3, first 2 shown]
	ds_write2_b64 v7, v[60:61], v[56:57] offset1:1
	v_add_u32_e32 v56, v59, v57
	ds_read_b64 v[57:58], v7 offset:16
	ds_read_b32 v59, v7 offset:24
	s_waitcnt lgkmcnt(1)
	v_add_u32_e32 v57, v57, v56
	v_add_u32_e32 v58, v58, v57
	s_waitcnt lgkmcnt(0)
	v_add_u32_e32 v59, v59, v58
	ds_write2_b64 v7, v[56:57], v[58:59] offset0:2 offset1:3
	s_waitcnt lgkmcnt(0)
	s_barrier
	s_cbranch_scc1 .LBB84_18
.LBB84_2:                               ; =>This Loop Header: Depth=1
                                        ;     Child Loop BB84_3 Depth 2
                                        ;     Child Loop BB84_11 Depth 2
	s_mov_b64 s[30:31], 0
	v_mov_b32_e32 v40, v0
	v_mov_b32_e32 v41, v39
.LBB84_3:                               ;   Parent Loop BB84_2 Depth=1
                                        ; =>  This Inner Loop Header: Depth=2
	v_add_u32_e32 v40, 0x200, v40
	v_cmp_lt_u32_e64 s[24:25], s33, v40
	ds_write_b32 v41, v6
	s_or_b64 s[30:31], s[24:25], s[30:31]
	v_add_u32_e32 v41, 0x800, v41
	s_andn2_b64 exec, exec, s[30:31]
	s_cbranch_execnz .LBB84_3
; %bb.4:                                ;   in Loop: Header=BB84_2 Depth=1
	s_or_b64 exec, exec, s[30:31]
	ds_read_u16 v40, v10
	s_waitcnt lgkmcnt(0)
	v_add_u16_e32 v40, 1, v40
	ds_write_b16 v10, v40
	ds_read_u16 v40, v11
	s_waitcnt lgkmcnt(0)
	v_add_u16_e32 v40, 1, v40
	ds_write_b16 v11, v40
	;; [unrolled: 4-line block ×16, first 2 shown]
	s_waitcnt lgkmcnt(0)
	s_barrier
	ds_read2_b64 v[40:43], v7 offset1:1
	s_waitcnt lgkmcnt(0)
	v_add_u32_e32 v40, v41, v40
	v_add3_u32 v44, v40, v42, v43
	ds_read2_b64 v[40:43], v7 offset0:2 offset1:3
	s_waitcnt lgkmcnt(0)
	v_add3_u32 v40, v44, v40, v41
	v_add3_u32 v40, v40, v42, v43
	s_nop 1
	v_mov_b32_dpp v41, v40 row_shr:1 row_mask:0xf bank_mask:0xf
	v_cndmask_b32_e64 v41, v41, 0, s[8:9]
	v_add_u32_e32 v40, v41, v40
	s_nop 1
	v_mov_b32_dpp v41, v40 row_shr:2 row_mask:0xf bank_mask:0xf
	v_cndmask_b32_e64 v41, 0, v41, s[10:11]
	v_add_u32_e32 v40, v40, v41
	;; [unrolled: 4-line block ×4, first 2 shown]
	s_nop 1
	v_mov_b32_dpp v41, v40 row_bcast:15 row_mask:0xf bank_mask:0xf
	v_cndmask_b32_e64 v41, v41, 0, s[16:17]
	v_add_u32_e32 v40, v40, v41
	s_nop 1
	v_mov_b32_dpp v41, v40 row_bcast:31 row_mask:0xf bank_mask:0xf
	v_cndmask_b32_e64 v41, 0, v41, s[2:3]
	v_add_u32_e32 v40, v40, v41
	s_and_saveexec_b64 s[24:25], s[4:5]
; %bb.5:                                ;   in Loop: Header=BB84_2 Depth=1
	ds_write_b32 v8, v40 offset:16384
; %bb.6:                                ;   in Loop: Header=BB84_2 Depth=1
	s_or_b64 exec, exec, s[24:25]
	s_waitcnt lgkmcnt(0)
	s_barrier
	s_and_saveexec_b64 s[24:25], vcc
	s_cbranch_execz .LBB84_8
; %bb.7:                                ;   in Loop: Header=BB84_2 Depth=1
	ds_read_b32 v41, v38 offset:16384
	s_waitcnt lgkmcnt(0)
	s_nop 0
	v_mov_b32_dpp v42, v41 row_shr:1 row_mask:0xf bank_mask:0xf
	v_cndmask_b32_e64 v42, v42, 0, s[18:19]
	v_add_u32_e32 v41, v42, v41
	s_nop 1
	v_mov_b32_dpp v42, v41 row_shr:2 row_mask:0xf bank_mask:0xf
	v_cndmask_b32_e64 v42, 0, v42, s[20:21]
	v_add_u32_e32 v41, v41, v42
	;; [unrolled: 4-line block ×3, first 2 shown]
	ds_write_b32 v38, v41 offset:16384
.LBB84_8:                               ;   in Loop: Header=BB84_2 Depth=1
	s_or_b64 exec, exec, s[24:25]
	v_mov_b32_e32 v41, 0
	s_waitcnt lgkmcnt(0)
	s_barrier
	s_and_saveexec_b64 s[24:25], s[0:1]
; %bb.9:                                ;   in Loop: Header=BB84_2 Depth=1
	ds_read_b32 v41, v8 offset:16380
; %bb.10:                               ;   in Loop: Header=BB84_2 Depth=1
	s_or_b64 exec, exec, s[24:25]
	s_waitcnt lgkmcnt(0)
	v_add_u32_e32 v40, v41, v40
	ds_bpermute_b32 v40, v9, v40
	s_mov_b64 s[30:31], 0
	s_waitcnt lgkmcnt(0)
	v_cndmask_b32_e64 v40, v40, v41, s[6:7]
	ds_read_b32 v41, v6 offset:16412
	s_waitcnt lgkmcnt(0)
	v_lshl_add_u32 v44, v41, 16, v40
	ds_read2_b64 v[40:43], v7 offset1:1
	s_waitcnt lgkmcnt(0)
	v_add_u32_e32 v45, v44, v40
	v_add_u32_e32 v40, v41, v45
	;; [unrolled: 1-line block ×3, first 2 shown]
	ds_write2_b64 v7, v[44:45], v[40:41] offset1:1
	v_add_u32_e32 v40, v43, v41
	ds_read_b64 v[41:42], v7 offset:16
	ds_read_b32 v43, v7 offset:24
	s_waitcnt lgkmcnt(1)
	v_add_u32_e32 v41, v41, v40
	v_add_u32_e32 v42, v42, v41
	s_waitcnt lgkmcnt(0)
	v_add_u32_e32 v43, v43, v42
	ds_write2_b64 v7, v[40:41], v[42:43] offset0:2 offset1:3
	v_mov_b32_e32 v40, v39
	v_mov_b32_e32 v41, v0
	s_waitcnt lgkmcnt(0)
	s_barrier
.LBB84_11:                              ;   Parent Loop BB84_2 Depth=1
                                        ; =>  This Inner Loop Header: Depth=2
	v_add_u32_e32 v41, 0x200, v41
	v_cmp_lt_u32_e64 s[24:25], s33, v41
	ds_write_b32 v40, v6
	s_or_b64 s[30:31], s[24:25], s[30:31]
	v_add_u32_e32 v40, 0x800, v40
	s_andn2_b64 exec, exec, s[30:31]
	s_cbranch_execnz .LBB84_11
; %bb.12:                               ;   in Loop: Header=BB84_2 Depth=1
	s_or_b64 exec, exec, s[30:31]
	ds_read_u16 v40, v23
	s_waitcnt lgkmcnt(0)
	v_add_u16_e32 v41, 1, v40
	ds_write_b16 v23, v41
	ds_read_u16 v41, v25
	s_waitcnt lgkmcnt(0)
	v_add_u16_e32 v42, 1, v41
	ds_write_b16 v25, v42
	;; [unrolled: 4-line block ×16, first 2 shown]
	s_waitcnt lgkmcnt(0)
	s_barrier
	ds_read2_b64 v[56:59], v7 offset1:1
	s_waitcnt lgkmcnt(0)
	v_add_u32_e32 v56, v57, v56
	v_add3_u32 v60, v56, v58, v59
	ds_read2_b64 v[56:59], v7 offset0:2 offset1:3
	s_waitcnt lgkmcnt(0)
	v_add3_u32 v56, v60, v56, v57
	v_add3_u32 v56, v56, v58, v59
	s_nop 1
	v_mov_b32_dpp v57, v56 row_shr:1 row_mask:0xf bank_mask:0xf
	v_cndmask_b32_e64 v57, v57, 0, s[8:9]
	v_add_u32_e32 v56, v57, v56
	s_nop 1
	v_mov_b32_dpp v57, v56 row_shr:2 row_mask:0xf bank_mask:0xf
	v_cndmask_b32_e64 v57, 0, v57, s[10:11]
	v_add_u32_e32 v56, v56, v57
	;; [unrolled: 4-line block ×4, first 2 shown]
	s_nop 1
	v_mov_b32_dpp v57, v56 row_bcast:15 row_mask:0xf bank_mask:0xf
	v_cndmask_b32_e64 v57, v57, 0, s[16:17]
	v_add_u32_e32 v56, v56, v57
	s_nop 1
	v_mov_b32_dpp v57, v56 row_bcast:31 row_mask:0xf bank_mask:0xf
	v_cndmask_b32_e64 v57, 0, v57, s[2:3]
	v_add_u32_e32 v56, v56, v57
	s_and_saveexec_b64 s[24:25], s[4:5]
; %bb.13:                               ;   in Loop: Header=BB84_2 Depth=1
	ds_write_b32 v8, v56 offset:16384
; %bb.14:                               ;   in Loop: Header=BB84_2 Depth=1
	s_or_b64 exec, exec, s[24:25]
	s_waitcnt lgkmcnt(0)
	s_barrier
	s_and_saveexec_b64 s[24:25], vcc
	s_cbranch_execz .LBB84_16
; %bb.15:                               ;   in Loop: Header=BB84_2 Depth=1
	ds_read_b32 v57, v38 offset:16384
	s_waitcnt lgkmcnt(0)
	s_nop 0
	v_mov_b32_dpp v58, v57 row_shr:1 row_mask:0xf bank_mask:0xf
	v_cndmask_b32_e64 v58, v58, 0, s[18:19]
	v_add_u32_e32 v57, v58, v57
	s_nop 1
	v_mov_b32_dpp v58, v57 row_shr:2 row_mask:0xf bank_mask:0xf
	v_cndmask_b32_e64 v58, 0, v58, s[20:21]
	v_add_u32_e32 v57, v57, v58
	;; [unrolled: 4-line block ×3, first 2 shown]
	ds_write_b32 v38, v57 offset:16384
.LBB84_16:                              ;   in Loop: Header=BB84_2 Depth=1
	s_or_b64 exec, exec, s[24:25]
	v_mov_b32_e32 v57, 0
	s_waitcnt lgkmcnt(0)
	s_barrier
	s_and_saveexec_b64 s[24:25], s[0:1]
	s_cbranch_execz .LBB84_1
; %bb.17:                               ;   in Loop: Header=BB84_2 Depth=1
	ds_read_b32 v57, v8 offset:16380
	s_branch .LBB84_1
.LBB84_18:
	ds_read_u16 v0, v4
	ds_read_u16 v4, v37
	;; [unrolled: 1-line block ×16, first 2 shown]
	s_lshl_b64 s[0:1], s[28:29], 2
	s_add_u32 s0, s26, s0
	s_waitcnt lgkmcnt(14)
	v_add_u32_sdwa v3, v0, v55 dst_sel:DWORD dst_unused:UNUSED_PAD src0_sel:DWORD src1_sel:WORD_0
	v_add_u32_sdwa v2, v4, v54 dst_sel:DWORD dst_unused:UNUSED_PAD src0_sel:DWORD src1_sel:WORD_0
	s_waitcnt lgkmcnt(13)
	v_add_u32_sdwa v1, v6, v53 dst_sel:DWORD dst_unused:UNUSED_PAD src0_sel:DWORD src1_sel:WORD_0
	s_waitcnt lgkmcnt(12)
	;; [unrolled: 2-line block ×13, first 2 shown]
	v_add_u32_sdwa v14, v20, v40 dst_sel:DWORD dst_unused:UNUSED_PAD src0_sel:DWORD src1_sel:WORD_0
	s_addc_u32 s1, s27, s1
	v_lshlrev_b32_e32 v4, 2, v5
	v_add_u32_sdwa v13, v13, v47 dst_sel:DWORD dst_unused:UNUSED_PAD src0_sel:DWORD src1_sel:WORD_0
	global_store_dwordx4 v4, v[14:17], s[0:1]
	global_store_dwordx4 v4, v[10:13], s[0:1] offset:16
	global_store_dwordx4 v4, v[6:9], s[0:1] offset:32
	;; [unrolled: 1-line block ×3, first 2 shown]
	s_endpgm
	.section	.rodata,"a",@progbits
	.p2align	6, 0x0
	.amdhsa_kernel _Z11rank_kernelIhLj4ELb0EL18RadixRankAlgorithm0ELj512ELj16ELj10EEvPKT_Pi
		.amdhsa_group_segment_fixed_size 16416
		.amdhsa_private_segment_fixed_size 0
		.amdhsa_kernarg_size 16
		.amdhsa_user_sgpr_count 6
		.amdhsa_user_sgpr_private_segment_buffer 1
		.amdhsa_user_sgpr_dispatch_ptr 0
		.amdhsa_user_sgpr_queue_ptr 0
		.amdhsa_user_sgpr_kernarg_segment_ptr 1
		.amdhsa_user_sgpr_dispatch_id 0
		.amdhsa_user_sgpr_flat_scratch_init 0
		.amdhsa_user_sgpr_private_segment_size 0
		.amdhsa_uses_dynamic_stack 0
		.amdhsa_system_sgpr_private_segment_wavefront_offset 0
		.amdhsa_system_sgpr_workgroup_id_x 1
		.amdhsa_system_sgpr_workgroup_id_y 0
		.amdhsa_system_sgpr_workgroup_id_z 0
		.amdhsa_system_sgpr_workgroup_info 0
		.amdhsa_system_vgpr_workitem_id 0
		.amdhsa_next_free_vgpr 62
		.amdhsa_next_free_sgpr 93
		.amdhsa_reserve_vcc 1
		.amdhsa_reserve_flat_scratch 0
		.amdhsa_float_round_mode_32 0
		.amdhsa_float_round_mode_16_64 0
		.amdhsa_float_denorm_mode_32 3
		.amdhsa_float_denorm_mode_16_64 3
		.amdhsa_dx10_clamp 1
		.amdhsa_ieee_mode 1
		.amdhsa_fp16_overflow 0
		.amdhsa_exception_fp_ieee_invalid_op 0
		.amdhsa_exception_fp_denorm_src 0
		.amdhsa_exception_fp_ieee_div_zero 0
		.amdhsa_exception_fp_ieee_overflow 0
		.amdhsa_exception_fp_ieee_underflow 0
		.amdhsa_exception_fp_ieee_inexact 0
		.amdhsa_exception_int_div_zero 0
	.end_amdhsa_kernel
	.section	.text._Z11rank_kernelIhLj4ELb0EL18RadixRankAlgorithm0ELj512ELj16ELj10EEvPKT_Pi,"axG",@progbits,_Z11rank_kernelIhLj4ELb0EL18RadixRankAlgorithm0ELj512ELj16ELj10EEvPKT_Pi,comdat
.Lfunc_end84:
	.size	_Z11rank_kernelIhLj4ELb0EL18RadixRankAlgorithm0ELj512ELj16ELj10EEvPKT_Pi, .Lfunc_end84-_Z11rank_kernelIhLj4ELb0EL18RadixRankAlgorithm0ELj512ELj16ELj10EEvPKT_Pi
                                        ; -- End function
	.set _Z11rank_kernelIhLj4ELb0EL18RadixRankAlgorithm0ELj512ELj16ELj10EEvPKT_Pi.num_vgpr, 62
	.set _Z11rank_kernelIhLj4ELb0EL18RadixRankAlgorithm0ELj512ELj16ELj10EEvPKT_Pi.num_agpr, 0
	.set _Z11rank_kernelIhLj4ELb0EL18RadixRankAlgorithm0ELj512ELj16ELj10EEvPKT_Pi.numbered_sgpr, 35
	.set _Z11rank_kernelIhLj4ELb0EL18RadixRankAlgorithm0ELj512ELj16ELj10EEvPKT_Pi.num_named_barrier, 0
	.set _Z11rank_kernelIhLj4ELb0EL18RadixRankAlgorithm0ELj512ELj16ELj10EEvPKT_Pi.private_seg_size, 0
	.set _Z11rank_kernelIhLj4ELb0EL18RadixRankAlgorithm0ELj512ELj16ELj10EEvPKT_Pi.uses_vcc, 1
	.set _Z11rank_kernelIhLj4ELb0EL18RadixRankAlgorithm0ELj512ELj16ELj10EEvPKT_Pi.uses_flat_scratch, 0
	.set _Z11rank_kernelIhLj4ELb0EL18RadixRankAlgorithm0ELj512ELj16ELj10EEvPKT_Pi.has_dyn_sized_stack, 0
	.set _Z11rank_kernelIhLj4ELb0EL18RadixRankAlgorithm0ELj512ELj16ELj10EEvPKT_Pi.has_recursion, 0
	.set _Z11rank_kernelIhLj4ELb0EL18RadixRankAlgorithm0ELj512ELj16ELj10EEvPKT_Pi.has_indirect_call, 0
	.section	.AMDGPU.csdata,"",@progbits
; Kernel info:
; codeLenInByte = 3400
; TotalNumSgprs: 39
; NumVgprs: 62
; ScratchSize: 0
; MemoryBound: 0
; FloatMode: 240
; IeeeMode: 1
; LDSByteSize: 16416 bytes/workgroup (compile time only)
; SGPRBlocks: 12
; VGPRBlocks: 15
; NumSGPRsForWavesPerEU: 97
; NumVGPRsForWavesPerEU: 62
; Occupancy: 4
; WaveLimiterHint : 0
; COMPUTE_PGM_RSRC2:SCRATCH_EN: 0
; COMPUTE_PGM_RSRC2:USER_SGPR: 6
; COMPUTE_PGM_RSRC2:TRAP_HANDLER: 0
; COMPUTE_PGM_RSRC2:TGID_X_EN: 1
; COMPUTE_PGM_RSRC2:TGID_Y_EN: 0
; COMPUTE_PGM_RSRC2:TGID_Z_EN: 0
; COMPUTE_PGM_RSRC2:TIDIG_COMP_CNT: 0
	.section	.text._Z11rank_kernelIhLj4ELb0EL18RadixRankAlgorithm1ELj512ELj16ELj10EEvPKT_Pi,"axG",@progbits,_Z11rank_kernelIhLj4ELb0EL18RadixRankAlgorithm1ELj512ELj16ELj10EEvPKT_Pi,comdat
	.protected	_Z11rank_kernelIhLj4ELb0EL18RadixRankAlgorithm1ELj512ELj16ELj10EEvPKT_Pi ; -- Begin function _Z11rank_kernelIhLj4ELb0EL18RadixRankAlgorithm1ELj512ELj16ELj10EEvPKT_Pi
	.globl	_Z11rank_kernelIhLj4ELb0EL18RadixRankAlgorithm1ELj512ELj16ELj10EEvPKT_Pi
	.p2align	8
	.type	_Z11rank_kernelIhLj4ELb0EL18RadixRankAlgorithm1ELj512ELj16ELj10EEvPKT_Pi,@function
_Z11rank_kernelIhLj4ELb0EL18RadixRankAlgorithm1ELj512ELj16ELj10EEvPKT_Pi: ; @_Z11rank_kernelIhLj4ELb0EL18RadixRankAlgorithm1ELj512ELj16ELj10EEvPKT_Pi
; %bb.0:
	s_load_dwordx4 s[24:27], s[4:5], 0x0
	s_lshl_b32 s28, s6, 13
	v_lshlrev_b32_e32 v8, 4, v0
	v_mbcnt_lo_u32_b32 v5, -1, 0
	v_mbcnt_hi_u32_b32 v6, -1, v5
	s_waitcnt lgkmcnt(0)
	s_add_u32 s0, s24, s28
	s_addc_u32 s1, s25, 0
	global_load_dwordx4 v[1:4], v8, s[0:1]
	v_or_b32_e32 v7, 63, v0
	v_cmp_eq_u32_e64 s[4:5], v0, v7
	v_subrev_co_u32_e64 v7, s[6:7], 1, v6
	v_and_b32_e32 v14, 64, v6
	v_cmp_lt_i32_e64 s[18:19], v7, v14
	s_movk_i32 s24, 0xe00
	v_and_b32_e32 v12, 15, v6
	v_and_b32_e32 v13, 16, v6
	v_cmp_lt_u32_e64 s[2:3], 31, v6
	v_and_b32_e32 v15, 7, v6
	v_cndmask_b32_e64 v6, v7, v6, s[18:19]
	v_cmp_eq_u32_e64 s[8:9], 0, v12
	v_cmp_lt_u32_e64 s[10:11], 1, v12
	v_cmp_lt_u32_e64 s[12:13], 3, v12
	v_cmp_lt_u32_e64 s[14:15], 7, v12
	v_lshlrev_b32_e32 v12, 2, v6
	v_cmp_eq_u32_e64 s[16:17], 0, v13
	v_cmp_eq_u32_e64 s[18:19], 0, v15
	v_cmp_lt_u32_e64 s[20:21], 1, v15
	v_cmp_lt_u32_e64 s[22:23], 3, v15
	s_mov_b32 s29, 0
	v_lshlrev_b32_e32 v10, 5, v0
	v_lshrrev_b32_e32 v11, 4, v0
	v_mul_i32_i24_e32 v5, 0xffffffe4, v0
	v_mov_b32_e32 v9, 0
	v_cmp_gt_u32_e32 vcc, 8, v0
	v_cmp_lt_u32_e64 s[0:1], 63, v0
	v_and_b32_e32 v11, 28, v11
	v_lshlrev_b32_e32 v45, 2, v0
	v_or_b32_e32 v46, 0xfffffe00, v0
	s_movk_i32 s33, 0xdff
	v_add_u32_e32 v47, v10, v5
	s_mov_b32 s34, s29
	s_waitcnt vmcnt(0)
	v_lshlrev_b32_e32 v7, 9, v1
	v_lshlrev_b32_e32 v6, 28, v1
	;; [unrolled: 1-line block ×3, first 2 shown]
	v_and_or_b32 v7, v7, s24, v0
	v_lshlrev_b32_e32 v13, 20, v1
	v_lshrrev_b32_e32 v32, 7, v3
	v_and_or_b32 v14, v14, s24, v0
	v_alignbit_b32 v6, v7, v6, 31
	v_lshrrev_b32_e32 v16, 7, v1
	v_lshrrev_b32_e32 v18, 15, v1
	v_lshlrev_b32_e32 v20, 9, v2
	v_lshrrev_b32_e32 v24, 7, v2
	v_lshlrev_b32_e32 v31, 12, v3
	v_alignbit_b32 v7, v14, v13, 31
	v_lshlrev_b32_e32 v13, 1, v6
	v_and_or_b32 v6, v32, s24, v0
	v_lshlrev_b32_e32 v15, 12, v1
	v_lshlrev_b32_e32 v17, 4, v1
	;; [unrolled: 1-line block ×4, first 2 shown]
	v_and_or_b32 v16, v16, s24, v0
	v_and_or_b32 v18, v18, s24, v0
	;; [unrolled: 1-line block ×4, first 2 shown]
	v_lshlrev_b32_e32 v14, 1, v7
	v_alignbit_b32 v6, v6, v31, 31
	v_lshrrev_b32_e32 v7, 15, v3
	v_alignbit_b32 v15, v16, v15, 31
	v_alignbit_b32 v16, v18, v17, 31
	;; [unrolled: 1-line block ×4, first 2 shown]
	v_lshlrev_b32_e32 v23, 1, v6
	v_lshlrev_b32_e32 v6, 4, v3
	v_and_or_b32 v7, v7, s24, v0
	v_alignbit_b32 v6, v7, v6, 31
	v_lshlrev_b32_e32 v7, 9, v4
	v_lshrrev_b32_e32 v26, 15, v2
	v_lshlrev_b32_e32 v24, 1, v6
	v_lshlrev_b32_e32 v6, 28, v4
	v_and_or_b32 v7, v7, s24, v0
	v_lshlrev_b32_e32 v25, 4, v2
	v_and_or_b32 v26, v26, s24, v0
	v_alignbit_b32 v6, v7, v6, 31
	v_lshlrev_b32_e32 v7, 1, v4
	v_lshlrev_b32_e32 v22, 1, v2
	;; [unrolled: 1-line block ×3, first 2 shown]
	v_alignbit_b32 v20, v26, v25, 31
	v_lshlrev_b32_e32 v25, 1, v6
	v_lshlrev_b32_e32 v6, 20, v4
	v_and_or_b32 v7, v7, s24, v0
	v_lshlrev_b32_e32 v21, 20, v2
	v_lshlrev_b32_e32 v27, 28, v3
	v_and_or_b32 v22, v22, s24, v0
	v_and_or_b32 v28, v28, s24, v0
	v_alignbit_b32 v6, v7, v6, 31
	v_lshrrev_b32_e32 v7, 7, v4
	v_lshlrev_b32_e32 v30, 1, v3
	v_alignbit_b32 v18, v22, v21, 31
	v_alignbit_b32 v21, v28, v27, 31
	v_lshlrev_b32_e32 v27, 1, v6
	v_lshlrev_b32_e32 v6, 12, v4
	v_and_or_b32 v7, v7, s24, v0
	v_lshlrev_b32_e32 v29, 20, v3
	v_and_or_b32 v30, v30, s24, v0
	v_alignbit_b32 v6, v7, v6, 31
	v_lshrrev_b32_e32 v7, 15, v4
	v_alignbit_b32 v22, v30, v29, 31
	v_lshlrev_b32_e32 v29, 1, v6
	v_lshlrev_b32_e32 v6, 4, v4
	v_and_or_b32 v7, v7, s24, v0
	v_alignbit_b32 v6, v7, v6, 31
	v_lshlrev_b32_e32 v7, 5, v1
	v_lshlrev_b32_e32 v30, 1, v6
	v_lshlrev_b32_e32 v6, 24, v1
	v_and_or_b32 v7, v7, s24, v0
	v_alignbit_b32 v6, v7, v6, 31
	v_lshrrev_b32_e32 v7, 3, v1
	v_lshlrev_b32_e32 v26, 1, v6
	v_lshlrev_b32_e32 v6, 16, v1
	v_and_or_b32 v7, v7, s24, v0
	v_alignbit_b32 v6, v7, v6, 31
	v_lshrrev_b32_e32 v7, 11, v1
	v_lshlrev_b32_e32 v28, 1, v6
	v_lshlrev_b32_e32 v6, 8, v1
	v_and_or_b32 v7, v7, s24, v0
	v_alignbit_b32 v6, v7, v6, 31
	v_lshlrev_b32_e32 v31, 1, v6
	v_lshrrev_b32_e32 v6, 19, v1
	v_and_or_b32 v6, v6, s24, v0
	v_alignbit_b32 v1, v6, v1, 31
	v_lshlrev_b32_e32 v6, 5, v2
	v_lshlrev_b32_e32 v32, 1, v1
	v_lshlrev_b32_e32 v1, 24, v2
	v_and_or_b32 v6, v6, s24, v0
	v_alignbit_b32 v1, v6, v1, 31
	v_lshrrev_b32_e32 v6, 3, v2
	v_lshlrev_b32_e32 v33, 1, v1
	v_lshlrev_b32_e32 v1, 16, v2
	v_and_or_b32 v6, v6, s24, v0
	v_alignbit_b32 v1, v6, v1, 31
	v_lshrrev_b32_e32 v6, 11, v2
	v_lshlrev_b32_e32 v34, 1, v1
	v_lshlrev_b32_e32 v1, 8, v2
	v_and_or_b32 v6, v6, s24, v0
	v_alignbit_b32 v1, v6, v1, 31
	v_lshlrev_b32_e32 v35, 1, v1
	v_lshrrev_b32_e32 v1, 19, v2
	;; [unrolled: 19-line block ×4, first 2 shown]
	v_and_or_b32 v1, v1, s24, v0
	v_alignbit_b32 v1, v1, v4, 31
	v_lshlrev_b32_e32 v15, 1, v15
	v_lshlrev_b32_e32 v16, 1, v16
	;; [unrolled: 1-line block ×9, first 2 shown]
	s_branch .LBB85_2
.LBB85_1:                               ;   in Loop: Header=BB85_2 Depth=1
	s_or_b64 exec, exec, s[24:25]
	s_waitcnt lgkmcnt(0)
	v_add_u32_e32 v3, v64, v3
	ds_bpermute_b32 v3, v12, v3
	ds_read_b32 v65, v9 offset:16412
	s_add_i32 s34, s34, 1
	s_cmp_eq_u32 s34, 10
	s_waitcnt lgkmcnt(1)
	v_cndmask_b32_e64 v3, v3, v64, s[6:7]
	s_waitcnt lgkmcnt(0)
	v_lshl_add_u32 v3, v65, 16, v3
	v_add_u32_e32 v4, v3, v4
	v_add_u32_e32 v5, v4, v5
	;; [unrolled: 1-line block ×7, first 2 shown]
	ds_write2_b64 v10, v[3:4], v[5:6] offset1:1
	ds_write2_b64 v10, v[64:65], v[0:1] offset0:2 offset1:3
	s_waitcnt lgkmcnt(0)
	s_barrier
	s_cbranch_scc1 .LBB85_18
.LBB85_2:                               ; =>This Loop Header: Depth=1
                                        ;     Child Loop BB85_3 Depth 2
                                        ;     Child Loop BB85_11 Depth 2
	s_mov_b64 s[30:31], 0
	v_mov_b32_e32 v0, v46
	v_mov_b32_e32 v1, v45
.LBB85_3:                               ;   Parent Loop BB85_2 Depth=1
                                        ; =>  This Inner Loop Header: Depth=2
	v_add_u32_e32 v0, 0x200, v0
	v_cmp_lt_u32_e64 s[24:25], s33, v0
	ds_write_b32 v1, v9
	s_or_b64 s[30:31], s[24:25], s[30:31]
	v_add_u32_e32 v1, 0x800, v1
	s_andn2_b64 exec, exec, s[30:31]
	s_cbranch_execnz .LBB85_3
; %bb.4:                                ;   in Loop: Header=BB85_2 Depth=1
	s_or_b64 exec, exec, s[30:31]
	ds_read_u16 v0, v13
	s_waitcnt lgkmcnt(0)
	v_add_u16_e32 v0, 1, v0
	ds_write_b16 v13, v0
	ds_read_u16 v0, v14
	s_waitcnt lgkmcnt(0)
	v_add_u16_e32 v0, 1, v0
	ds_write_b16 v14, v0
	;; [unrolled: 4-line block ×16, first 2 shown]
	s_waitcnt lgkmcnt(0)
	s_barrier
	ds_read2_b64 v[4:7], v10 offset1:1
	ds_read2_b64 v[0:3], v10 offset0:2 offset1:3
	s_waitcnt lgkmcnt(1)
	v_add_u32_e32 v48, v5, v4
	v_add3_u32 v48, v48, v6, v7
	s_waitcnt lgkmcnt(0)
	v_add3_u32 v48, v48, v0, v1
	v_add3_u32 v3, v48, v2, v3
	s_nop 1
	v_mov_b32_dpp v48, v3 row_shr:1 row_mask:0xf bank_mask:0xf
	v_cndmask_b32_e64 v48, v48, 0, s[8:9]
	v_add_u32_e32 v3, v48, v3
	s_nop 1
	v_mov_b32_dpp v48, v3 row_shr:2 row_mask:0xf bank_mask:0xf
	v_cndmask_b32_e64 v48, 0, v48, s[10:11]
	v_add_u32_e32 v3, v3, v48
	;; [unrolled: 4-line block ×4, first 2 shown]
	s_nop 1
	v_mov_b32_dpp v48, v3 row_bcast:15 row_mask:0xf bank_mask:0xf
	v_cndmask_b32_e64 v48, v48, 0, s[16:17]
	v_add_u32_e32 v3, v3, v48
	s_nop 1
	v_mov_b32_dpp v48, v3 row_bcast:31 row_mask:0xf bank_mask:0xf
	v_cndmask_b32_e64 v48, 0, v48, s[2:3]
	v_add_u32_e32 v3, v3, v48
	s_and_saveexec_b64 s[24:25], s[4:5]
; %bb.5:                                ;   in Loop: Header=BB85_2 Depth=1
	ds_write_b32 v11, v3 offset:16384
; %bb.6:                                ;   in Loop: Header=BB85_2 Depth=1
	s_or_b64 exec, exec, s[24:25]
	s_waitcnt lgkmcnt(0)
	s_barrier
	s_and_saveexec_b64 s[24:25], vcc
	s_cbranch_execz .LBB85_8
; %bb.7:                                ;   in Loop: Header=BB85_2 Depth=1
	ds_read_b32 v48, v47 offset:16384
	s_waitcnt lgkmcnt(0)
	s_nop 0
	v_mov_b32_dpp v49, v48 row_shr:1 row_mask:0xf bank_mask:0xf
	v_cndmask_b32_e64 v49, v49, 0, s[18:19]
	v_add_u32_e32 v48, v49, v48
	s_nop 1
	v_mov_b32_dpp v49, v48 row_shr:2 row_mask:0xf bank_mask:0xf
	v_cndmask_b32_e64 v49, 0, v49, s[20:21]
	v_add_u32_e32 v48, v48, v49
	s_nop 1
	v_mov_b32_dpp v49, v48 row_shr:4 row_mask:0xf bank_mask:0xf
	v_cndmask_b32_e64 v49, 0, v49, s[22:23]
	v_add_u32_e32 v48, v48, v49
	ds_write_b32 v47, v48 offset:16384
.LBB85_8:                               ;   in Loop: Header=BB85_2 Depth=1
	s_or_b64 exec, exec, s[24:25]
	v_mov_b32_e32 v48, 0
	s_waitcnt lgkmcnt(0)
	s_barrier
	s_and_saveexec_b64 s[24:25], s[0:1]
; %bb.9:                                ;   in Loop: Header=BB85_2 Depth=1
	ds_read_b32 v48, v11 offset:16380
; %bb.10:                               ;   in Loop: Header=BB85_2 Depth=1
	s_or_b64 exec, exec, s[24:25]
	s_waitcnt lgkmcnt(0)
	v_add_u32_e32 v3, v48, v3
	ds_bpermute_b32 v3, v12, v3
	ds_read_b32 v49, v9 offset:16412
	s_mov_b64 s[30:31], 0
	s_waitcnt lgkmcnt(1)
	v_cndmask_b32_e64 v3, v3, v48, s[6:7]
	s_waitcnt lgkmcnt(0)
	v_lshl_add_u32 v3, v49, 16, v3
	v_add_u32_e32 v4, v3, v4
	v_add_u32_e32 v5, v4, v5
	;; [unrolled: 1-line block ×7, first 2 shown]
	ds_write2_b64 v10, v[48:49], v[0:1] offset0:2 offset1:3
	v_mov_b32_e32 v0, v45
	v_mov_b32_e32 v1, v46
	ds_write2_b64 v10, v[3:4], v[5:6] offset1:1
	s_waitcnt lgkmcnt(0)
	s_barrier
.LBB85_11:                              ;   Parent Loop BB85_2 Depth=1
                                        ; =>  This Inner Loop Header: Depth=2
	v_add_u32_e32 v1, 0x200, v1
	v_cmp_lt_u32_e64 s[24:25], s33, v1
	ds_write_b32 v0, v9
	s_or_b64 s[30:31], s[24:25], s[30:31]
	v_add_u32_e32 v0, 0x800, v0
	s_andn2_b64 exec, exec, s[30:31]
	s_cbranch_execnz .LBB85_11
; %bb.12:                               ;   in Loop: Header=BB85_2 Depth=1
	s_or_b64 exec, exec, s[30:31]
	ds_read_u16 v48, v26
	s_waitcnt lgkmcnt(0)
	v_add_u16_e32 v0, 1, v48
	ds_write_b16 v26, v0
	ds_read_u16 v49, v28
	s_waitcnt lgkmcnt(0)
	v_add_u16_e32 v0, 1, v49
	ds_write_b16 v28, v0
	;; [unrolled: 4-line block ×16, first 2 shown]
	s_waitcnt lgkmcnt(0)
	s_barrier
	ds_read2_b64 v[4:7], v10 offset1:1
	ds_read2_b64 v[0:3], v10 offset0:2 offset1:3
	s_waitcnt lgkmcnt(1)
	v_add_u32_e32 v64, v5, v4
	v_add3_u32 v64, v64, v6, v7
	s_waitcnt lgkmcnt(0)
	v_add3_u32 v64, v64, v0, v1
	v_add3_u32 v3, v64, v2, v3
	s_nop 1
	v_mov_b32_dpp v64, v3 row_shr:1 row_mask:0xf bank_mask:0xf
	v_cndmask_b32_e64 v64, v64, 0, s[8:9]
	v_add_u32_e32 v3, v64, v3
	s_nop 1
	v_mov_b32_dpp v64, v3 row_shr:2 row_mask:0xf bank_mask:0xf
	v_cndmask_b32_e64 v64, 0, v64, s[10:11]
	v_add_u32_e32 v3, v3, v64
	;; [unrolled: 4-line block ×4, first 2 shown]
	s_nop 1
	v_mov_b32_dpp v64, v3 row_bcast:15 row_mask:0xf bank_mask:0xf
	v_cndmask_b32_e64 v64, v64, 0, s[16:17]
	v_add_u32_e32 v3, v3, v64
	s_nop 1
	v_mov_b32_dpp v64, v3 row_bcast:31 row_mask:0xf bank_mask:0xf
	v_cndmask_b32_e64 v64, 0, v64, s[2:3]
	v_add_u32_e32 v3, v3, v64
	s_and_saveexec_b64 s[24:25], s[4:5]
; %bb.13:                               ;   in Loop: Header=BB85_2 Depth=1
	ds_write_b32 v11, v3 offset:16384
; %bb.14:                               ;   in Loop: Header=BB85_2 Depth=1
	s_or_b64 exec, exec, s[24:25]
	s_waitcnt lgkmcnt(0)
	s_barrier
	s_and_saveexec_b64 s[24:25], vcc
	s_cbranch_execz .LBB85_16
; %bb.15:                               ;   in Loop: Header=BB85_2 Depth=1
	ds_read_b32 v64, v47 offset:16384
	s_waitcnt lgkmcnt(0)
	s_nop 0
	v_mov_b32_dpp v65, v64 row_shr:1 row_mask:0xf bank_mask:0xf
	v_cndmask_b32_e64 v65, v65, 0, s[18:19]
	v_add_u32_e32 v64, v65, v64
	s_nop 1
	v_mov_b32_dpp v65, v64 row_shr:2 row_mask:0xf bank_mask:0xf
	v_cndmask_b32_e64 v65, 0, v65, s[20:21]
	v_add_u32_e32 v64, v64, v65
	;; [unrolled: 4-line block ×3, first 2 shown]
	ds_write_b32 v47, v64 offset:16384
.LBB85_16:                              ;   in Loop: Header=BB85_2 Depth=1
	s_or_b64 exec, exec, s[24:25]
	v_mov_b32_e32 v64, 0
	s_waitcnt lgkmcnt(0)
	s_barrier
	s_and_saveexec_b64 s[24:25], s[0:1]
	s_cbranch_execz .LBB85_1
; %bb.17:                               ;   in Loop: Header=BB85_2 Depth=1
	ds_read_b32 v64, v11 offset:16380
	s_branch .LBB85_1
.LBB85_18:
	ds_read_u16 v0, v44
	ds_read_u16 v1, v43
	;; [unrolled: 1-line block ×16, first 2 shown]
	s_lshl_b64 s[0:1], s[28:29], 2
	s_add_u32 s0, s26, s0
	s_waitcnt lgkmcnt(14)
	v_add_u32_sdwa v3, v0, v63 dst_sel:DWORD dst_unused:UNUSED_PAD src0_sel:DWORD src1_sel:WORD_0
	v_add_u32_sdwa v2, v1, v62 dst_sel:DWORD dst_unused:UNUSED_PAD src0_sel:DWORD src1_sel:WORD_0
	s_waitcnt lgkmcnt(13)
	v_add_u32_sdwa v1, v4, v61 dst_sel:DWORD dst_unused:UNUSED_PAD src0_sel:DWORD src1_sel:WORD_0
	s_waitcnt lgkmcnt(12)
	;; [unrolled: 2-line block ×13, first 2 shown]
	v_add_u32_sdwa v13, v19, v48 dst_sel:DWORD dst_unused:UNUSED_PAD src0_sel:DWORD src1_sel:WORD_0
	s_addc_u32 s1, s27, s1
	v_lshlrev_b32_e32 v8, 2, v8
	v_add_u32_sdwa v12, v12, v55 dst_sel:DWORD dst_unused:UNUSED_PAD src0_sel:DWORD src1_sel:WORD_0
	global_store_dwordx4 v8, v[13:16], s[0:1]
	global_store_dwordx4 v8, v[9:12], s[0:1] offset:16
	global_store_dwordx4 v8, v[4:7], s[0:1] offset:32
	;; [unrolled: 1-line block ×3, first 2 shown]
	s_endpgm
	.section	.rodata,"a",@progbits
	.p2align	6, 0x0
	.amdhsa_kernel _Z11rank_kernelIhLj4ELb0EL18RadixRankAlgorithm1ELj512ELj16ELj10EEvPKT_Pi
		.amdhsa_group_segment_fixed_size 16416
		.amdhsa_private_segment_fixed_size 0
		.amdhsa_kernarg_size 16
		.amdhsa_user_sgpr_count 6
		.amdhsa_user_sgpr_private_segment_buffer 1
		.amdhsa_user_sgpr_dispatch_ptr 0
		.amdhsa_user_sgpr_queue_ptr 0
		.amdhsa_user_sgpr_kernarg_segment_ptr 1
		.amdhsa_user_sgpr_dispatch_id 0
		.amdhsa_user_sgpr_flat_scratch_init 0
		.amdhsa_user_sgpr_private_segment_size 0
		.amdhsa_uses_dynamic_stack 0
		.amdhsa_system_sgpr_private_segment_wavefront_offset 0
		.amdhsa_system_sgpr_workgroup_id_x 1
		.amdhsa_system_sgpr_workgroup_id_y 0
		.amdhsa_system_sgpr_workgroup_id_z 0
		.amdhsa_system_sgpr_workgroup_info 0
		.amdhsa_system_vgpr_workitem_id 0
		.amdhsa_next_free_vgpr 66
		.amdhsa_next_free_sgpr 93
		.amdhsa_reserve_vcc 1
		.amdhsa_reserve_flat_scratch 0
		.amdhsa_float_round_mode_32 0
		.amdhsa_float_round_mode_16_64 0
		.amdhsa_float_denorm_mode_32 3
		.amdhsa_float_denorm_mode_16_64 3
		.amdhsa_dx10_clamp 1
		.amdhsa_ieee_mode 1
		.amdhsa_fp16_overflow 0
		.amdhsa_exception_fp_ieee_invalid_op 0
		.amdhsa_exception_fp_denorm_src 0
		.amdhsa_exception_fp_ieee_div_zero 0
		.amdhsa_exception_fp_ieee_overflow 0
		.amdhsa_exception_fp_ieee_underflow 0
		.amdhsa_exception_fp_ieee_inexact 0
		.amdhsa_exception_int_div_zero 0
	.end_amdhsa_kernel
	.section	.text._Z11rank_kernelIhLj4ELb0EL18RadixRankAlgorithm1ELj512ELj16ELj10EEvPKT_Pi,"axG",@progbits,_Z11rank_kernelIhLj4ELb0EL18RadixRankAlgorithm1ELj512ELj16ELj10EEvPKT_Pi,comdat
.Lfunc_end85:
	.size	_Z11rank_kernelIhLj4ELb0EL18RadixRankAlgorithm1ELj512ELj16ELj10EEvPKT_Pi, .Lfunc_end85-_Z11rank_kernelIhLj4ELb0EL18RadixRankAlgorithm1ELj512ELj16ELj10EEvPKT_Pi
                                        ; -- End function
	.set _Z11rank_kernelIhLj4ELb0EL18RadixRankAlgorithm1ELj512ELj16ELj10EEvPKT_Pi.num_vgpr, 66
	.set _Z11rank_kernelIhLj4ELb0EL18RadixRankAlgorithm1ELj512ELj16ELj10EEvPKT_Pi.num_agpr, 0
	.set _Z11rank_kernelIhLj4ELb0EL18RadixRankAlgorithm1ELj512ELj16ELj10EEvPKT_Pi.numbered_sgpr, 35
	.set _Z11rank_kernelIhLj4ELb0EL18RadixRankAlgorithm1ELj512ELj16ELj10EEvPKT_Pi.num_named_barrier, 0
	.set _Z11rank_kernelIhLj4ELb0EL18RadixRankAlgorithm1ELj512ELj16ELj10EEvPKT_Pi.private_seg_size, 0
	.set _Z11rank_kernelIhLj4ELb0EL18RadixRankAlgorithm1ELj512ELj16ELj10EEvPKT_Pi.uses_vcc, 1
	.set _Z11rank_kernelIhLj4ELb0EL18RadixRankAlgorithm1ELj512ELj16ELj10EEvPKT_Pi.uses_flat_scratch, 0
	.set _Z11rank_kernelIhLj4ELb0EL18RadixRankAlgorithm1ELj512ELj16ELj10EEvPKT_Pi.has_dyn_sized_stack, 0
	.set _Z11rank_kernelIhLj4ELb0EL18RadixRankAlgorithm1ELj512ELj16ELj10EEvPKT_Pi.has_recursion, 0
	.set _Z11rank_kernelIhLj4ELb0EL18RadixRankAlgorithm1ELj512ELj16ELj10EEvPKT_Pi.has_indirect_call, 0
	.section	.AMDGPU.csdata,"",@progbits
; Kernel info:
; codeLenInByte = 3328
; TotalNumSgprs: 39
; NumVgprs: 66
; ScratchSize: 0
; MemoryBound: 0
; FloatMode: 240
; IeeeMode: 1
; LDSByteSize: 16416 bytes/workgroup (compile time only)
; SGPRBlocks: 12
; VGPRBlocks: 16
; NumSGPRsForWavesPerEU: 97
; NumVGPRsForWavesPerEU: 66
; Occupancy: 3
; WaveLimiterHint : 0
; COMPUTE_PGM_RSRC2:SCRATCH_EN: 0
; COMPUTE_PGM_RSRC2:USER_SGPR: 6
; COMPUTE_PGM_RSRC2:TRAP_HANDLER: 0
; COMPUTE_PGM_RSRC2:TGID_X_EN: 1
; COMPUTE_PGM_RSRC2:TGID_Y_EN: 0
; COMPUTE_PGM_RSRC2:TGID_Z_EN: 0
; COMPUTE_PGM_RSRC2:TIDIG_COMP_CNT: 0
	.section	.text._Z11rank_kernelIhLj4ELb0EL18RadixRankAlgorithm2ELj512ELj16ELj10EEvPKT_Pi,"axG",@progbits,_Z11rank_kernelIhLj4ELb0EL18RadixRankAlgorithm2ELj512ELj16ELj10EEvPKT_Pi,comdat
	.protected	_Z11rank_kernelIhLj4ELb0EL18RadixRankAlgorithm2ELj512ELj16ELj10EEvPKT_Pi ; -- Begin function _Z11rank_kernelIhLj4ELb0EL18RadixRankAlgorithm2ELj512ELj16ELj10EEvPKT_Pi
	.globl	_Z11rank_kernelIhLj4ELb0EL18RadixRankAlgorithm2ELj512ELj16ELj10EEvPKT_Pi
	.p2align	8
	.type	_Z11rank_kernelIhLj4ELb0EL18RadixRankAlgorithm2ELj512ELj16ELj10EEvPKT_Pi,@function
_Z11rank_kernelIhLj4ELb0EL18RadixRankAlgorithm2ELj512ELj16ELj10EEvPKT_Pi: ; @_Z11rank_kernelIhLj4ELb0EL18RadixRankAlgorithm2ELj512ELj16ELj10EEvPKT_Pi
; %bb.0:
	s_mov_b64 s[98:99], s[2:3]
	s_mov_b64 s[96:97], s[0:1]
	s_load_dwordx4 s[8:11], s[4:5], 0x0
	s_load_dword s0, s[4:5], 0x1c
	s_add_u32 s96, s96, s7
	s_addc_u32 s97, s97, 0
	s_lshl_b32 s12, s6, 13
	v_mov_b32_e32 v20, v0
	s_waitcnt lgkmcnt(0)
	s_add_u32 s2, s8, s12
	s_addc_u32 s3, s9, 0
	v_lshlrev_b32_e32 v0, 4, v20
	global_load_dwordx4 v[3:6], v0, s[2:3]
	s_mov_b64 s[6:7], s[10:11]
                                        ; implicit-def: $vgpr124 : SGPR spill to VGPR lane
	v_mov_b32_e32 v7, 0
	v_writelane_b32 v124, s4, 0
	v_writelane_b32 v124, s5, 1
	;; [unrolled: 1-line block ×4, first 2 shown]
	buffer_store_dword v0, off, s[96:99], 0 offset:816 ; 4-byte Folded Spill
	v_mov_b32_e32 v50, 30
	v_mov_b32_e32 v41, 29
	;; [unrolled: 1-line block ×5, first 2 shown]
                                        ; implicit-def: $vgpr125 : SGPR spill to VGPR lane
                                        ; implicit-def: $vgpr126 : SGPR spill to VGPR lane
	s_lshr_b32 s1, s0, 16
	s_and_b32 s0, s0, 0xffff
	v_cmp_gt_u32_e64 s[74:75], 8, v20
	v_cmp_lt_u32_e64 s[94:95], 63, v20
                                        ; implicit-def: $vgpr127 : SGPR spill to VGPR lane
	s_mov_b32 s13, 0
	s_mov_b32 s33, 10
	s_waitcnt vmcnt(1)
	v_lshlrev_b32_e32 v8, 30, v3
	v_cmp_gt_i64_e64 s[2:3], 0, v[7:8]
	v_not_b32_e32 v57, v8
	v_writelane_b32 v124, s2, 4
	v_lshlrev_b32_e32 v8, 29, v3
	v_writelane_b32 v124, s3, 5
	v_cmp_gt_i64_e64 s[2:3], 0, v[7:8]
	v_not_b32_e32 v58, v8
	v_writelane_b32 v124, s2, 6
	v_lshlrev_b32_e32 v8, 28, v3
	v_writelane_b32 v124, s3, 7
	v_cmp_gt_i64_e64 s[2:3], 0, v[7:8]
	v_lshrrev_b32_e32 v0, 8, v3
	v_writelane_b32 v124, s2, 8
	v_not_b32_e32 v59, v8
	v_lshlrev_b32_e32 v8, 30, v0
	v_writelane_b32 v124, s3, 9
	v_cmp_gt_i64_e64 s[2:3], 0, v[7:8]
	v_not_b32_e32 v60, v8
	v_writelane_b32 v124, s2, 10
	v_lshlrev_b32_e32 v8, 29, v0
	v_writelane_b32 v124, s3, 11
	v_cmp_gt_i64_e64 s[2:3], 0, v[7:8]
	v_not_b32_e32 v61, v8
	v_writelane_b32 v124, s2, 12
	v_lshlrev_b32_e32 v8, 28, v0
	v_writelane_b32 v124, s3, 13
	v_cmp_gt_i64_e64 s[2:3], 0, v[7:8]
	v_not_b32_e32 v62, v8
	v_writelane_b32 v124, s2, 14
	v_lshlrev_b32_sdwa v8, v50, v3 dst_sel:DWORD dst_unused:UNUSED_PAD src0_sel:DWORD src1_sel:WORD_1
	v_writelane_b32 v124, s3, 15
	v_cmp_gt_i64_e64 s[2:3], 0, v[7:8]
	v_not_b32_e32 v63, v8
	v_writelane_b32 v124, s2, 16
	v_lshlrev_b32_sdwa v8, v41, v3 dst_sel:DWORD dst_unused:UNUSED_PAD src0_sel:DWORD src1_sel:WORD_1
	v_writelane_b32 v124, s3, 17
	v_cmp_gt_i64_e64 s[2:3], 0, v[7:8]
	v_not_b32_e32 v64, v8
	v_writelane_b32 v124, s2, 18
	v_lshlrev_b32_sdwa v8, v54, v3 dst_sel:DWORD dst_unused:UNUSED_PAD src0_sel:DWORD src1_sel:WORD_1
	v_writelane_b32 v124, s3, 19
	v_cmp_gt_i64_e64 s[2:3], 0, v[7:8]
	v_not_b32_e32 v65, v8
	v_writelane_b32 v124, s2, 20
	v_lshlrev_b32_sdwa v8, v50, v3 dst_sel:DWORD dst_unused:UNUSED_PAD src0_sel:DWORD src1_sel:BYTE_3
	v_writelane_b32 v124, s3, 21
	v_cmp_gt_i64_e64 s[2:3], 0, v[7:8]
	v_not_b32_e32 v66, v8
	v_writelane_b32 v124, s2, 22
	v_lshlrev_b32_sdwa v8, v41, v3 dst_sel:DWORD dst_unused:UNUSED_PAD src0_sel:DWORD src1_sel:BYTE_3
	v_writelane_b32 v124, s3, 23
	v_cmp_gt_i64_e64 s[2:3], 0, v[7:8]
	v_not_b32_e32 v67, v8
	v_writelane_b32 v124, s2, 24
	v_lshlrev_b32_sdwa v8, v54, v3 dst_sel:DWORD dst_unused:UNUSED_PAD src0_sel:DWORD src1_sel:BYTE_3
	v_writelane_b32 v124, s3, 25
	v_cmp_gt_i64_e64 s[2:3], 0, v[7:8]
	v_not_b32_e32 v68, v8
	v_writelane_b32 v124, s2, 26
	v_lshlrev_b32_e32 v8, 30, v4
	v_writelane_b32 v124, s3, 27
	v_cmp_gt_i64_e64 s[2:3], 0, v[7:8]
	v_not_b32_e32 v69, v8
	v_writelane_b32 v124, s2, 28
	v_lshlrev_b32_e32 v8, 29, v4
	v_writelane_b32 v124, s3, 29
	v_cmp_gt_i64_e64 s[2:3], 0, v[7:8]
	v_not_b32_e32 v70, v8
	v_writelane_b32 v124, s2, 30
	v_lshlrev_b32_e32 v8, 28, v4
	v_writelane_b32 v124, s3, 31
	v_cmp_gt_i64_e64 s[2:3], 0, v[7:8]
	v_lshrrev_b32_e32 v1, 8, v4
	v_writelane_b32 v124, s2, 32
	v_not_b32_e32 v71, v8
	v_lshlrev_b32_e32 v8, 30, v1
	v_writelane_b32 v124, s3, 33
	v_cmp_gt_i64_e64 s[2:3], 0, v[7:8]
	v_not_b32_e32 v72, v8
	v_writelane_b32 v124, s2, 34
	v_lshlrev_b32_e32 v8, 29, v1
	v_writelane_b32 v124, s3, 35
	v_cmp_gt_i64_e64 s[2:3], 0, v[7:8]
	v_not_b32_e32 v73, v8
	v_writelane_b32 v124, s2, 36
	v_lshlrev_b32_e32 v8, 28, v1
	v_writelane_b32 v124, s3, 37
	v_cmp_gt_i64_e64 s[2:3], 0, v[7:8]
	v_not_b32_e32 v74, v8
	v_writelane_b32 v124, s2, 38
	v_lshlrev_b32_sdwa v8, v50, v4 dst_sel:DWORD dst_unused:UNUSED_PAD src0_sel:DWORD src1_sel:WORD_1
	v_writelane_b32 v124, s3, 39
	v_cmp_gt_i64_e64 s[2:3], 0, v[7:8]
	v_not_b32_e32 v75, v8
	v_writelane_b32 v124, s2, 40
	v_lshlrev_b32_sdwa v8, v41, v4 dst_sel:DWORD dst_unused:UNUSED_PAD src0_sel:DWORD src1_sel:WORD_1
	v_writelane_b32 v124, s3, 41
	v_cmp_gt_i64_e64 s[2:3], 0, v[7:8]
	v_not_b32_e32 v76, v8
	v_writelane_b32 v124, s2, 42
	v_lshlrev_b32_sdwa v8, v54, v4 dst_sel:DWORD dst_unused:UNUSED_PAD src0_sel:DWORD src1_sel:WORD_1
	v_writelane_b32 v124, s3, 43
	v_cmp_gt_i64_e64 s[2:3], 0, v[7:8]
	v_not_b32_e32 v77, v8
	v_writelane_b32 v124, s2, 44
	v_lshlrev_b32_sdwa v8, v50, v4 dst_sel:DWORD dst_unused:UNUSED_PAD src0_sel:DWORD src1_sel:BYTE_3
	v_writelane_b32 v124, s3, 45
	v_cmp_gt_i64_e64 s[2:3], 0, v[7:8]
	v_not_b32_e32 v78, v8
	v_writelane_b32 v124, s2, 46
	v_lshlrev_b32_sdwa v8, v41, v4 dst_sel:DWORD dst_unused:UNUSED_PAD src0_sel:DWORD src1_sel:BYTE_3
	v_writelane_b32 v124, s3, 47
	v_cmp_gt_i64_e64 s[2:3], 0, v[7:8]
	v_not_b32_e32 v79, v8
	v_writelane_b32 v124, s2, 48
	v_lshlrev_b32_sdwa v8, v54, v4 dst_sel:DWORD dst_unused:UNUSED_PAD src0_sel:DWORD src1_sel:BYTE_3
	v_writelane_b32 v124, s3, 49
	v_cmp_gt_i64_e64 s[2:3], 0, v[7:8]
	v_not_b32_e32 v80, v8
	v_writelane_b32 v124, s2, 50
	v_lshlrev_b32_e32 v8, 30, v5
	v_writelane_b32 v124, s3, 51
	;; [unrolled: 61-line block ×3, first 2 shown]
	v_cmp_gt_i64_e64 s[2:3], 0, v[7:8]
	v_not_b32_e32 v98, v8
	v_writelane_b32 v125, s2, 12
	v_lshlrev_b32_e32 v8, 29, v6
	v_writelane_b32 v125, s3, 13
	v_cmp_gt_i64_e64 s[2:3], 0, v[7:8]
	v_not_b32_e32 v101, v8
	v_writelane_b32 v125, s2, 14
	v_lshlrev_b32_e32 v8, 28, v6
	v_writelane_b32 v125, s3, 15
	v_cmp_gt_i64_e64 s[2:3], 0, v[7:8]
	v_lshrrev_b32_e32 v42, 8, v6
	v_writelane_b32 v125, s2, 16
	v_not_b32_e32 v102, v8
	v_lshlrev_b32_e32 v8, 30, v42
	v_writelane_b32 v125, s3, 17
	v_cmp_gt_i64_e64 s[2:3], 0, v[7:8]
	v_not_b32_e32 v107, v8
	v_writelane_b32 v125, s2, 18
	v_lshlrev_b32_e32 v8, 29, v42
	v_writelane_b32 v125, s3, 19
	v_cmp_gt_i64_e64 s[2:3], 0, v[7:8]
	v_not_b32_e32 v112, v8
	v_writelane_b32 v125, s2, 20
	v_lshlrev_b32_e32 v8, 28, v42
	v_writelane_b32 v125, s3, 21
	v_cmp_gt_i64_e64 s[2:3], 0, v[7:8]
	v_lshrrev_b32_e32 v46, 16, v6
	v_writelane_b32 v125, s2, 22
	v_not_b32_e32 v0, v8
	v_lshlrev_b32_e32 v8, 30, v46
	v_writelane_b32 v125, s3, 23
	v_cmp_gt_i64_e64 s[2:3], 0, v[7:8]
	buffer_store_dword v0, off, s[96:99], 0 offset:164 ; 4-byte Folded Spill
	v_not_b32_e32 v0, v8
	v_writelane_b32 v125, s2, 24
	v_lshlrev_b32_e32 v8, 29, v46
	v_writelane_b32 v125, s3, 25
	v_cmp_gt_i64_e64 s[2:3], 0, v[7:8]
	buffer_store_dword v0, off, s[96:99], 0 offset:168 ; 4-byte Folded Spill
	v_not_b32_e32 v0, v8
	v_writelane_b32 v125, s2, 26
	;; [unrolled: 6-line block ×3, first 2 shown]
	v_lshlrev_b32_sdwa v8, v50, v6 dst_sel:DWORD dst_unused:UNUSED_PAD src0_sel:DWORD src1_sel:BYTE_3
	v_writelane_b32 v125, s3, 29
	v_cmp_gt_i64_e64 s[2:3], 0, v[7:8]
	buffer_store_dword v0, off, s[96:99], 0 offset:176 ; 4-byte Folded Spill
	v_not_b32_e32 v0, v8
	v_writelane_b32 v125, s2, 30
	v_lshlrev_b32_sdwa v8, v41, v6 dst_sel:DWORD dst_unused:UNUSED_PAD src0_sel:DWORD src1_sel:BYTE_3
	v_writelane_b32 v125, s3, 31
	v_cmp_gt_i64_e64 s[2:3], 0, v[7:8]
	buffer_store_dword v0, off, s[96:99], 0 offset:180 ; 4-byte Folded Spill
	v_not_b32_e32 v0, v8
	v_writelane_b32 v125, s2, 32
	v_lshlrev_b32_sdwa v8, v54, v6 dst_sel:DWORD dst_unused:UNUSED_PAD src0_sel:DWORD src1_sel:BYTE_3
	buffer_store_dword v0, off, s[96:99], 0 offset:184 ; 4-byte Folded Spill
	v_writelane_b32 v125, s3, 33
	v_not_b32_e32 v0, v8
	v_cmp_gt_i64_e64 s[2:3], 0, v[7:8]
	buffer_store_dword v0, off, s[96:99], 0 offset:188 ; 4-byte Folded Spill
	v_lshrrev_b32_e32 v0, 4, v3
	v_writelane_b32 v125, s2, 34
	v_lshlrev_b32_e32 v8, 30, v0
	v_writelane_b32 v125, s3, 35
	v_cmp_gt_i64_e64 s[2:3], 0, v[7:8]
	v_and_b32_e32 v1, 1, v3
	buffer_store_dword v1, off, s[96:99], 0 offset:152 ; 4-byte Folded Spill
	v_not_b32_e32 v1, v8
	v_writelane_b32 v125, s2, 36
	v_lshlrev_b32_e32 v8, 29, v0
	v_writelane_b32 v125, s3, 37
	v_cmp_gt_i64_e64 s[2:3], 0, v[7:8]
	buffer_store_dword v1, off, s[96:99], 0 offset:196 ; 4-byte Folded Spill
	v_bfe_u32 v1, v3, 8, 1
	buffer_store_dword v1, off, s[96:99], 0 offset:156 ; 4-byte Folded Spill
	v_not_b32_e32 v1, v8
	v_writelane_b32 v125, s2, 38
	v_lshlrev_b32_e32 v8, 28, v0
	v_writelane_b32 v125, s3, 39
	v_not_b32_e32 v0, v8
	v_cmp_gt_i64_e64 s[2:3], 0, v[7:8]
	buffer_store_dword v0, off, s[96:99], 0 offset:204 ; 4-byte Folded Spill
	v_lshrrev_b32_e32 v0, 12, v3
	v_writelane_b32 v125, s2, 40
	v_lshlrev_b32_e32 v8, 30, v0
	v_writelane_b32 v125, s3, 41
	v_cmp_gt_i64_e64 s[2:3], 0, v[7:8]
	buffer_store_dword v1, off, s[96:99], 0 offset:200 ; 4-byte Folded Spill
	v_not_b32_e32 v1, v8
	v_writelane_b32 v125, s2, 42
	v_lshlrev_b32_e32 v8, 29, v0
	v_writelane_b32 v125, s3, 43
	v_cmp_gt_i64_e64 s[2:3], 0, v[7:8]
	buffer_store_dword v1, off, s[96:99], 0 offset:208 ; 4-byte Folded Spill
	v_bfe_u32 v1, v3, 16, 1
	buffer_store_dword v1, off, s[96:99], 0 offset:160 ; 4-byte Folded Spill
	v_not_b32_e32 v1, v8
	v_writelane_b32 v125, s2, 44
	v_lshlrev_b32_e32 v8, 28, v0
	v_writelane_b32 v125, s3, 45
	v_cmp_gt_i64_e64 s[2:3], 0, v[7:8]
	buffer_store_dword v1, off, s[96:99], 0 offset:216 ; 4-byte Folded Spill
	v_lshrrev_b32_e32 v1, 20, v3
	v_not_b32_e32 v0, v8
	v_writelane_b32 v125, s2, 46
	v_lshlrev_b32_e32 v8, 30, v1
	v_writelane_b32 v125, s3, 47
	v_cmp_gt_i64_e64 s[2:3], 0, v[7:8]
	buffer_store_dword v0, off, s[96:99], 0 offset:220 ; 4-byte Folded Spill
	v_not_b32_e32 v0, v8
	v_writelane_b32 v125, s2, 48
	v_lshlrev_b32_e32 v8, 29, v1
	v_writelane_b32 v125, s3, 49
	v_cmp_gt_i64_e64 s[2:3], 0, v[7:8]
	v_not_b32_e32 v9, v8
	v_writelane_b32 v125, s2, 50
	v_lshlrev_b32_e32 v8, 28, v1
	v_writelane_b32 v125, s3, 51
	v_cmp_gt_i64_e64 s[2:3], 0, v[7:8]
	v_lshrrev_b32_e32 v39, 28, v3
	v_not_b32_e32 v1, v8
	v_writelane_b32 v125, s2, 52
	v_lshlrev_b32_e32 v8, 30, v39
	v_writelane_b32 v125, s3, 53
	v_cmp_gt_i64_e64 s[2:3], 0, v[7:8]
	buffer_store_dword v9, off, s[96:99], 0 offset:232 ; 4-byte Folded Spill
	v_not_b32_e32 v9, v8
	v_writelane_b32 v125, s2, 54
	v_lshlrev_b32_e32 v8, 29, v39
	buffer_store_dword v1, off, s[96:99], 0 offset:236 ; 4-byte Folded Spill
	v_mov_b32_e32 v1, 1
	v_writelane_b32 v125, s3, 55
	v_cmp_gt_i64_e64 s[2:3], 0, v[7:8]
	buffer_store_dword v9, off, s[96:99], 0 offset:244 ; 4-byte Folded Spill
	v_and_b32_sdwa v9, v3, v1 dst_sel:DWORD dst_unused:UNUSED_PAD src0_sel:BYTE_3 src1_sel:DWORD
	buffer_store_dword v9, off, s[96:99], 0 offset:192 ; 4-byte Folded Spill
	v_not_b32_e32 v9, v8
	v_writelane_b32 v125, s2, 56
	v_and_b32_e32 v8, 0xf0000000, v3
	buffer_store_dword v9, off, s[96:99], 0 offset:248 ; 4-byte Folded Spill
	v_writelane_b32 v125, s3, 57
	v_not_b32_e32 v9, v8
	v_cmp_gt_i64_e64 s[2:3], 0, v[7:8]
	buffer_store_dword v9, off, s[96:99], 0 offset:252 ; 4-byte Folded Spill
	v_lshrrev_b32_e32 v9, 4, v4
	v_writelane_b32 v125, s2, 58
	v_lshlrev_b32_e32 v8, 30, v9
	v_writelane_b32 v125, s3, 59
	v_cmp_gt_i64_e64 s[2:3], 0, v[7:8]
	v_not_b32_e32 v11, v8
	v_writelane_b32 v125, s2, 60
	v_lshlrev_b32_e32 v8, 29, v9
	v_writelane_b32 v125, s3, 61
	v_cmp_gt_i64_e64 s[2:3], 0, v[7:8]
	buffer_store_dword v11, off, s[96:99], 0 offset:256 ; 4-byte Folded Spill
	v_and_b32_e32 v11, 1, v4
	buffer_store_dword v11, off, s[96:99], 0 offset:212 ; 4-byte Folded Spill
	v_not_b32_e32 v11, v8
	v_writelane_b32 v125, s2, 62
	v_lshlrev_b32_e32 v8, 28, v9
	v_writelane_b32 v125, s3, 63
	v_not_b32_e32 v9, v8
	v_cmp_gt_i64_e64 s[2:3], 0, v[7:8]
	buffer_store_dword v9, off, s[96:99], 0 offset:268 ; 4-byte Folded Spill
	v_lshrrev_b32_e32 v9, 12, v4
	v_writelane_b32 v126, s2, 0
	v_lshlrev_b32_e32 v8, 30, v9
	v_writelane_b32 v126, s3, 1
	v_cmp_gt_i64_e64 s[2:3], 0, v[7:8]
	buffer_store_dword v11, off, s[96:99], 0 offset:264 ; 4-byte Folded Spill
	v_bfe_u32 v11, v4, 8, 1
	buffer_store_dword v11, off, s[96:99], 0 offset:224 ; 4-byte Folded Spill
	v_not_b32_e32 v11, v8
	v_writelane_b32 v126, s2, 2
	v_lshlrev_b32_e32 v8, 29, v9
	v_writelane_b32 v126, s3, 3
	v_cmp_gt_i64_e64 s[2:3], 0, v[7:8]
	buffer_store_dword v11, off, s[96:99], 0 offset:272 ; 4-byte Folded Spill
	v_not_b32_e32 v11, v8
	v_writelane_b32 v126, s2, 4
	v_lshlrev_b32_e32 v8, 28, v9
	v_writelane_b32 v126, s3, 5
	v_not_b32_e32 v9, v8
	v_cmp_gt_i64_e64 s[2:3], 0, v[7:8]
	buffer_store_dword v9, off, s[96:99], 0 offset:280 ; 4-byte Folded Spill
	v_lshrrev_b32_e32 v9, 20, v4
	v_writelane_b32 v126, s2, 6
	v_lshlrev_b32_e32 v8, 30, v9
	v_writelane_b32 v126, s3, 7
	v_cmp_gt_i64_e64 s[2:3], 0, v[7:8]
	v_not_b32_e32 v123, v8
	v_writelane_b32 v126, s2, 8
	v_lshlrev_b32_e32 v8, 29, v9
	v_writelane_b32 v126, s3, 9
	v_cmp_gt_i64_e64 s[2:3], 0, v[7:8]
	v_not_b32_e32 v122, v8
	v_writelane_b32 v126, s2, 10
	v_lshlrev_b32_e32 v8, 28, v9
	v_writelane_b32 v126, s3, 11
	v_cmp_gt_i64_e64 s[2:3], 0, v[7:8]
	v_lshrrev_b32_e32 v99, 28, v4
	v_not_b32_e32 v120, v8
	v_writelane_b32 v126, s2, 12
	v_lshlrev_b32_e32 v8, 30, v99
	v_writelane_b32 v126, s3, 13
	v_cmp_gt_i64_e64 s[2:3], 0, v[7:8]
	v_not_b32_e32 v118, v8
	v_writelane_b32 v126, s2, 14
	v_lshlrev_b32_e32 v8, 29, v99
	v_writelane_b32 v126, s3, 15
	v_cmp_gt_i64_e64 s[2:3], 0, v[7:8]
	v_not_b32_e32 v116, v8
	v_writelane_b32 v126, s2, 16
	v_and_b32_e32 v8, 0xf0000000, v4
	v_and_b32_sdwa v9, v4, v1 dst_sel:DWORD dst_unused:UNUSED_PAD src0_sel:BYTE_3 src1_sel:DWORD
	v_writelane_b32 v126, s3, 17
	v_cmp_gt_i64_e64 s[2:3], 0, v[7:8]
	buffer_store_dword v9, off, s[96:99], 0 offset:260 ; 4-byte Folded Spill
	v_lshrrev_b32_e32 v9, 4, v5
	v_not_b32_e32 v114, v8
	v_writelane_b32 v126, s2, 18
	v_lshlrev_b32_e32 v8, 30, v9
	v_writelane_b32 v126, s3, 19
	v_cmp_gt_i64_e64 s[2:3], 0, v[7:8]
	v_not_b32_e32 v113, v8
	v_writelane_b32 v126, s2, 20
	v_lshlrev_b32_e32 v8, 29, v9
	v_writelane_b32 v126, s3, 21
	v_cmp_gt_i64_e64 s[2:3], 0, v[7:8]
	;; [unrolled: 5-line block ×3, first 2 shown]
	v_lshrrev_b32_e32 v9, 12, v5
	v_not_b32_e32 v110, v8
	v_writelane_b32 v126, s2, 24
	v_lshlrev_b32_e32 v8, 30, v9
	v_writelane_b32 v126, s3, 25
	v_cmp_gt_i64_e64 s[2:3], 0, v[7:8]
	v_not_b32_e32 v119, v8
	v_writelane_b32 v126, s2, 26
	v_lshlrev_b32_e32 v8, 29, v9
	v_writelane_b32 v126, s3, 27
	v_cmp_gt_i64_e64 s[2:3], 0, v[7:8]
	buffer_store_dword v0, off, s[96:99], 0 offset:228 ; 4-byte Folded Spill
	v_mov_b32_e32 v0, 15
	v_not_b32_e32 v109, v8
	v_writelane_b32 v126, s2, 28
	v_lshlrev_b32_e32 v8, 28, v9
	v_and_b32_sdwa v35, v3, v0 dst_sel:DWORD dst_unused:UNUSED_PAD src0_sel:BYTE_3 src1_sel:DWORD
	v_and_b32_sdwa v56, v4, v0 dst_sel:DWORD dst_unused:UNUSED_PAD src0_sel:BYTE_3 src1_sel:DWORD
	;; [unrolled: 1-line block ×5, first 2 shown]
	v_writelane_b32 v126, s3, 29
	v_cmp_gt_i64_e64 s[2:3], 0, v[7:8]
	buffer_store_dword v0, off, s[96:99], 0 offset:332 ; 4-byte Folded Spill
	v_lshrrev_b32_e32 v0, 20, v5
	v_not_b32_e32 v106, v8
	v_writelane_b32 v126, s2, 30
	v_lshlrev_b32_e32 v8, 30, v0
	v_writelane_b32 v126, s3, 31
	v_cmp_gt_i64_e64 s[2:3], 0, v[7:8]
	v_not_b32_e32 v105, v8
	v_writelane_b32 v126, s2, 32
	v_lshlrev_b32_e32 v8, 29, v0
	v_writelane_b32 v126, s3, 33
	v_not_b32_e32 v115, v8
	v_cmp_gt_i64_e64 s[2:3], 0, v[7:8]
	v_lshlrev_b32_e32 v8, 28, v0
	v_and_b32_e32 v0, 1, v5
	buffer_store_dword v0, off, s[96:99], 0 offset:304 ; 4-byte Folded Spill
	v_bfe_u32 v0, v5, 8, 1
	buffer_store_dword v0, off, s[96:99], 0 offset:308 ; 4-byte Folded Spill
	v_bfe_u32 v0, v5, 16, 1
	buffer_store_dword v0, off, s[96:99], 0 offset:312 ; 4-byte Folded Spill
	v_and_b32_e32 v0, 1, v6
	buffer_store_dword v0, off, s[96:99], 0 offset:320 ; 4-byte Folded Spill
	v_bfe_u32 v0, v3, 4, 1
	buffer_store_dword v11, off, s[96:99], 0 offset:276 ; 4-byte Folded Spill
	v_bfe_u32 v11, v4, 16, 1
	v_writelane_b32 v126, s2, 34
	buffer_store_dword v0, off, s[96:99], 0 offset:336 ; 4-byte Folded Spill
	v_bfe_u32 v0, v3, 12, 1
	buffer_store_dword v11, off, s[96:99], 0 offset:240 ; 4-byte Folded Spill
	v_and_b32_sdwa v11, v5, v1 dst_sel:DWORD dst_unused:UNUSED_PAD src0_sel:BYTE_3 src1_sel:DWORD
	v_writelane_b32 v126, s3, 35
	v_cmp_gt_i64_e64 s[2:3], 0, v[7:8]
	buffer_store_dword v0, off, s[96:99], 0 offset:340 ; 4-byte Folded Spill
	v_bfe_u32 v0, v3, 20, 1
	buffer_store_dword v11, off, s[96:99], 0 offset:316 ; 4-byte Folded Spill
	v_lshrrev_b32_e32 v11, 28, v5
	buffer_store_dword v0, off, s[96:99], 0 offset:344 ; 4-byte Folded Spill
	v_bfe_u32 v0, v3, 28, 1
	v_not_b32_e32 v121, v8
	v_writelane_b32 v126, s2, 36
	v_lshlrev_b32_e32 v8, 30, v11
	buffer_store_dword v0, off, s[96:99], 0 offset:348 ; 4-byte Folded Spill
	v_bfe_u32 v0, v4, 4, 1
	v_writelane_b32 v126, s3, 37
	v_cmp_gt_i64_e64 s[2:3], 0, v[7:8]
	buffer_store_dword v0, off, s[96:99], 0 offset:352 ; 4-byte Folded Spill
	v_bfe_u32 v0, v4, 12, 1
	buffer_store_dword v0, off, s[96:99], 0 offset:356 ; 4-byte Folded Spill
	v_bfe_u32 v0, v4, 20, 1
	v_not_b32_e32 v117, v8
	v_writelane_b32 v126, s2, 38
	v_lshlrev_b32_e32 v8, 29, v11
	buffer_store_dword v0, off, s[96:99], 0 offset:360 ; 4-byte Folded Spill
	v_bfe_u32 v0, v4, 28, 1
	v_writelane_b32 v126, s3, 39
	v_cmp_gt_i64_e64 s[2:3], 0, v[7:8]
	v_and_b32_e32 v21, 16, v3
	buffer_store_dword v0, off, s[96:99], 0 offset:364 ; 4-byte Folded Spill
	v_bfe_u32 v0, v5, 4, 1
	v_mad_u32_u24 v1, v10, s1, v2
	v_or_b32_e32 v2, 63, v20
	v_not_b32_e32 v103, v8
	v_and_b32_e32 v8, 0xf0000000, v5
	buffer_store_dword v0, off, s[96:99], 0 offset:368 ; 4-byte Folded Spill
	v_bfe_u32 v0, v5, 12, 1
	v_cmp_eq_u32_e64 s[72:73], v20, v2
	v_mad_u64_u32 v[1:2], s[0:1], v1, s0, v[20:21]
	v_writelane_b32 v126, s2, 40
	buffer_store_dword v0, off, s[96:99], 0 offset:372 ; 4-byte Folded Spill
	v_bfe_u32 v0, v5, 20, 1
	v_cmp_gt_i64_e64 s[0:1], 0, v[7:8]
	v_and_b32_e32 v108, 15, v5
	v_writelane_b32 v126, s3, 41
	v_bfe_u32 v36, v5, 8, 4
	v_and_b32_e32 v29, 0x100, v5
	v_bfe_u32 v37, v5, 16, 4
	v_and_b32_e32 v31, 0x10000, v5
	;; [unrolled: 2-line block ×4, first 2 shown]
	v_bfe_u32 v51, v5, 20, 4
	buffer_store_dword v0, off, s[96:99], 0 offset:376 ; 4-byte Folded Spill
	v_and_b32_e32 v27, 0x100000, v5
	v_bfe_u32 v0, v5, 28, 1
	v_and_b32_e32 v33, 0x10000000, v5
	v_lshrrev_b32_e32 v5, 4, v6
	v_lshlrev_b32_e32 v2, 2, v20
	v_lshrrev_b32_e32 v10, 4, v20
	v_writelane_b32 v126, s0, 42
	v_not_b32_e32 v20, v8
	v_lshlrev_b32_e32 v8, 30, v5
	v_writelane_b32 v126, s1, 43
	v_cmp_gt_i64_e64 s[0:1], 0, v[7:8]
	v_not_b32_e32 v18, v8
	v_writelane_b32 v126, s0, 44
	v_lshlrev_b32_e32 v8, 29, v5
	v_writelane_b32 v126, s1, 45
	v_cmp_gt_i64_e64 s[0:1], 0, v[7:8]
	v_not_b32_e32 v17, v8
	v_writelane_b32 v126, s0, 46
	v_lshlrev_b32_e32 v8, 28, v5
	v_writelane_b32 v126, s1, 47
	v_cmp_gt_i64_e64 s[0:1], 0, v[7:8]
	v_lshrrev_b32_e32 v9, 4, v1
	v_lshrrev_b32_e32 v1, 4, v42
	v_writelane_b32 v126, s0, 48
	v_not_b32_e32 v16, v8
	v_lshlrev_b32_e32 v8, 30, v1
	v_writelane_b32 v126, s1, 49
	v_cmp_gt_i64_e64 s[0:1], 0, v[7:8]
	v_not_b32_e32 v15, v8
	v_writelane_b32 v126, s0, 50
	v_lshlrev_b32_e32 v8, 29, v1
	v_writelane_b32 v126, s1, 51
	v_cmp_gt_i64_e64 s[0:1], 0, v[7:8]
	v_not_b32_e32 v14, v8
	v_writelane_b32 v126, s0, 52
	v_lshlrev_b32_e32 v8, 28, v1
	buffer_store_dword v0, off, s[96:99], 0 offset:380 ; 4-byte Folded Spill
	v_bfe_u32 v0, v6, 4, 1
	v_writelane_b32 v126, s1, 53
	v_cmp_gt_i64_e64 s[0:1], 0, v[7:8]
	buffer_store_dword v0, off, s[96:99], 0 offset:384 ; 4-byte Folded Spill
	v_lshrrev_b32_e32 v0, 4, v46
	v_writelane_b32 v126, s0, 54
	v_not_b32_e32 v13, v8
	v_lshlrev_b32_e32 v8, 30, v0
	v_writelane_b32 v126, s1, 55
	v_cmp_gt_i64_e64 s[0:1], 0, v[7:8]
	v_not_b32_e32 v12, v8
	v_writelane_b32 v126, s0, 56
	v_lshlrev_b32_e32 v8, 29, v0
	v_writelane_b32 v126, s1, 57
	v_cmp_gt_i64_e64 s[0:1], 0, v[7:8]
	v_not_b32_e32 v5, v8
	v_lshlrev_b32_e32 v8, 28, v0
	v_mbcnt_lo_u32_b32 v0, -1, 0
	v_mbcnt_hi_u32_b32 v0, -1, v0
	v_writelane_b32 v126, s0, 58
	v_and_b32_e32 v1, 15, v0
	v_writelane_b32 v126, s1, 59
	v_cmp_eq_u32_e64 s[0:1], 0, v1
	v_cmp_lt_u32_e64 s[2:3], 1, v1
	v_cmp_lt_u32_e64 s[4:5], 3, v1
	;; [unrolled: 1-line block ×3, first 2 shown]
	v_and_b32_e32 v1, 16, v0
	v_and_b32_e32 v53, 15, v3
	v_bfe_u32 v52, v3, 8, 4
	v_and_b32_e32 v86, 0x100, v3
	v_bfe_u32 v54, v3, 16, 4
	;; [unrolled: 2-line block ×3, first 2 shown]
	v_bfe_u32 v41, v3, 12, 4
	v_and_b32_e32 v22, 0x1000, v3
	v_bfe_u32 v43, v3, 20, 4
	v_and_b32_e32 v19, 0x100000, v3
	v_and_b32_e32 v23, 0x10000000, v3
	v_cmp_eq_u32_e64 s[8:9], 0, v1
	v_and_b32_e32 v3, 64, v0
	v_subrev_co_u32_e64 v1, s[10:11], 1, v0
	v_cmp_lt_i32_e32 vcc, v1, v3
	v_cndmask_b32_e32 v1, v1, v0, vcc
	v_cmp_lt_u32_e64 s[14:15], 31, v0
	v_and_b32_e32 v0, 7, v0
	v_cmp_eq_u32_e64 s[16:17], 0, v0
	v_writelane_b32 v126, s16, 60
	v_writelane_b32 v126, s17, 61
	v_cmp_lt_u32_e64 s[16:17], 1, v0
	v_writelane_b32 v126, s16, 62
	v_writelane_b32 v126, s17, 63
	v_cmp_lt_u32_e64 s[16:17], 3, v0
	v_writelane_b32 v127, s16, 0
	v_writelane_b32 v127, s17, 1
	v_cmp_ne_u32_e64 s[16:17], 0, v86
	v_writelane_b32 v127, s16, 2
	v_writelane_b32 v127, s17, 3
	v_cmp_ne_u32_e64 s[16:17], 0, v91
	v_and_b32_e32 v34, 0x100, v4
	v_writelane_b32 v127, s16, 4
	v_writelane_b32 v127, s17, 5
	v_cmp_ne_u32_e64 s[16:17], 0, v34
	v_and_b32_e32 v55, 0x10000, v4
	v_writelane_b32 v127, s16, 6
	v_writelane_b32 v127, s17, 7
	v_cmp_ne_u32_e64 s[16:17], 0, v55
	v_writelane_b32 v127, s16, 8
	v_writelane_b32 v127, s17, 9
	v_cmp_ne_u32_e64 s[16:17], 0, v29
	;; [unrolled: 3-line block ×7, first 2 shown]
	v_and_b32_e32 v24, 16, v4
	v_writelane_b32 v127, s16, 20
	v_writelane_b32 v127, s17, 21
	v_cmp_ne_u32_e64 s[16:17], 0, v24
	v_and_b32_e32 v25, 0x1000, v4
	v_writelane_b32 v127, s16, 22
	v_writelane_b32 v127, s17, 23
	v_cmp_ne_u32_e64 s[16:17], 0, v25
	;; [unrolled: 4-line block ×4, first 2 shown]
	v_writelane_b32 v127, s16, 28
	v_writelane_b32 v127, s17, 29
	v_cmp_ne_u32_e64 s[16:17], 0, v30
	v_writelane_b32 v127, s16, 30
	v_writelane_b32 v127, s17, 31
	v_cmp_ne_u32_e64 s[16:17], 0, v32
	buffer_load_dword v32, off, s[96:99], 0 offset:180 ; 4-byte Folded Reload
	buffer_load_dword v34, off, s[96:99], 0 offset:228 ; 4-byte Folded Reload
	v_writelane_b32 v127, s16, 32
	v_writelane_b32 v127, s17, 33
	v_cmp_ne_u32_e64 s[16:17], 0, v27
	v_writelane_b32 v127, s16, 34
	v_writelane_b32 v127, s17, 35
	v_cmp_ne_u32_e64 s[16:17], 0, v33
	v_and_b32_e32 v92, 15, v4
	v_bfe_u32 v94, v4, 8, 4
	v_bfe_u32 v100, v4, 16, 4
	;; [unrolled: 1-line block ×5, first 2 shown]
	v_and_b32_e32 v4, 16, v6
	v_writelane_b32 v127, s16, 36
	v_writelane_b32 v127, s17, 37
	v_cmp_ne_u32_e64 s[16:17], 0, v4
	v_writelane_b32 v127, s16, 38
	v_and_b32_e32 v0, 16, v42
	v_writelane_b32 v127, s17, 39
	v_cmp_ne_u32_e64 s[16:17], 0, v0
	v_writelane_b32 v127, s16, 40
	v_and_b32_e32 v0, 16, v46
	v_writelane_b32 v127, s17, 41
	v_cmp_ne_u32_e64 s[16:17], 0, v0
	v_and_b32_e32 v0, 28, v10
	buffer_store_dword v0, off, s[96:99], 0 ; 4-byte Folded Spill
	v_ashrrev_i32_e32 v0, 31, v57
	buffer_store_dword v0, off, s[96:99], 0 offset:4 ; 4-byte Folded Spill
	v_ashrrev_i32_e32 v0, 31, v58
	buffer_store_dword v0, off, s[96:99], 0 offset:8 ; 4-byte Folded Spill
	v_ashrrev_i32_e32 v0, 31, v59
	v_ashrrev_i32_e32 v19, 31, v66
	v_and_b32_e32 v3, 0xffffffc, v9
	buffer_store_dword v0, off, s[96:99], 0 offset:12 ; 4-byte Folded Spill
	v_mul_u32_u24_e32 v0, 36, v53
	buffer_store_dword v19, off, s[96:99], 0 offset:40 ; 4-byte Folded Spill
	v_ashrrev_i32_e32 v19, 31, v67
	v_lshlrev_b32_e32 v4, 2, v1
	v_mul_u32_u24_e32 v1, 36, v52
	v_ashrrev_i32_e32 v10, 31, v63
	buffer_store_dword v19, off, s[96:99], 0 offset:44 ; 4-byte Folded Spill
	v_ashrrev_i32_e32 v19, 31, v68
	v_add_u32_e32 v0, v3, v0
	buffer_store_dword v10, off, s[96:99], 0 offset:28 ; 4-byte Folded Spill
	v_ashrrev_i32_e32 v10, 31, v64
	buffer_store_dword v19, off, s[96:99], 0 offset:48 ; 4-byte Folded Spill
	v_mul_u32_u24_e32 v19, 36, v92
	v_ashrrev_i32_e32 v64, 31, v116
	buffer_store_dword v0, off, s[96:99], 0 offset:812 ; 4-byte Folded Spill
	v_add_u32_e32 v116, v3, v1
	buffer_load_dword v1, off, s[96:99], 0 offset:152 ; 4-byte Folded Reload
	buffer_load_dword v0, off, s[96:99], 0 offset:156 ; 4-byte Folded Reload
	;; [unrolled: 1-line block ×3, first 2 shown]
	v_ashrrev_i32_e32 v29, 31, v98
	v_ashrrev_i32_e32 v98, 31, v107
	;; [unrolled: 1-line block ×3, first 2 shown]
	buffer_store_dword v24, off, s[96:99], 0 offset:88 ; 4-byte Folded Spill
	v_ashrrev_i32_e32 v24, 31, v79
	buffer_store_dword v24, off, s[96:99], 0 offset:92 ; 4-byte Folded Spill
	v_ashrrev_i32_e32 v24, 31, v80
	buffer_store_dword v24, off, s[96:99], 0 offset:96 ; 4-byte Folded Spill
	v_mul_u32_u24_e32 v24, 36, v108
	v_ashrrev_i32_e32 v9, 31, v60
	buffer_store_dword v9, off, s[96:99], 0 offset:16 ; 4-byte Folded Spill
	v_ashrrev_i32_e32 v9, 31, v61
	buffer_store_dword v9, off, s[96:99], 0 offset:20 ; 4-byte Folded Spill
	;; [unrolled: 2-line block ×3, first 2 shown]
	v_mul_u32_u24_e32 v9, 36, v54
	v_ashrrev_i32_e32 v28, 31, v95
	buffer_store_dword v28, off, s[96:99], 0 offset:136 ; 4-byte Folded Spill
	v_ashrrev_i32_e32 v28, 31, v96
	v_ashrrev_i32_e32 v96, 31, v112
	;; [unrolled: 1-line block ×3, first 2 shown]
	buffer_store_dword v23, off, s[96:99], 0 offset:76 ; 4-byte Folded Spill
	v_ashrrev_i32_e32 v23, 31, v76
	buffer_store_dword v23, off, s[96:99], 0 offset:80 ; 4-byte Folded Spill
	v_ashrrev_i32_e32 v23, 31, v77
	s_waitcnt vmcnt(22)
	v_ashrrev_i32_e32 v92, 31, v32
	buffer_load_dword v32, off, s[96:99], 0 offset:184 ; 4-byte Folded Reload
	s_waitcnt vmcnt(22)
	v_ashrrev_i32_e32 v63, 31, v34
	buffer_load_dword v34, off, s[96:99], 0 offset:232 ; 4-byte Folded Reload
	v_writelane_b32 v127, s16, 42
	buffer_store_dword v23, off, s[96:99], 0 offset:84 ; 4-byte Folded Spill
	v_mul_u32_u24_e32 v23, 36, v56
	v_writelane_b32 v127, s17, 43
	buffer_load_dword v31, off, s[96:99], 0 offset:168 ; 4-byte Folded Reload
	v_ashrrev_i32_e32 v27, 31, v89
	buffer_store_dword v27, off, s[96:99], 0 offset:124 ; 4-byte Folded Spill
	v_ashrrev_i32_e32 v27, 31, v90
	buffer_store_dword v27, off, s[96:99], 0 offset:128 ; 4-byte Folded Spill
	v_ashrrev_i32_e32 v27, 31, v93
	buffer_load_dword v30, off, s[96:99], 0 offset:164 ; 4-byte Folded Reload
	v_and_b32_e32 v38, 15, v6
	buffer_store_dword v28, off, s[96:99], 0 offset:140 ; 4-byte Folded Spill
	v_ashrrev_i32_e32 v28, 31, v97
	v_bfe_u32 v48, v6, 4, 4
	buffer_store_dword v28, off, s[96:99], 0 offset:144 ; 4-byte Folded Spill
	v_mul_u32_u24_e32 v28, 36, v38
	v_mul_u32_u24_e32 v38, 36, v45
	v_and_b32_e32 v45, 1, v42
	v_ashrrev_i32_e32 v77, 31, v20
	v_mul_u32_u24_e32 v20, 36, v48
	v_and_b32_e32 v48, 1, v46
	v_writelane_b32 v127, s12, 44
	v_writelane_b32 v127, s13, 45
	v_cmp_gt_i64_e64 s[12:13], 0, v[7:8]
	v_lshrrev_b32_e32 v6, 28, v6
	v_ashrrev_i32_e32 v26, 31, v84
	v_ashrrev_i32_e32 v84, 31, v5
	v_not_b32_e32 v5, v8
	v_writelane_b32 v127, s12, 46
	v_lshlrev_b32_e32 v8, 30, v6
	v_writelane_b32 v127, s13, 47
	v_cmp_gt_i64_e64 s[12:13], 0, v[7:8]
	v_ashrrev_i32_e32 v25, 31, v81
	v_writelane_b32 v127, s12, 48
	v_writelane_b32 v127, s13, 49
	buffer_store_dword v25, off, s[96:99], 0 offset:100 ; 4-byte Folded Spill
	v_ashrrev_i32_e32 v25, 31, v82
	buffer_store_dword v25, off, s[96:99], 0 offset:104 ; 4-byte Folded Spill
	v_ashrrev_i32_e32 v25, 31, v83
	buffer_store_dword v25, off, s[96:99], 0 offset:108 ; 4-byte Folded Spill
	v_mul_u32_u24_e32 v25, 36, v36
	buffer_store_dword v29, off, s[96:99], 0 offset:148 ; 4-byte Folded Spill
	v_and_b32_e32 v29, 15, v42
	v_mul_u32_u24_e32 v36, 36, v39
	v_mul_u32_u24_e32 v39, 36, v47
	v_mul_u32_u24_e32 v47, 36, v11
	v_bfe_u32 v11, v42, 4, 4
	v_bfe_u32 v42, v42, 4, 1
	s_waitcnt vmcnt(23)
	v_add_co_u32_e64 v0, s[18:19], -1, v0
	buffer_store_dword v26, off, s[96:99], 0 offset:112 ; 4-byte Folded Spill
	v_ashrrev_i32_e32 v26, 31, v87
	buffer_store_dword v26, off, s[96:99], 0 offset:116 ; 4-byte Folded Spill
	v_ashrrev_i32_e32 v26, 31, v88
	buffer_store_dword v26, off, s[96:99], 0 offset:120 ; 4-byte Folded Spill
	v_mul_u32_u24_e32 v26, 36, v37
	v_mul_u32_u24_e32 v37, 36, v44
	;; [unrolled: 1-line block ×3, first 2 shown]
	v_and_b32_e32 v51, 1, v6
	v_ashrrev_i32_e32 v22, 31, v72
	buffer_store_dword v22, off, s[96:99], 0 offset:64 ; 4-byte Folded Spill
	v_ashrrev_i32_e32 v22, 31, v73
	buffer_store_dword v22, off, s[96:99], 0 offset:68 ; 4-byte Folded Spill
	;; [unrolled: 2-line block ×3, first 2 shown]
	v_mul_u32_u24_e32 v22, 36, v100
	v_ashrrev_i32_e32 v100, 31, v101
	v_ashrrev_i32_e32 v101, 31, v102
	v_ashrrev_i32_e32 v21, 31, v69
	buffer_store_dword v21, off, s[96:99], 0 offset:52 ; 4-byte Folded Spill
	v_ashrrev_i32_e32 v21, 31, v70
	buffer_store_dword v21, off, s[96:99], 0 offset:56 ; 4-byte Folded Spill
	v_ashrrev_i32_e32 v21, 31, v71
	buffer_store_dword v21, off, s[96:99], 0 offset:60 ; 4-byte Folded Spill
	v_mul_u32_u24_e32 v21, 36, v94
	buffer_store_dword v27, off, s[96:99], 0 offset:132 ; 4-byte Folded Spill
	v_mul_u32_u24_e32 v27, 36, v85
	buffer_store_dword v10, off, s[96:99], 0 offset:32 ; 4-byte Folded Spill
	s_waitcnt vmcnt(22)
	v_ashrrev_i32_e32 v52, 31, v34
	buffer_load_dword v34, off, s[96:99], 0 offset:236 ; 4-byte Folded Reload
	v_ashrrev_i32_e32 v10, 31, v65
	buffer_store_dword v10, off, s[96:99], 0 offset:36 ; 4-byte Folded Spill
	v_ashrrev_i32_e32 v78, 31, v18
	v_mul_u32_u24_e32 v18, 36, v11
	v_bfe_u32 v11, v46, 4, 4
	v_ashrrev_i32_e32 v82, 31, v14
	v_mul_u32_u24_e32 v14, 36, v11
	v_ashrrev_i32_e32 v60, 31, v123
	v_ashrrev_i32_e32 v61, 31, v122
	v_add_u32_e32 v123, v3, v20
	v_mul_u32_u24_e32 v10, 36, v35
	v_mul_u32_u24_e32 v29, 36, v29
	v_ashrrev_i32_e32 v62, 31, v120
	v_ashrrev_i32_e32 v65, 31, v114
	;; [unrolled: 1-line block ×18, first 2 shown]
	v_add_u32_e32 v119, v3, v10
	v_add_u32_e32 v121, v3, v19
	;; [unrolled: 1-line block ×14, first 2 shown]
	v_cmp_eq_u32_e64 s[68:69], 1, v1
	v_cmp_eq_u32_e64 s[86:87], 1, v45
	;; [unrolled: 1-line block ×4, first 2 shown]
	v_mov_b32_e32 v44, v64
	v_mov_b32_e32 v38, v66
	;; [unrolled: 1-line block ×4, first 2 shown]
	s_waitcnt vmcnt(1)
	v_ashrrev_i32_e32 v107, 31, v34
	buffer_load_dword v34, off, s[96:99], 0 offset:244 ; 4-byte Folded Reload
	s_waitcnt vmcnt(0)
	v_ashrrev_i32_e32 v53, 31, v34
	buffer_load_dword v34, off, s[96:99], 0 offset:248 ; 4-byte Folded Reload
	;; [unrolled: 3-line block ×8, first 2 shown]
	s_waitcnt vmcnt(0)
	v_ashrrev_i32_e32 v58, 31, v34
	buffer_store_dword v0, off, s[96:99], 0 offset:276 ; 4-byte Folded Spill
	buffer_load_dword v0, off, s[96:99], 0 offset:160 ; 4-byte Folded Reload
	v_ashrrev_i32_e32 v93, 31, v32
	buffer_load_dword v34, off, s[96:99], 0 offset:280 ; 4-byte Folded Reload
	buffer_load_dword v32, off, s[96:99], 0 offset:188 ; 4-byte Folded Reload
	s_waitcnt vmcnt(2)
	v_add_co_u32_e64 v0, s[16:17], -1, v0
	buffer_store_dword v0, off, s[96:99], 0 offset:280 ; 4-byte Folded Spill
	buffer_load_dword v0, off, s[96:99], 0 offset:192 ; 4-byte Folded Reload
	s_waitcnt vmcnt(3)
	v_ashrrev_i32_e32 v59, 31, v34
	v_ashrrev_i32_e32 v34, 31, v5
	v_not_b32_e32 v5, v8
	v_lshlrev_b32_e32 v8, 29, v6
	v_not_b32_e32 v11, v8
	v_ashrrev_i32_e32 v5, 31, v5
	v_cmp_gt_i64_e64 s[66:67], 0, v[7:8]
	v_lshlrev_b32_e32 v8, 28, v6
	buffer_store_dword v5, off, s[96:99], 0 offset:828 ; 4-byte Folded Spill
	v_ashrrev_i32_e32 v5, 31, v11
	buffer_store_dword v5, off, s[96:99], 0 offset:820 ; 4-byte Folded Spill
	v_not_b32_e32 v5, v8
	v_ashrrev_i32_e32 v5, 31, v5
	buffer_store_dword v5, off, s[96:99], 0 offset:824 ; 4-byte Folded Spill
	v_add_u32_e32 v5, v3, v24
	v_add_u32_e32 v11, v3, v26
	v_mov_b32_e32 v19, v34
	s_waitcnt vmcnt(3)
	v_cmp_eq_u32_e64 s[70:71], 1, v0
	v_add_co_u32_e64 v0, s[20:21], -1, v0
	buffer_store_dword v0, off, s[96:99], 0 offset:284 ; 4-byte Folded Spill
	buffer_load_dword v0, off, s[96:99], 0 offset:212 ; 4-byte Folded Reload
	v_ashrrev_i32_e32 v91, 31, v32
	v_mul_u32_u24_e32 v32, 36, v40
	buffer_store_dword v32, off, s[96:99], 0 offset:808 ; 4-byte Folded Spill
	buffer_load_dword v32, off, s[96:99], 0 offset:196 ; 4-byte Folded Reload
	v_mul_u32_u24_e32 v40, 36, v99
	v_ashrrev_i32_e32 v99, 31, v118
	v_add_u32_e32 v118, v3, v9
	v_add_u32_e32 v9, v3, v22
	v_add_u32_e32 v111, v3, v40
	v_mov_b32_e32 v40, v62
	s_waitcnt vmcnt(2)
	v_cmp_eq_u32_e64 s[76:77], 1, v0
	v_add_co_u32_e64 v0, s[26:27], -1, v0
	buffer_store_dword v0, off, s[96:99], 0 offset:288 ; 4-byte Folded Spill
	buffer_load_dword v0, off, s[96:99], 0 offset:224 ; 4-byte Folded Reload
	s_waitcnt vmcnt(2)
	v_ashrrev_i32_e32 v89, 31, v32
	buffer_load_dword v32, off, s[96:99], 0 offset:200 ; 4-byte Folded Reload
	s_waitcnt vmcnt(1)
	v_add_co_u32_e64 v0, s[22:23], -1, v0
	buffer_store_dword v0, off, s[96:99], 0 offset:292 ; 4-byte Folded Spill
	buffer_load_dword v0, off, s[96:99], 0 offset:240 ; 4-byte Folded Reload
	s_waitcnt vmcnt(2)
	v_ashrrev_i32_e32 v90, 31, v32
	buffer_load_dword v32, off, s[96:99], 0 offset:204 ; 4-byte Folded Reload
	s_waitcnt vmcnt(1)
	v_add_co_u32_e64 v0, s[24:25], -1, v0
	buffer_store_dword v0, off, s[96:99], 0 offset:296 ; 4-byte Folded Spill
	buffer_load_dword v0, off, s[96:99], 0 offset:260 ; 4-byte Folded Reload
	s_waitcnt vmcnt(2)
	v_ashrrev_i32_e32 v88, 31, v32
	v_mul_u32_u24_e32 v32, 36, v41
	v_mul_u32_u24_e32 v41, 36, v49
	v_bfe_u32 v49, v46, 4, 1
	v_add_u32_e32 v103, v3, v32
	v_add_u32_e32 v113, v3, v41
	v_mov_b32_e32 v41, v70
	s_waitcnt vmcnt(0)
	v_cmp_eq_u32_e64 s[78:79], 1, v0
	v_add_co_u32_e64 v0, s[28:29], -1, v0
	buffer_store_dword v0, off, s[96:99], 0 offset:300 ; 4-byte Folded Spill
	buffer_load_dword v0, off, s[96:99], 0 offset:304 ; 4-byte Folded Reload
	s_waitcnt vmcnt(0)
	v_cmp_eq_u32_e64 s[80:81], 1, v0
	v_add_co_u32_e64 v0, s[36:37], -1, v0
	buffer_store_dword v0, off, s[96:99], 0 offset:304 ; 4-byte Folded Spill
	buffer_load_dword v0, off, s[96:99], 0 offset:308 ; 4-byte Folded Reload
	s_waitcnt vmcnt(0)
	v_add_co_u32_e64 v0, s[30:31], -1, v0
	buffer_store_dword v0, off, s[96:99], 0 offset:308 ; 4-byte Folded Spill
	buffer_load_dword v0, off, s[96:99], 0 offset:312 ; 4-byte Folded Reload
	s_waitcnt vmcnt(0)
	;; [unrolled: 4-line block ×3, first 2 shown]
	v_cmp_eq_u32_e64 s[82:83], 1, v0
	v_add_co_u32_e64 v0, s[38:39], -1, v0
	buffer_store_dword v0, off, s[96:99], 0 offset:316 ; 4-byte Folded Spill
	buffer_load_dword v0, off, s[96:99], 0 offset:320 ; 4-byte Folded Reload
	s_waitcnt vmcnt(0)
	v_cmp_eq_u32_e64 s[84:85], 1, v0
	v_add_co_u32_e64 v0, s[40:41], -1, v0
	buffer_store_dword v0, off, s[96:99], 0 offset:320 ; 4-byte Folded Spill
	v_add_co_u32_e64 v0, s[42:43], -1, v45
	buffer_store_dword v0, off, s[96:99], 0 offset:324 ; 4-byte Folded Spill
	;; [unrolled: 2-line block ×3, first 2 shown]
	buffer_load_dword v0, off, s[96:99], 0 offset:332 ; 4-byte Folded Reload
	v_mov_b32_e32 v45, v68
	v_mov_b32_e32 v48, v76
	s_waitcnt vmcnt(0)
	v_cmp_eq_u32_e64 s[90:91], 1, v0
	v_add_co_u32_e64 v0, s[64:65], -1, v0
	buffer_store_dword v0, off, s[96:99], 0 offset:332 ; 4-byte Folded Spill
	buffer_load_dword v0, off, s[96:99], 0 offset:336 ; 4-byte Folded Reload
	s_waitcnt vmcnt(0)
	v_add_co_u32_e64 v0, s[46:47], -1, v0
	buffer_store_dword v0, off, s[96:99], 0 offset:336 ; 4-byte Folded Spill
	buffer_load_dword v0, off, s[96:99], 0 offset:340 ; 4-byte Folded Reload
	s_waitcnt vmcnt(0)
	;; [unrolled: 4-line block ×10, first 2 shown]
	v_add_co_u32_e64 v0, s[12:13], -1, v0
	buffer_store_dword v0, off, s[96:99], 0 offset:372 ; 4-byte Folded Spill
	buffer_load_dword v0, off, s[96:99], 0 offset:376 ; 4-byte Folded Reload
	v_writelane_b32 v127, s12, 50
	v_writelane_b32 v127, s13, 51
	s_waitcnt vmcnt(0)
	v_add_co_u32_e64 v0, s[12:13], -1, v0
	buffer_store_dword v0, off, s[96:99], 0 offset:376 ; 4-byte Folded Spill
	buffer_load_dword v0, off, s[96:99], 0 offset:380 ; 4-byte Folded Reload
	v_writelane_b32 v127, s12, 52
	v_writelane_b32 v127, s13, 53
	s_waitcnt vmcnt(0)
	;; [unrolled: 6-line block ×3, first 2 shown]
	v_add_co_u32_e64 v0, s[12:13], -1, v0
	v_writelane_b32 v127, s12, 56
	buffer_store_dword v0, off, s[96:99], 0 offset:384 ; 4-byte Folded Spill
	v_writelane_b32 v127, s13, 57
	v_add_co_u32_e64 v0, s[12:13], -1, v42
	v_writelane_b32 v127, s12, 58
	buffer_store_dword v0, off, s[96:99], 0 offset:388 ; 4-byte Folded Spill
	v_writelane_b32 v127, s13, 59
	;; [unrolled: 4-line block ×3, first 2 shown]
	v_add_co_u32_e64 v0, s[12:13], -1, v51
	buffer_store_dword v0, off, s[96:99], 0 offset:396 ; 4-byte Folded Spill
	v_add_co_u32_e32 v0, vcc, -1, v1
	buffer_store_dword v0, off, s[96:99], 0 offset:400 ; 4-byte Folded Spill
	v_addc_co_u32_e64 v0, vcc, 0, -1, vcc
	buffer_store_dword v0, off, s[96:99], 0 offset:404 ; 4-byte Folded Spill
	v_addc_co_u32_e64 v0, s[18:19], 0, -1, s[18:19]
	buffer_store_dword v0, off, s[96:99], 0 offset:408 ; 4-byte Folded Spill
	v_addc_co_u32_e64 v0, s[16:17], 0, -1, s[16:17]
	;; [unrolled: 2-line block ×22, first 2 shown]
	v_writelane_b32 v127, s12, 62
	buffer_store_dword v0, off, s[96:99], 0 offset:492 ; 4-byte Folded Spill
	v_addc_co_u32_e64 v0, s[16:17], 0, -1, s[60:61]
	v_writelane_b32 v127, s13, 63
	buffer_store_dword v0, off, s[96:99], 0 offset:496 ; 4-byte Folded Spill
	v_addc_co_u32_e64 v0, s[16:17], 0, -1, s[62:63]
	v_readlane_b32 s16, v127, 50
	v_readlane_b32 s17, v127, 51
	buffer_store_dword v0, off, s[96:99], 0 offset:500 ; 4-byte Folded Spill
	v_addc_co_u32_e64 v0, s[16:17], 0, -1, s[16:17]
	v_readlane_b32 s16, v127, 52
	v_readlane_b32 s17, v127, 53
	buffer_store_dword v0, off, s[96:99], 0 offset:504 ; 4-byte Folded Spill
	v_addc_co_u32_e64 v0, s[16:17], 0, -1, s[16:17]
	v_readlane_b32 s16, v127, 54
	v_readlane_b32 s17, v127, 55
	buffer_store_dword v0, off, s[96:99], 0 offset:508 ; 4-byte Folded Spill
	v_addc_co_u32_e64 v0, s[16:17], 0, -1, s[16:17]
	v_readlane_b32 s16, v127, 56
	v_readlane_b32 s17, v127, 57
	buffer_store_dword v0, off, s[96:99], 0 offset:512 ; 4-byte Folded Spill
	v_addc_co_u32_e64 v0, s[16:17], 0, -1, s[16:17]
	v_readlane_b32 s16, v127, 58
	v_readlane_b32 s17, v127, 59
	buffer_store_dword v0, off, s[96:99], 0 offset:516 ; 4-byte Folded Spill
	v_addc_co_u32_e64 v0, s[16:17], 0, -1, s[16:17]
	v_readlane_b32 s16, v127, 60
	v_readlane_b32 s17, v127, 61
	buffer_store_dword v0, off, s[96:99], 0 offset:520 ; 4-byte Folded Spill
	v_addc_co_u32_e64 v0, s[16:17], 0, -1, s[16:17]
	v_readlane_b32 s16, v127, 62
	v_readlane_b32 s17, v127, 63
	buffer_store_dword v0, off, s[96:99], 0 offset:524 ; 4-byte Folded Spill
	v_addc_co_u32_e64 v0, s[16:17], 0, -1, s[16:17]
	buffer_store_dword v0, off, s[96:99], 0 offset:528 ; 4-byte Folded Spill
	buffer_load_dword v0, off, s[96:99], 0  ; 4-byte Folded Reload
	v_ashrrev_i32_e32 v97, 31, v30
	v_and_b32_e32 v30, 15, v46
	v_mul_u32_u24_e32 v30, 36, v30
	v_cmp_gt_i64_e64 s[12:13], 0, v[7:8]
	v_readlane_b32 s20, v124, 4
	v_readlane_b32 s26, v124, 10
	;; [unrolled: 1-line block ×22, first 2 shown]
	v_add_u32_e32 v16, v3, v30
	v_add_u32_e32 v46, v3, v18
	v_readlane_b32 s21, v124, 5
	v_readlane_b32 s27, v124, 11
	;; [unrolled: 1-line block ×22, first 2 shown]
	v_mov_b32_e32 v51, v99
	v_mov_b32_e32 v42, v78
	;; [unrolled: 1-line block ×5, first 2 shown]
	s_waitcnt vmcnt(0)
	v_add_u32_e32 v0, -4, v0
	buffer_store_dword v0, off, s[96:99], 0 offset:532 ; 4-byte Folded Spill
	buffer_load_dword v0, off, s[96:99], 0 offset:4 ; 4-byte Folded Reload
	v_ashrrev_i32_e32 v102, 31, v31
	buffer_load_dword v31, off, s[96:99], 0 offset:172 ; 4-byte Folded Reload
	s_waitcnt vmcnt(1)
	buffer_store_dword v0, off, s[96:99], 0 offset:536 ; 4-byte Folded Spill
	buffer_load_dword v0, off, s[96:99], 0 offset:8 ; 4-byte Folded Reload
	s_waitcnt vmcnt(2)
	v_ashrrev_i32_e32 v94, 31, v31
	buffer_load_dword v31, off, s[96:99], 0 offset:176 ; 4-byte Folded Reload
	s_waitcnt vmcnt(1)
	buffer_store_dword v0, off, s[96:99], 0 offset:540 ; 4-byte Folded Spill
	buffer_load_dword v0, off, s[96:99], 0 offset:12 ; 4-byte Folded Reload
	s_waitcnt vmcnt(2)
	v_ashrrev_i32_e32 v95, 31, v31
	v_mul_u32_u24_e32 v31, 36, v104
	v_add_u32_e32 v17, v3, v31
	s_waitcnt vmcnt(0)
	buffer_store_dword v0, off, s[96:99], 0 offset:544 ; 4-byte Folded Spill
	buffer_load_dword v0, off, s[96:99], 0 offset:16 ; 4-byte Folded Reload
	v_ashrrev_i32_e32 v87, 31, v33
	buffer_load_dword v33, off, s[96:99], 0 offset:216 ; 4-byte Folded Reload
	s_waitcnt vmcnt(1)
	buffer_store_dword v0, off, s[96:99], 0 offset:548 ; 4-byte Folded Spill
	buffer_load_dword v0, off, s[96:99], 0 offset:20 ; 4-byte Folded Reload
	s_waitcnt vmcnt(2)
	v_ashrrev_i32_e32 v85, 31, v33
	buffer_load_dword v33, off, s[96:99], 0 offset:220 ; 4-byte Folded Reload
	s_waitcnt vmcnt(1)
	buffer_store_dword v0, off, s[96:99], 0 offset:552 ; 4-byte Folded Spill
	buffer_load_dword v0, off, s[96:99], 0 offset:24 ; 4-byte Folded Reload
	s_waitcnt vmcnt(2)
	v_ashrrev_i32_e32 v86, 31, v33
	v_mul_u32_u24_e32 v33, 36, v43
	v_mul_u32_u24_e32 v43, 36, v50
	;; [unrolled: 1-line block ×3, first 2 shown]
	v_add_u32_e32 v6, v3, v25
	v_add_u32_e32 v104, v3, v33
	;; [unrolled: 1-line block ×4, first 2 shown]
	v_mov_b32_e32 v43, v34
	s_waitcnt vmcnt(0)
	buffer_store_dword v0, off, s[96:99], 0 offset:556 ; 4-byte Folded Spill
	buffer_load_dword v0, off, s[96:99], 0 offset:28 ; 4-byte Folded Reload
	s_waitcnt vmcnt(0)
	buffer_store_dword v0, off, s[96:99], 0 offset:560 ; 4-byte Folded Spill
	buffer_load_dword v0, off, s[96:99], 0 offset:32 ; 4-byte Folded Reload
	s_waitcnt vmcnt(0)
	buffer_store_dword v0, off, s[96:99], 0 offset:564 ; 4-byte Folded Spill
	buffer_load_dword v0, off, s[96:99], 0 offset:36 ; 4-byte Folded Reload
	s_waitcnt vmcnt(0)
	buffer_store_dword v0, off, s[96:99], 0 offset:568 ; 4-byte Folded Spill
	buffer_load_dword v0, off, s[96:99], 0 offset:40 ; 4-byte Folded Reload
	s_waitcnt vmcnt(0)
	buffer_store_dword v0, off, s[96:99], 0 offset:572 ; 4-byte Folded Spill
	buffer_load_dword v0, off, s[96:99], 0 offset:44 ; 4-byte Folded Reload
	s_waitcnt vmcnt(0)
	buffer_store_dword v0, off, s[96:99], 0 offset:576 ; 4-byte Folded Spill
	buffer_load_dword v0, off, s[96:99], 0 offset:48 ; 4-byte Folded Reload
	s_waitcnt vmcnt(0)
	buffer_store_dword v0, off, s[96:99], 0 offset:580 ; 4-byte Folded Spill
	buffer_load_dword v0, off, s[96:99], 0 offset:52 ; 4-byte Folded Reload
	s_waitcnt vmcnt(0)
	buffer_store_dword v0, off, s[96:99], 0 offset:584 ; 4-byte Folded Spill
	buffer_load_dword v0, off, s[96:99], 0 offset:56 ; 4-byte Folded Reload
	s_waitcnt vmcnt(0)
	buffer_store_dword v0, off, s[96:99], 0 offset:588 ; 4-byte Folded Spill
	buffer_load_dword v0, off, s[96:99], 0 offset:60 ; 4-byte Folded Reload
	s_waitcnt vmcnt(0)
	buffer_store_dword v0, off, s[96:99], 0 offset:592 ; 4-byte Folded Spill
	buffer_load_dword v0, off, s[96:99], 0 offset:64 ; 4-byte Folded Reload
	s_waitcnt vmcnt(0)
	buffer_store_dword v0, off, s[96:99], 0 offset:596 ; 4-byte Folded Spill
	buffer_load_dword v0, off, s[96:99], 0 offset:68 ; 4-byte Folded Reload
	s_waitcnt vmcnt(0)
	buffer_store_dword v0, off, s[96:99], 0 offset:600 ; 4-byte Folded Spill
	buffer_load_dword v0, off, s[96:99], 0 offset:72 ; 4-byte Folded Reload
	s_waitcnt vmcnt(0)
	buffer_store_dword v0, off, s[96:99], 0 offset:604 ; 4-byte Folded Spill
	buffer_load_dword v0, off, s[96:99], 0 offset:76 ; 4-byte Folded Reload
	s_waitcnt vmcnt(0)
	buffer_store_dword v0, off, s[96:99], 0 offset:608 ; 4-byte Folded Spill
	buffer_load_dword v0, off, s[96:99], 0 offset:80 ; 4-byte Folded Reload
	s_waitcnt vmcnt(0)
	buffer_store_dword v0, off, s[96:99], 0 offset:612 ; 4-byte Folded Spill
	buffer_load_dword v0, off, s[96:99], 0 offset:84 ; 4-byte Folded Reload
	s_waitcnt vmcnt(0)
	buffer_store_dword v0, off, s[96:99], 0 offset:616 ; 4-byte Folded Spill
	buffer_load_dword v0, off, s[96:99], 0 offset:88 ; 4-byte Folded Reload
	s_waitcnt vmcnt(0)
	buffer_store_dword v0, off, s[96:99], 0 offset:620 ; 4-byte Folded Spill
	buffer_load_dword v0, off, s[96:99], 0 offset:92 ; 4-byte Folded Reload
	s_waitcnt vmcnt(0)
	buffer_store_dword v0, off, s[96:99], 0 offset:624 ; 4-byte Folded Spill
	buffer_load_dword v0, off, s[96:99], 0 offset:96 ; 4-byte Folded Reload
	s_waitcnt vmcnt(0)
	buffer_store_dword v0, off, s[96:99], 0 offset:628 ; 4-byte Folded Spill
	buffer_load_dword v0, off, s[96:99], 0 offset:100 ; 4-byte Folded Reload
	s_waitcnt vmcnt(0)
	buffer_store_dword v0, off, s[96:99], 0 offset:632 ; 4-byte Folded Spill
	buffer_load_dword v0, off, s[96:99], 0 offset:104 ; 4-byte Folded Reload
	s_waitcnt vmcnt(0)
	buffer_store_dword v0, off, s[96:99], 0 offset:636 ; 4-byte Folded Spill
	buffer_load_dword v0, off, s[96:99], 0 offset:108 ; 4-byte Folded Reload
	s_waitcnt vmcnt(0)
	buffer_store_dword v0, off, s[96:99], 0 offset:640 ; 4-byte Folded Spill
	buffer_load_dword v0, off, s[96:99], 0 offset:112 ; 4-byte Folded Reload
	s_waitcnt vmcnt(0)
	buffer_store_dword v0, off, s[96:99], 0 offset:644 ; 4-byte Folded Spill
	buffer_load_dword v0, off, s[96:99], 0 offset:116 ; 4-byte Folded Reload
	s_waitcnt vmcnt(0)
	buffer_store_dword v0, off, s[96:99], 0 offset:648 ; 4-byte Folded Spill
	buffer_load_dword v0, off, s[96:99], 0 offset:120 ; 4-byte Folded Reload
	s_waitcnt vmcnt(0)
	buffer_store_dword v0, off, s[96:99], 0 offset:652 ; 4-byte Folded Spill
	buffer_load_dword v0, off, s[96:99], 0 offset:124 ; 4-byte Folded Reload
	s_waitcnt vmcnt(0)
	buffer_store_dword v0, off, s[96:99], 0 offset:656 ; 4-byte Folded Spill
	buffer_load_dword v0, off, s[96:99], 0 offset:128 ; 4-byte Folded Reload
	s_waitcnt vmcnt(0)
	buffer_store_dword v0, off, s[96:99], 0 offset:660 ; 4-byte Folded Spill
	buffer_load_dword v0, off, s[96:99], 0 offset:132 ; 4-byte Folded Reload
	s_waitcnt vmcnt(0)
	buffer_store_dword v0, off, s[96:99], 0 offset:664 ; 4-byte Folded Spill
	buffer_load_dword v0, off, s[96:99], 0 offset:136 ; 4-byte Folded Reload
	s_waitcnt vmcnt(0)
	buffer_store_dword v0, off, s[96:99], 0 offset:668 ; 4-byte Folded Spill
	buffer_load_dword v0, off, s[96:99], 0 offset:140 ; 4-byte Folded Reload
	s_waitcnt vmcnt(0)
	buffer_store_dword v0, off, s[96:99], 0 offset:672 ; 4-byte Folded Spill
	buffer_load_dword v0, off, s[96:99], 0 offset:144 ; 4-byte Folded Reload
	s_waitcnt vmcnt(0)
	buffer_store_dword v0, off, s[96:99], 0 offset:676 ; 4-byte Folded Spill
	buffer_load_dword v0, off, s[96:99], 0 offset:148 ; 4-byte Folded Reload
	s_waitcnt vmcnt(0)
	buffer_store_dword v0, off, s[96:99], 0 offset:680 ; 4-byte Folded Spill
	buffer_store_dword v100, off, s[96:99], 0 offset:152 ; 4-byte Folded Spill
	;; [unrolled: 1-line block ×63, first 2 shown]
	buffer_load_dword v85, off, s[96:99], 0 offset:828 ; 4-byte Folded Reload
	buffer_load_dword v20, off, s[96:99], 0 offset:820 ; 4-byte Folded Reload
	;; [unrolled: 1-line block ×3, first 2 shown]
	v_mov_b32_e32 v63, v99
	v_mov_b32_e32 v52, v65
	;; [unrolled: 1-line block ×13, first 2 shown]
	s_waitcnt vmcnt(2)
	v_mov_b32_e32 v60, v85
	s_waitcnt vmcnt(1)
	v_mov_b32_e32 v50, v20
	;; [unrolled: 2-line block ×3, first 2 shown]
	s_branch .LBB86_2
.LBB86_1:                               ;   in Loop: Header=BB86_2 Depth=1
	s_or_b64 exec, exec, s[16:17]
	s_waitcnt lgkmcnt(0)
	v_add_u32_e32 v0, v1, v0
	ds_bpermute_b32 v0, v4, v0
	s_add_i32 s33, s33, -1
	s_cmp_eq_u32 s33, 0
	s_waitcnt lgkmcnt(0)
	v_cndmask_b32_e64 v0, v0, v1, s[10:11]
	ds_write_b32 v2, v0 offset:32
	s_waitcnt lgkmcnt(0)
	s_barrier
	s_cbranch_scc1 .LBB86_78
.LBB86_2:                               ; =>This Inner Loop Header: Depth=1
	v_cndmask_b32_e64 v0, 0, 1, s[68:69]
	ds_write_b32 v2, v7 offset:32
	s_waitcnt lgkmcnt(0)
	s_barrier
	v_cmp_ne_u32_e32 vcc, 0, v0
	buffer_load_dword v0, off, s[96:99], 0 offset:404 ; 4-byte Folded Reload
	buffer_load_dword v1, off, s[96:99], 0 offset:400 ; 4-byte Folded Reload
	;; [unrolled: 1-line block ×3, first 2 shown]
	v_cndmask_b32_e64 v21, 0, 1, s[20:21]
	s_waitcnt vmcnt(2)
	v_xor_b32_e32 v0, vcc_hi, v0
	s_waitcnt vmcnt(1)
	v_xor_b32_e32 v1, vcc_lo, v1
	v_cmp_ne_u32_e32 vcc, 0, v21
	buffer_load_dword v21, off, s[96:99], 0 offset:536 ; 4-byte Folded Reload
	v_and_b32_e32 v1, exec_lo, v1
	s_waitcnt vmcnt(1)
	v_xor_b32_e32 v22, vcc_lo, v22
	v_and_b32_e32 v0, exec_hi, v0
	v_and_b32_e32 v1, v1, v22
	buffer_load_dword v22, off, s[96:99], 0 offset:8 ; 4-byte Folded Reload
	s_waitcnt vmcnt(1)
	v_xor_b32_e32 v21, vcc_hi, v21
	v_and_b32_e32 v0, v0, v21
	v_cndmask_b32_e64 v21, 0, 1, s[22:23]
	v_cmp_ne_u32_e32 vcc, 0, v21
	buffer_load_dword v21, off, s[96:99], 0 offset:540 ; 4-byte Folded Reload
	s_waitcnt vmcnt(1)
	v_xor_b32_e32 v22, vcc_lo, v22
	s_waitcnt vmcnt(0)
	v_xor_b32_e32 v21, vcc_hi, v21
	v_and_b32_e32 v0, v0, v21
	v_and_b32_e32 v21, v1, v22
	v_cndmask_b32_e64 v1, 0, 1, s[24:25]
	v_cmp_ne_u32_e32 vcc, 0, v1
	buffer_load_dword v1, off, s[96:99], 0 offset:544 ; 4-byte Folded Reload
	buffer_load_dword v22, off, s[96:99], 0 offset:12 ; 4-byte Folded Reload
	; wave barrier
	s_waitcnt vmcnt(1)
	v_xor_b32_e32 v1, vcc_hi, v1
	s_waitcnt vmcnt(0)
	v_xor_b32_e32 v22, vcc_lo, v22
	v_and_b32_e32 v1, v0, v1
	v_and_b32_e32 v0, v21, v22
	v_mbcnt_lo_u32_b32 v21, v0, 0
	v_mbcnt_hi_u32_b32 v21, v1, v21
	v_cmp_ne_u64_e32 vcc, 0, v[0:1]
	v_cmp_eq_u32_e64 s[16:17], 0, v21
	s_and_b64 s[18:19], vcc, s[16:17]
	s_and_saveexec_b64 s[16:17], s[18:19]
	s_cbranch_execz .LBB86_4
; %bb.3:                                ;   in Loop: Header=BB86_2 Depth=1
	v_bcnt_u32_b32 v0, v0, 0
	v_bcnt_u32_b32 v0, v1, v0
	buffer_load_dword v1, off, s[96:99], 0 offset:812 ; 4-byte Folded Reload
	s_waitcnt vmcnt(0)
	ds_write_b32 v1, v0 offset:32
.LBB86_4:                               ;   in Loop: Header=BB86_2 Depth=1
	s_or_b64 exec, exec, s[16:17]
	v_readlane_b32 s16, v127, 2
	v_readlane_b32 s17, v127, 3
	v_cndmask_b32_e64 v0, 0, 1, s[16:17]
	; wave barrier
	v_cmp_ne_u32_e32 vcc, 0, v0
	buffer_load_dword v0, off, s[96:99], 0 offset:408 ; 4-byte Folded Reload
	buffer_load_dword v1, off, s[96:99], 0 offset:276 ; 4-byte Folded Reload
	;; [unrolled: 1-line block ×3, first 2 shown]
	v_cndmask_b32_e64 v22, 0, 1, s[26:27]
	ds_read_b32 v21, v116 offset:32
	s_waitcnt vmcnt(2)
	v_xor_b32_e32 v0, vcc_hi, v0
	s_waitcnt vmcnt(1)
	v_xor_b32_e32 v1, vcc_lo, v1
	v_cmp_ne_u32_e32 vcc, 0, v22
	buffer_load_dword v22, off, s[96:99], 0 offset:548 ; 4-byte Folded Reload
	v_and_b32_e32 v1, exec_lo, v1
	s_waitcnt vmcnt(1)
	v_xor_b32_e32 v23, vcc_lo, v23
	v_and_b32_e32 v0, exec_hi, v0
	v_and_b32_e32 v1, v1, v23
	buffer_load_dword v23, off, s[96:99], 0 offset:20 ; 4-byte Folded Reload
	s_waitcnt vmcnt(1)
	v_xor_b32_e32 v22, vcc_hi, v22
	v_and_b32_e32 v0, v0, v22
	v_cndmask_b32_e64 v22, 0, 1, s[28:29]
	v_cmp_ne_u32_e32 vcc, 0, v22
	buffer_load_dword v22, off, s[96:99], 0 offset:552 ; 4-byte Folded Reload
	s_waitcnt vmcnt(1)
	v_xor_b32_e32 v23, vcc_lo, v23
	s_waitcnt vmcnt(0)
	v_xor_b32_e32 v22, vcc_hi, v22
	v_and_b32_e32 v0, v0, v22
	v_and_b32_e32 v22, v1, v23
	v_cndmask_b32_e64 v1, 0, 1, s[30:31]
	v_cmp_ne_u32_e32 vcc, 0, v1
	buffer_load_dword v1, off, s[96:99], 0 offset:556 ; 4-byte Folded Reload
	buffer_load_dword v23, off, s[96:99], 0 offset:24 ; 4-byte Folded Reload
	; wave barrier
	s_waitcnt vmcnt(1)
	v_xor_b32_e32 v1, vcc_hi, v1
	s_waitcnt vmcnt(0)
	v_xor_b32_e32 v23, vcc_lo, v23
	v_and_b32_e32 v1, v0, v1
	v_and_b32_e32 v0, v22, v23
	v_mbcnt_lo_u32_b32 v22, v0, 0
	v_mbcnt_hi_u32_b32 v22, v1, v22
	v_cmp_ne_u64_e32 vcc, 0, v[0:1]
	v_cmp_eq_u32_e64 s[16:17], 0, v22
	s_and_b64 s[18:19], vcc, s[16:17]
	s_and_saveexec_b64 s[16:17], s[18:19]
	s_cbranch_execz .LBB86_6
; %bb.5:                                ;   in Loop: Header=BB86_2 Depth=1
	v_bcnt_u32_b32 v0, v0, 0
	v_bcnt_u32_b32 v0, v1, v0
	s_waitcnt lgkmcnt(0)
	v_add_u32_e32 v0, v21, v0
	ds_write_b32 v116, v0 offset:32
.LBB86_6:                               ;   in Loop: Header=BB86_2 Depth=1
	s_or_b64 exec, exec, s[16:17]
	v_readlane_b32 s16, v127, 4
	v_readlane_b32 s17, v127, 5
	v_cndmask_b32_e64 v0, 0, 1, s[16:17]
	; wave barrier
	v_cmp_ne_u32_e32 vcc, 0, v0
	buffer_load_dword v0, off, s[96:99], 0 offset:412 ; 4-byte Folded Reload
	buffer_load_dword v1, off, s[96:99], 0 offset:280 ; 4-byte Folded Reload
	;; [unrolled: 1-line block ×3, first 2 shown]
	v_cndmask_b32_e64 v22, 0, 1, s[34:35]
	s_waitcnt lgkmcnt(0)
	ds_read_b32 v21, v118 offset:32
	s_waitcnt vmcnt(2)
	v_xor_b32_e32 v0, vcc_hi, v0
	s_waitcnt vmcnt(1)
	v_xor_b32_e32 v1, vcc_lo, v1
	v_cmp_ne_u32_e32 vcc, 0, v22
	buffer_load_dword v22, off, s[96:99], 0 offset:560 ; 4-byte Folded Reload
	v_and_b32_e32 v1, exec_lo, v1
	s_waitcnt vmcnt(1)
	v_xor_b32_e32 v23, vcc_lo, v23
	v_and_b32_e32 v0, exec_hi, v0
	v_and_b32_e32 v1, v1, v23
	buffer_load_dword v23, off, s[96:99], 0 offset:32 ; 4-byte Folded Reload
	s_waitcnt vmcnt(1)
	v_xor_b32_e32 v22, vcc_hi, v22
	v_and_b32_e32 v0, v0, v22
	v_cndmask_b32_e64 v22, 0, 1, s[36:37]
	v_cmp_ne_u32_e32 vcc, 0, v22
	buffer_load_dword v22, off, s[96:99], 0 offset:564 ; 4-byte Folded Reload
	s_waitcnt vmcnt(1)
	v_xor_b32_e32 v23, vcc_lo, v23
	s_waitcnt vmcnt(0)
	v_xor_b32_e32 v22, vcc_hi, v22
	v_and_b32_e32 v0, v0, v22
	v_and_b32_e32 v22, v1, v23
	v_cndmask_b32_e64 v1, 0, 1, s[38:39]
	v_cmp_ne_u32_e32 vcc, 0, v1
	buffer_load_dword v1, off, s[96:99], 0 offset:568 ; 4-byte Folded Reload
	buffer_load_dword v23, off, s[96:99], 0 offset:36 ; 4-byte Folded Reload
	; wave barrier
	s_waitcnt vmcnt(1)
	v_xor_b32_e32 v1, vcc_hi, v1
	s_waitcnt vmcnt(0)
	v_xor_b32_e32 v23, vcc_lo, v23
	v_and_b32_e32 v1, v0, v1
	v_and_b32_e32 v0, v22, v23
	v_mbcnt_lo_u32_b32 v22, v0, 0
	v_mbcnt_hi_u32_b32 v22, v1, v22
	v_cmp_ne_u64_e32 vcc, 0, v[0:1]
	v_cmp_eq_u32_e64 s[16:17], 0, v22
	s_and_b64 s[18:19], vcc, s[16:17]
	s_and_saveexec_b64 s[16:17], s[18:19]
	s_cbranch_execz .LBB86_8
; %bb.7:                                ;   in Loop: Header=BB86_2 Depth=1
	v_bcnt_u32_b32 v0, v0, 0
	v_bcnt_u32_b32 v0, v1, v0
	s_waitcnt lgkmcnt(0)
	v_add_u32_e32 v0, v21, v0
	ds_write_b32 v118, v0 offset:32
.LBB86_8:                               ;   in Loop: Header=BB86_2 Depth=1
	s_or_b64 exec, exec, s[16:17]
	v_cndmask_b32_e64 v0, 0, 1, s[70:71]
	; wave barrier
	v_cmp_ne_u32_e32 vcc, 0, v0
	buffer_load_dword v0, off, s[96:99], 0 offset:416 ; 4-byte Folded Reload
	buffer_load_dword v1, off, s[96:99], 0 offset:284 ; 4-byte Folded Reload
	;; [unrolled: 1-line block ×3, first 2 shown]
	v_cndmask_b32_e64 v22, 0, 1, s[40:41]
	s_waitcnt lgkmcnt(0)
	ds_read_b32 v21, v119 offset:32
	s_waitcnt vmcnt(2)
	v_xor_b32_e32 v0, vcc_hi, v0
	s_waitcnt vmcnt(1)
	v_xor_b32_e32 v1, vcc_lo, v1
	v_cmp_ne_u32_e32 vcc, 0, v22
	buffer_load_dword v22, off, s[96:99], 0 offset:572 ; 4-byte Folded Reload
	v_and_b32_e32 v1, exec_lo, v1
	s_waitcnt vmcnt(1)
	v_xor_b32_e32 v23, vcc_lo, v23
	v_and_b32_e32 v0, exec_hi, v0
	v_and_b32_e32 v1, v1, v23
	buffer_load_dword v23, off, s[96:99], 0 offset:44 ; 4-byte Folded Reload
	s_waitcnt vmcnt(1)
	v_xor_b32_e32 v22, vcc_hi, v22
	v_and_b32_e32 v0, v0, v22
	v_cndmask_b32_e64 v22, 0, 1, s[42:43]
	v_cmp_ne_u32_e32 vcc, 0, v22
	buffer_load_dword v22, off, s[96:99], 0 offset:576 ; 4-byte Folded Reload
	s_waitcnt vmcnt(1)
	v_xor_b32_e32 v23, vcc_lo, v23
	s_waitcnt vmcnt(0)
	v_xor_b32_e32 v22, vcc_hi, v22
	v_and_b32_e32 v0, v0, v22
	v_and_b32_e32 v22, v1, v23
	v_cndmask_b32_e64 v1, 0, 1, s[44:45]
	v_cmp_ne_u32_e32 vcc, 0, v1
	buffer_load_dword v1, off, s[96:99], 0 offset:580 ; 4-byte Folded Reload
	buffer_load_dword v23, off, s[96:99], 0 offset:48 ; 4-byte Folded Reload
	; wave barrier
	s_waitcnt vmcnt(1)
	v_xor_b32_e32 v1, vcc_hi, v1
	s_waitcnt vmcnt(0)
	v_xor_b32_e32 v23, vcc_lo, v23
	v_and_b32_e32 v1, v0, v1
	v_and_b32_e32 v0, v22, v23
	v_mbcnt_lo_u32_b32 v22, v0, 0
	v_mbcnt_hi_u32_b32 v22, v1, v22
	v_cmp_ne_u64_e32 vcc, 0, v[0:1]
	v_cmp_eq_u32_e64 s[16:17], 0, v22
	s_and_b64 s[18:19], vcc, s[16:17]
	s_and_saveexec_b64 s[16:17], s[18:19]
	s_cbranch_execz .LBB86_10
; %bb.9:                                ;   in Loop: Header=BB86_2 Depth=1
	v_bcnt_u32_b32 v0, v0, 0
	v_bcnt_u32_b32 v0, v1, v0
	s_waitcnt lgkmcnt(0)
	v_add_u32_e32 v0, v21, v0
	ds_write_b32 v119, v0 offset:32
.LBB86_10:                              ;   in Loop: Header=BB86_2 Depth=1
	s_or_b64 exec, exec, s[16:17]
	v_cndmask_b32_e64 v0, 0, 1, s[76:77]
	; wave barrier
	v_cmp_ne_u32_e32 vcc, 0, v0
	buffer_load_dword v0, off, s[96:99], 0 offset:420 ; 4-byte Folded Reload
	buffer_load_dword v1, off, s[96:99], 0 offset:288 ; 4-byte Folded Reload
	buffer_load_dword v23, off, s[96:99], 0 offset:52 ; 4-byte Folded Reload
	v_cndmask_b32_e64 v22, 0, 1, s[46:47]
	s_waitcnt lgkmcnt(0)
	ds_read_b32 v21, v121 offset:32
	s_waitcnt vmcnt(2)
	v_xor_b32_e32 v0, vcc_hi, v0
	s_waitcnt vmcnt(1)
	v_xor_b32_e32 v1, vcc_lo, v1
	v_cmp_ne_u32_e32 vcc, 0, v22
	buffer_load_dword v22, off, s[96:99], 0 offset:584 ; 4-byte Folded Reload
	v_and_b32_e32 v1, exec_lo, v1
	s_waitcnt vmcnt(1)
	v_xor_b32_e32 v23, vcc_lo, v23
	v_and_b32_e32 v0, exec_hi, v0
	v_and_b32_e32 v1, v1, v23
	buffer_load_dword v23, off, s[96:99], 0 offset:56 ; 4-byte Folded Reload
	s_waitcnt vmcnt(1)
	v_xor_b32_e32 v22, vcc_hi, v22
	v_and_b32_e32 v0, v0, v22
	v_cndmask_b32_e64 v22, 0, 1, s[48:49]
	v_cmp_ne_u32_e32 vcc, 0, v22
	buffer_load_dword v22, off, s[96:99], 0 offset:588 ; 4-byte Folded Reload
	s_waitcnt vmcnt(1)
	v_xor_b32_e32 v23, vcc_lo, v23
	s_waitcnt vmcnt(0)
	v_xor_b32_e32 v22, vcc_hi, v22
	v_and_b32_e32 v0, v0, v22
	v_and_b32_e32 v22, v1, v23
	v_cndmask_b32_e64 v1, 0, 1, s[50:51]
	v_cmp_ne_u32_e32 vcc, 0, v1
	buffer_load_dword v1, off, s[96:99], 0 offset:592 ; 4-byte Folded Reload
	buffer_load_dword v23, off, s[96:99], 0 offset:60 ; 4-byte Folded Reload
	; wave barrier
	s_waitcnt vmcnt(1)
	v_xor_b32_e32 v1, vcc_hi, v1
	s_waitcnt vmcnt(0)
	v_xor_b32_e32 v23, vcc_lo, v23
	v_and_b32_e32 v1, v0, v1
	v_and_b32_e32 v0, v22, v23
	v_mbcnt_lo_u32_b32 v22, v0, 0
	v_mbcnt_hi_u32_b32 v22, v1, v22
	v_cmp_ne_u64_e32 vcc, 0, v[0:1]
	v_cmp_eq_u32_e64 s[16:17], 0, v22
	s_and_b64 s[18:19], vcc, s[16:17]
	s_and_saveexec_b64 s[16:17], s[18:19]
	s_cbranch_execz .LBB86_12
; %bb.11:                               ;   in Loop: Header=BB86_2 Depth=1
	v_bcnt_u32_b32 v0, v0, 0
	v_bcnt_u32_b32 v0, v1, v0
	s_waitcnt lgkmcnt(0)
	v_add_u32_e32 v0, v21, v0
	ds_write_b32 v121, v0 offset:32
.LBB86_12:                              ;   in Loop: Header=BB86_2 Depth=1
	s_or_b64 exec, exec, s[16:17]
	v_readlane_b32 s16, v127, 6
	v_readlane_b32 s17, v127, 7
	v_cndmask_b32_e64 v0, 0, 1, s[16:17]
	; wave barrier
	v_cmp_ne_u32_e32 vcc, 0, v0
	buffer_load_dword v0, off, s[96:99], 0 offset:424 ; 4-byte Folded Reload
	buffer_load_dword v1, off, s[96:99], 0 offset:292 ; 4-byte Folded Reload
	;; [unrolled: 1-line block ×3, first 2 shown]
	v_cndmask_b32_e64 v22, 0, 1, s[52:53]
	s_waitcnt lgkmcnt(0)
	ds_read_b32 v21, v122 offset:32
	s_waitcnt vmcnt(2)
	v_xor_b32_e32 v0, vcc_hi, v0
	s_waitcnt vmcnt(1)
	v_xor_b32_e32 v1, vcc_lo, v1
	v_cmp_ne_u32_e32 vcc, 0, v22
	buffer_load_dword v22, off, s[96:99], 0 offset:596 ; 4-byte Folded Reload
	v_and_b32_e32 v1, exec_lo, v1
	s_waitcnt vmcnt(1)
	v_xor_b32_e32 v23, vcc_lo, v23
	v_and_b32_e32 v0, exec_hi, v0
	v_and_b32_e32 v1, v1, v23
	buffer_load_dword v23, off, s[96:99], 0 offset:68 ; 4-byte Folded Reload
	s_waitcnt vmcnt(1)
	v_xor_b32_e32 v22, vcc_hi, v22
	v_and_b32_e32 v0, v0, v22
	v_cndmask_b32_e64 v22, 0, 1, s[54:55]
	v_cmp_ne_u32_e32 vcc, 0, v22
	buffer_load_dword v22, off, s[96:99], 0 offset:600 ; 4-byte Folded Reload
	s_waitcnt vmcnt(1)
	v_xor_b32_e32 v23, vcc_lo, v23
	s_waitcnt vmcnt(0)
	v_xor_b32_e32 v22, vcc_hi, v22
	v_and_b32_e32 v0, v0, v22
	v_and_b32_e32 v22, v1, v23
	v_cndmask_b32_e64 v1, 0, 1, s[56:57]
	v_cmp_ne_u32_e32 vcc, 0, v1
	buffer_load_dword v1, off, s[96:99], 0 offset:604 ; 4-byte Folded Reload
	buffer_load_dword v23, off, s[96:99], 0 offset:72 ; 4-byte Folded Reload
	; wave barrier
	s_waitcnt vmcnt(1)
	v_xor_b32_e32 v1, vcc_hi, v1
	s_waitcnt vmcnt(0)
	v_xor_b32_e32 v23, vcc_lo, v23
	v_and_b32_e32 v1, v0, v1
	v_and_b32_e32 v0, v22, v23
	v_mbcnt_lo_u32_b32 v22, v0, 0
	v_mbcnt_hi_u32_b32 v22, v1, v22
	v_cmp_ne_u64_e32 vcc, 0, v[0:1]
	v_cmp_eq_u32_e64 s[16:17], 0, v22
	s_and_b64 s[18:19], vcc, s[16:17]
	s_and_saveexec_b64 s[16:17], s[18:19]
	s_cbranch_execz .LBB86_14
; %bb.13:                               ;   in Loop: Header=BB86_2 Depth=1
	v_bcnt_u32_b32 v0, v0, 0
	v_bcnt_u32_b32 v0, v1, v0
	s_waitcnt lgkmcnt(0)
	v_add_u32_e32 v0, v21, v0
	ds_write_b32 v122, v0 offset:32
.LBB86_14:                              ;   in Loop: Header=BB86_2 Depth=1
	s_or_b64 exec, exec, s[16:17]
	v_readlane_b32 s16, v127, 8
	v_readlane_b32 s17, v127, 9
	v_cndmask_b32_e64 v0, 0, 1, s[16:17]
	; wave barrier
	v_cmp_ne_u32_e32 vcc, 0, v0
	buffer_load_dword v0, off, s[96:99], 0 offset:428 ; 4-byte Folded Reload
	buffer_load_dword v1, off, s[96:99], 0 offset:296 ; 4-byte Folded Reload
	buffer_load_dword v23, off, s[96:99], 0 offset:76 ; 4-byte Folded Reload
	v_cndmask_b32_e64 v22, 0, 1, s[58:59]
	s_waitcnt lgkmcnt(0)
	ds_read_b32 v21, v9 offset:32
	s_waitcnt vmcnt(2)
	v_xor_b32_e32 v0, vcc_hi, v0
	s_waitcnt vmcnt(1)
	v_xor_b32_e32 v1, vcc_lo, v1
	v_cmp_ne_u32_e32 vcc, 0, v22
	buffer_load_dword v22, off, s[96:99], 0 offset:608 ; 4-byte Folded Reload
	v_and_b32_e32 v1, exec_lo, v1
	s_waitcnt vmcnt(1)
	v_xor_b32_e32 v23, vcc_lo, v23
	v_and_b32_e32 v0, exec_hi, v0
	v_and_b32_e32 v1, v1, v23
	buffer_load_dword v23, off, s[96:99], 0 offset:80 ; 4-byte Folded Reload
	s_waitcnt vmcnt(1)
	v_xor_b32_e32 v22, vcc_hi, v22
	v_and_b32_e32 v0, v0, v22
	v_cndmask_b32_e64 v22, 0, 1, s[60:61]
	v_cmp_ne_u32_e32 vcc, 0, v22
	buffer_load_dword v22, off, s[96:99], 0 offset:612 ; 4-byte Folded Reload
	s_waitcnt vmcnt(1)
	v_xor_b32_e32 v23, vcc_lo, v23
	s_waitcnt vmcnt(0)
	v_xor_b32_e32 v22, vcc_hi, v22
	v_and_b32_e32 v0, v0, v22
	v_and_b32_e32 v22, v1, v23
	v_cndmask_b32_e64 v1, 0, 1, s[62:63]
	v_cmp_ne_u32_e32 vcc, 0, v1
	buffer_load_dword v1, off, s[96:99], 0 offset:616 ; 4-byte Folded Reload
	buffer_load_dword v23, off, s[96:99], 0 offset:84 ; 4-byte Folded Reload
	; wave barrier
	s_waitcnt vmcnt(1)
	v_xor_b32_e32 v1, vcc_hi, v1
	s_waitcnt vmcnt(0)
	v_xor_b32_e32 v23, vcc_lo, v23
	v_and_b32_e32 v1, v0, v1
	v_and_b32_e32 v0, v22, v23
	v_mbcnt_lo_u32_b32 v22, v0, 0
	v_mbcnt_hi_u32_b32 v22, v1, v22
	v_cmp_ne_u64_e32 vcc, 0, v[0:1]
	v_cmp_eq_u32_e64 s[16:17], 0, v22
	s_and_b64 s[18:19], vcc, s[16:17]
	s_and_saveexec_b64 s[16:17], s[18:19]
	s_cbranch_execz .LBB86_16
; %bb.15:                               ;   in Loop: Header=BB86_2 Depth=1
	v_bcnt_u32_b32 v0, v0, 0
	v_bcnt_u32_b32 v0, v1, v0
	s_waitcnt lgkmcnt(0)
	v_add_u32_e32 v0, v21, v0
	ds_write_b32 v9, v0 offset:32
.LBB86_16:                              ;   in Loop: Header=BB86_2 Depth=1
	s_or_b64 exec, exec, s[16:17]
	v_cndmask_b32_e64 v0, 0, 1, s[78:79]
	; wave barrier
	v_cmp_ne_u32_e32 vcc, 0, v0
	buffer_load_dword v0, off, s[96:99], 0 offset:432 ; 4-byte Folded Reload
	buffer_load_dword v1, off, s[96:99], 0 offset:300 ; 4-byte Folded Reload
	;; [unrolled: 1-line block ×3, first 2 shown]
	v_cndmask_b32_e64 v22, 0, 1, s[64:65]
	v_readlane_b32 s16, v124, 48
	v_readlane_b32 s17, v124, 49
	s_waitcnt lgkmcnt(0)
	ds_read_b32 v21, v115 offset:32
	s_waitcnt vmcnt(2)
	v_xor_b32_e32 v0, vcc_hi, v0
	s_waitcnt vmcnt(1)
	v_xor_b32_e32 v1, vcc_lo, v1
	v_cmp_ne_u32_e32 vcc, 0, v22
	buffer_load_dword v22, off, s[96:99], 0 offset:620 ; 4-byte Folded Reload
	v_and_b32_e32 v1, exec_lo, v1
	s_waitcnt vmcnt(1)
	v_xor_b32_e32 v23, vcc_lo, v23
	v_and_b32_e32 v0, exec_hi, v0
	v_and_b32_e32 v1, v1, v23
	buffer_load_dword v23, off, s[96:99], 0 offset:92 ; 4-byte Folded Reload
	s_waitcnt vmcnt(1)
	v_xor_b32_e32 v22, vcc_hi, v22
	v_and_b32_e32 v0, v0, v22
	v_cndmask_b32_e64 v22, 0, 1, s[16:17]
	v_cmp_ne_u32_e32 vcc, 0, v22
	buffer_load_dword v22, off, s[96:99], 0 offset:624 ; 4-byte Folded Reload
	v_readlane_b32 s16, v124, 50
	s_waitcnt vmcnt(1)
	v_xor_b32_e32 v23, vcc_lo, v23
	v_readlane_b32 s17, v124, 51
	s_waitcnt vmcnt(0)
	v_xor_b32_e32 v22, vcc_hi, v22
	v_and_b32_e32 v0, v0, v22
	v_and_b32_e32 v22, v1, v23
	v_cndmask_b32_e64 v1, 0, 1, s[16:17]
	v_cmp_ne_u32_e32 vcc, 0, v1
	buffer_load_dword v1, off, s[96:99], 0 offset:628 ; 4-byte Folded Reload
	buffer_load_dword v23, off, s[96:99], 0 offset:96 ; 4-byte Folded Reload
	; wave barrier
	s_waitcnt vmcnt(1)
	v_xor_b32_e32 v1, vcc_hi, v1
	s_waitcnt vmcnt(0)
	v_xor_b32_e32 v23, vcc_lo, v23
	v_and_b32_e32 v1, v0, v1
	v_and_b32_e32 v0, v22, v23
	v_mbcnt_lo_u32_b32 v22, v0, 0
	v_mbcnt_hi_u32_b32 v22, v1, v22
	v_cmp_ne_u64_e32 vcc, 0, v[0:1]
	v_cmp_eq_u32_e64 s[16:17], 0, v22
	s_and_b64 s[18:19], vcc, s[16:17]
	s_and_saveexec_b64 s[16:17], s[18:19]
	s_cbranch_execz .LBB86_18
; %bb.17:                               ;   in Loop: Header=BB86_2 Depth=1
	v_bcnt_u32_b32 v0, v0, 0
	v_bcnt_u32_b32 v0, v1, v0
	s_waitcnt lgkmcnt(0)
	v_add_u32_e32 v0, v21, v0
	ds_write_b32 v115, v0 offset:32
.LBB86_18:                              ;   in Loop: Header=BB86_2 Depth=1
	s_or_b64 exec, exec, s[16:17]
	v_cndmask_b32_e64 v0, 0, 1, s[80:81]
	; wave barrier
	v_cmp_ne_u32_e32 vcc, 0, v0
	buffer_load_dword v0, off, s[96:99], 0 offset:436 ; 4-byte Folded Reload
	buffer_load_dword v1, off, s[96:99], 0 offset:304 ; 4-byte Folded Reload
	;; [unrolled: 1-line block ×3, first 2 shown]
	v_readlane_b32 s16, v124, 52
	v_readlane_b32 s17, v124, 53
	v_cndmask_b32_e64 v22, 0, 1, s[16:17]
	v_readlane_b32 s16, v124, 54
	v_readlane_b32 s17, v124, 55
	s_waitcnt lgkmcnt(0)
	ds_read_b32 v21, v5 offset:32
	s_waitcnt vmcnt(2)
	v_xor_b32_e32 v0, vcc_hi, v0
	s_waitcnt vmcnt(1)
	v_xor_b32_e32 v1, vcc_lo, v1
	v_cmp_ne_u32_e32 vcc, 0, v22
	buffer_load_dword v22, off, s[96:99], 0 offset:632 ; 4-byte Folded Reload
	v_and_b32_e32 v1, exec_lo, v1
	s_waitcnt vmcnt(1)
	v_xor_b32_e32 v23, vcc_lo, v23
	v_and_b32_e32 v0, exec_hi, v0
	v_and_b32_e32 v1, v1, v23
	buffer_load_dword v23, off, s[96:99], 0 offset:104 ; 4-byte Folded Reload
	s_waitcnt vmcnt(1)
	v_xor_b32_e32 v22, vcc_hi, v22
	v_and_b32_e32 v0, v0, v22
	v_cndmask_b32_e64 v22, 0, 1, s[16:17]
	v_cmp_ne_u32_e32 vcc, 0, v22
	buffer_load_dword v22, off, s[96:99], 0 offset:636 ; 4-byte Folded Reload
	v_readlane_b32 s16, v124, 56
	s_waitcnt vmcnt(1)
	v_xor_b32_e32 v23, vcc_lo, v23
	v_readlane_b32 s17, v124, 57
	s_waitcnt vmcnt(0)
	v_xor_b32_e32 v22, vcc_hi, v22
	v_and_b32_e32 v0, v0, v22
	v_and_b32_e32 v22, v1, v23
	v_cndmask_b32_e64 v1, 0, 1, s[16:17]
	v_cmp_ne_u32_e32 vcc, 0, v1
	buffer_load_dword v1, off, s[96:99], 0 offset:640 ; 4-byte Folded Reload
	buffer_load_dword v23, off, s[96:99], 0 offset:108 ; 4-byte Folded Reload
	; wave barrier
	s_waitcnt vmcnt(1)
	v_xor_b32_e32 v1, vcc_hi, v1
	s_waitcnt vmcnt(0)
	v_xor_b32_e32 v23, vcc_lo, v23
	v_and_b32_e32 v1, v0, v1
	v_and_b32_e32 v0, v22, v23
	v_mbcnt_lo_u32_b32 v22, v0, 0
	v_mbcnt_hi_u32_b32 v22, v1, v22
	v_cmp_ne_u64_e32 vcc, 0, v[0:1]
	v_cmp_eq_u32_e64 s[16:17], 0, v22
	s_and_b64 s[18:19], vcc, s[16:17]
	s_and_saveexec_b64 s[16:17], s[18:19]
	s_cbranch_execz .LBB86_20
; %bb.19:                               ;   in Loop: Header=BB86_2 Depth=1
	v_bcnt_u32_b32 v0, v0, 0
	v_bcnt_u32_b32 v0, v1, v0
	s_waitcnt lgkmcnt(0)
	v_add_u32_e32 v0, v21, v0
	ds_write_b32 v5, v0 offset:32
.LBB86_20:                              ;   in Loop: Header=BB86_2 Depth=1
	s_or_b64 exec, exec, s[16:17]
	v_readlane_b32 s16, v127, 10
	v_readlane_b32 s17, v127, 11
	v_cndmask_b32_e64 v0, 0, 1, s[16:17]
	; wave barrier
	v_cmp_ne_u32_e32 vcc, 0, v0
	buffer_load_dword v0, off, s[96:99], 0 offset:440 ; 4-byte Folded Reload
	buffer_load_dword v1, off, s[96:99], 0 offset:308 ; 4-byte Folded Reload
	;; [unrolled: 1-line block ×3, first 2 shown]
	v_readlane_b32 s16, v124, 58
	v_readlane_b32 s17, v124, 59
	v_cndmask_b32_e64 v22, 0, 1, s[16:17]
	v_readlane_b32 s16, v124, 60
	v_readlane_b32 s17, v124, 61
	s_waitcnt lgkmcnt(0)
	ds_read_b32 v21, v6 offset:32
	s_waitcnt vmcnt(2)
	v_xor_b32_e32 v0, vcc_hi, v0
	s_waitcnt vmcnt(1)
	v_xor_b32_e32 v1, vcc_lo, v1
	v_cmp_ne_u32_e32 vcc, 0, v22
	buffer_load_dword v22, off, s[96:99], 0 offset:644 ; 4-byte Folded Reload
	v_and_b32_e32 v1, exec_lo, v1
	s_waitcnt vmcnt(1)
	v_xor_b32_e32 v23, vcc_lo, v23
	v_and_b32_e32 v0, exec_hi, v0
	v_and_b32_e32 v1, v1, v23
	buffer_load_dword v23, off, s[96:99], 0 offset:116 ; 4-byte Folded Reload
	s_waitcnt vmcnt(1)
	v_xor_b32_e32 v22, vcc_hi, v22
	v_and_b32_e32 v0, v0, v22
	v_cndmask_b32_e64 v22, 0, 1, s[16:17]
	v_cmp_ne_u32_e32 vcc, 0, v22
	buffer_load_dword v22, off, s[96:99], 0 offset:648 ; 4-byte Folded Reload
	v_readlane_b32 s16, v124, 62
	s_waitcnt vmcnt(1)
	v_xor_b32_e32 v23, vcc_lo, v23
	v_readlane_b32 s17, v124, 63
	s_waitcnt vmcnt(0)
	v_xor_b32_e32 v22, vcc_hi, v22
	v_and_b32_e32 v0, v0, v22
	v_and_b32_e32 v22, v1, v23
	v_cndmask_b32_e64 v1, 0, 1, s[16:17]
	v_cmp_ne_u32_e32 vcc, 0, v1
	buffer_load_dword v1, off, s[96:99], 0 offset:652 ; 4-byte Folded Reload
	buffer_load_dword v23, off, s[96:99], 0 offset:120 ; 4-byte Folded Reload
	; wave barrier
	s_waitcnt vmcnt(1)
	v_xor_b32_e32 v1, vcc_hi, v1
	s_waitcnt vmcnt(0)
	v_xor_b32_e32 v23, vcc_lo, v23
	v_and_b32_e32 v1, v0, v1
	v_and_b32_e32 v0, v22, v23
	v_mbcnt_lo_u32_b32 v22, v0, 0
	v_mbcnt_hi_u32_b32 v22, v1, v22
	v_cmp_ne_u64_e32 vcc, 0, v[0:1]
	v_cmp_eq_u32_e64 s[16:17], 0, v22
	s_and_b64 s[18:19], vcc, s[16:17]
	s_and_saveexec_b64 s[16:17], s[18:19]
	s_cbranch_execz .LBB86_22
; %bb.21:                               ;   in Loop: Header=BB86_2 Depth=1
	v_bcnt_u32_b32 v0, v0, 0
	v_bcnt_u32_b32 v0, v1, v0
	s_waitcnt lgkmcnt(0)
	v_add_u32_e32 v0, v21, v0
	ds_write_b32 v6, v0 offset:32
.LBB86_22:                              ;   in Loop: Header=BB86_2 Depth=1
	s_or_b64 exec, exec, s[16:17]
	v_readlane_b32 s16, v127, 12
	v_readlane_b32 s17, v127, 13
	v_cndmask_b32_e64 v0, 0, 1, s[16:17]
	; wave barrier
	v_cmp_ne_u32_e32 vcc, 0, v0
	buffer_load_dword v0, off, s[96:99], 0 offset:444 ; 4-byte Folded Reload
	buffer_load_dword v1, off, s[96:99], 0 offset:312 ; 4-byte Folded Reload
	;; [unrolled: 1-line block ×3, first 2 shown]
	v_readlane_b32 s16, v125, 0
	v_readlane_b32 s17, v125, 1
	v_cndmask_b32_e64 v22, 0, 1, s[16:17]
	v_readlane_b32 s16, v125, 2
	v_readlane_b32 s17, v125, 3
	s_waitcnt lgkmcnt(0)
	ds_read_b32 v21, v11 offset:32
	s_waitcnt vmcnt(2)
	v_xor_b32_e32 v0, vcc_hi, v0
	s_waitcnt vmcnt(1)
	v_xor_b32_e32 v1, vcc_lo, v1
	v_cmp_ne_u32_e32 vcc, 0, v22
	buffer_load_dword v22, off, s[96:99], 0 offset:656 ; 4-byte Folded Reload
	v_and_b32_e32 v1, exec_lo, v1
	s_waitcnt vmcnt(1)
	v_xor_b32_e32 v23, vcc_lo, v23
	v_and_b32_e32 v0, exec_hi, v0
	v_and_b32_e32 v1, v1, v23
	buffer_load_dword v23, off, s[96:99], 0 offset:128 ; 4-byte Folded Reload
	s_waitcnt vmcnt(1)
	v_xor_b32_e32 v22, vcc_hi, v22
	v_and_b32_e32 v0, v0, v22
	v_cndmask_b32_e64 v22, 0, 1, s[16:17]
	v_cmp_ne_u32_e32 vcc, 0, v22
	buffer_load_dword v22, off, s[96:99], 0 offset:660 ; 4-byte Folded Reload
	v_readlane_b32 s16, v125, 4
	s_waitcnt vmcnt(1)
	v_xor_b32_e32 v23, vcc_lo, v23
	v_readlane_b32 s17, v125, 5
	s_waitcnt vmcnt(0)
	v_xor_b32_e32 v22, vcc_hi, v22
	v_and_b32_e32 v0, v0, v22
	v_and_b32_e32 v22, v1, v23
	v_cndmask_b32_e64 v1, 0, 1, s[16:17]
	v_cmp_ne_u32_e32 vcc, 0, v1
	buffer_load_dword v1, off, s[96:99], 0 offset:664 ; 4-byte Folded Reload
	buffer_load_dword v23, off, s[96:99], 0 offset:132 ; 4-byte Folded Reload
	; wave barrier
	s_waitcnt vmcnt(1)
	v_xor_b32_e32 v1, vcc_hi, v1
	s_waitcnt vmcnt(0)
	v_xor_b32_e32 v23, vcc_lo, v23
	v_and_b32_e32 v1, v0, v1
	v_and_b32_e32 v0, v22, v23
	v_mbcnt_lo_u32_b32 v22, v0, 0
	v_mbcnt_hi_u32_b32 v22, v1, v22
	v_cmp_ne_u64_e32 vcc, 0, v[0:1]
	v_cmp_eq_u32_e64 s[16:17], 0, v22
	s_and_b64 s[18:19], vcc, s[16:17]
	s_and_saveexec_b64 s[16:17], s[18:19]
	s_cbranch_execz .LBB86_24
; %bb.23:                               ;   in Loop: Header=BB86_2 Depth=1
	v_bcnt_u32_b32 v0, v0, 0
	v_bcnt_u32_b32 v0, v1, v0
	s_waitcnt lgkmcnt(0)
	v_add_u32_e32 v0, v21, v0
	ds_write_b32 v11, v0 offset:32
.LBB86_24:                              ;   in Loop: Header=BB86_2 Depth=1
	s_or_b64 exec, exec, s[16:17]
	v_cndmask_b32_e64 v0, 0, 1, s[82:83]
	; wave barrier
	v_cmp_ne_u32_e32 vcc, 0, v0
	buffer_load_dword v0, off, s[96:99], 0 offset:448 ; 4-byte Folded Reload
	buffer_load_dword v1, off, s[96:99], 0 offset:316 ; 4-byte Folded Reload
	buffer_load_dword v23, off, s[96:99], 0 offset:136 ; 4-byte Folded Reload
	v_readlane_b32 s16, v125, 6
	v_readlane_b32 s17, v125, 7
	v_cndmask_b32_e64 v22, 0, 1, s[16:17]
	v_readlane_b32 s16, v125, 8
	v_readlane_b32 s17, v125, 9
	s_waitcnt lgkmcnt(0)
	ds_read_b32 v21, v12 offset:32
	s_waitcnt vmcnt(2)
	v_xor_b32_e32 v0, vcc_hi, v0
	s_waitcnt vmcnt(1)
	v_xor_b32_e32 v1, vcc_lo, v1
	v_cmp_ne_u32_e32 vcc, 0, v22
	buffer_load_dword v22, off, s[96:99], 0 offset:668 ; 4-byte Folded Reload
	v_and_b32_e32 v1, exec_lo, v1
	s_waitcnt vmcnt(1)
	v_xor_b32_e32 v23, vcc_lo, v23
	v_and_b32_e32 v0, exec_hi, v0
	v_and_b32_e32 v1, v1, v23
	buffer_load_dword v23, off, s[96:99], 0 offset:140 ; 4-byte Folded Reload
	s_waitcnt vmcnt(1)
	v_xor_b32_e32 v22, vcc_hi, v22
	v_and_b32_e32 v0, v0, v22
	v_cndmask_b32_e64 v22, 0, 1, s[16:17]
	v_cmp_ne_u32_e32 vcc, 0, v22
	buffer_load_dword v22, off, s[96:99], 0 offset:672 ; 4-byte Folded Reload
	v_readlane_b32 s16, v125, 10
	s_waitcnt vmcnt(1)
	v_xor_b32_e32 v23, vcc_lo, v23
	v_readlane_b32 s17, v125, 11
	s_waitcnt vmcnt(0)
	v_xor_b32_e32 v22, vcc_hi, v22
	v_and_b32_e32 v0, v0, v22
	v_and_b32_e32 v22, v1, v23
	v_cndmask_b32_e64 v1, 0, 1, s[16:17]
	v_cmp_ne_u32_e32 vcc, 0, v1
	buffer_load_dword v1, off, s[96:99], 0 offset:676 ; 4-byte Folded Reload
	buffer_load_dword v23, off, s[96:99], 0 offset:144 ; 4-byte Folded Reload
	; wave barrier
	s_waitcnt vmcnt(1)
	v_xor_b32_e32 v1, vcc_hi, v1
	s_waitcnt vmcnt(0)
	v_xor_b32_e32 v23, vcc_lo, v23
	v_and_b32_e32 v1, v0, v1
	v_and_b32_e32 v0, v22, v23
	v_mbcnt_lo_u32_b32 v22, v0, 0
	v_mbcnt_hi_u32_b32 v22, v1, v22
	v_cmp_ne_u64_e32 vcc, 0, v[0:1]
	v_cmp_eq_u32_e64 s[16:17], 0, v22
	s_and_b64 s[18:19], vcc, s[16:17]
	s_and_saveexec_b64 s[16:17], s[18:19]
	s_cbranch_execz .LBB86_26
; %bb.25:                               ;   in Loop: Header=BB86_2 Depth=1
	v_bcnt_u32_b32 v0, v0, 0
	v_bcnt_u32_b32 v0, v1, v0
	s_waitcnt lgkmcnt(0)
	v_add_u32_e32 v0, v21, v0
	ds_write_b32 v12, v0 offset:32
.LBB86_26:                              ;   in Loop: Header=BB86_2 Depth=1
	s_or_b64 exec, exec, s[16:17]
	v_cndmask_b32_e64 v0, 0, 1, s[84:85]
	; wave barrier
	v_cmp_ne_u32_e32 vcc, 0, v0
	buffer_load_dword v0, off, s[96:99], 0 offset:452 ; 4-byte Folded Reload
	buffer_load_dword v1, off, s[96:99], 0 offset:320 ; 4-byte Folded Reload
	buffer_load_dword v23, off, s[96:99], 0 offset:148 ; 4-byte Folded Reload
	v_readlane_b32 s16, v125, 12
	v_readlane_b32 s17, v125, 13
	v_cndmask_b32_e64 v22, 0, 1, s[16:17]
	v_readlane_b32 s16, v125, 14
	v_readlane_b32 s17, v125, 15
	s_waitcnt lgkmcnt(0)
	ds_read_b32 v21, v13 offset:32
	s_waitcnt vmcnt(2)
	v_xor_b32_e32 v0, vcc_hi, v0
	s_waitcnt vmcnt(1)
	v_xor_b32_e32 v1, vcc_lo, v1
	v_cmp_ne_u32_e32 vcc, 0, v22
	buffer_load_dword v22, off, s[96:99], 0 offset:680 ; 4-byte Folded Reload
	v_and_b32_e32 v1, exec_lo, v1
	s_waitcnt vmcnt(1)
	v_xor_b32_e32 v23, vcc_lo, v23
	v_and_b32_e32 v0, exec_hi, v0
	v_and_b32_e32 v1, v1, v23
	buffer_load_dword v23, off, s[96:99], 0 offset:152 ; 4-byte Folded Reload
	s_waitcnt vmcnt(1)
	v_xor_b32_e32 v22, vcc_hi, v22
	v_and_b32_e32 v0, v0, v22
	v_cndmask_b32_e64 v22, 0, 1, s[16:17]
	v_cmp_ne_u32_e32 vcc, 0, v22
	buffer_load_dword v22, off, s[96:99], 0 offset:684 ; 4-byte Folded Reload
	v_readlane_b32 s16, v125, 16
	s_waitcnt vmcnt(1)
	v_xor_b32_e32 v23, vcc_lo, v23
	v_readlane_b32 s17, v125, 17
	s_waitcnt vmcnt(0)
	v_xor_b32_e32 v22, vcc_hi, v22
	v_and_b32_e32 v0, v0, v22
	v_and_b32_e32 v22, v1, v23
	v_cndmask_b32_e64 v1, 0, 1, s[16:17]
	v_cmp_ne_u32_e32 vcc, 0, v1
	buffer_load_dword v1, off, s[96:99], 0 offset:688 ; 4-byte Folded Reload
	buffer_load_dword v23, off, s[96:99], 0 offset:156 ; 4-byte Folded Reload
	; wave barrier
	s_waitcnt vmcnt(1)
	v_xor_b32_e32 v1, vcc_hi, v1
	s_waitcnt vmcnt(0)
	v_xor_b32_e32 v23, vcc_lo, v23
	v_and_b32_e32 v1, v0, v1
	v_and_b32_e32 v0, v22, v23
	v_mbcnt_lo_u32_b32 v22, v0, 0
	v_mbcnt_hi_u32_b32 v22, v1, v22
	v_cmp_ne_u64_e32 vcc, 0, v[0:1]
	v_cmp_eq_u32_e64 s[16:17], 0, v22
	s_and_b64 s[18:19], vcc, s[16:17]
	s_and_saveexec_b64 s[16:17], s[18:19]
	s_cbranch_execz .LBB86_28
; %bb.27:                               ;   in Loop: Header=BB86_2 Depth=1
	v_bcnt_u32_b32 v0, v0, 0
	v_bcnt_u32_b32 v0, v1, v0
	s_waitcnt lgkmcnt(0)
	v_add_u32_e32 v0, v21, v0
	ds_write_b32 v13, v0 offset:32
.LBB86_28:                              ;   in Loop: Header=BB86_2 Depth=1
	s_or_b64 exec, exec, s[16:17]
	v_cndmask_b32_e64 v0, 0, 1, s[86:87]
	; wave barrier
	v_cmp_ne_u32_e32 vcc, 0, v0
	buffer_load_dword v0, off, s[96:99], 0 offset:456 ; 4-byte Folded Reload
	buffer_load_dword v1, off, s[96:99], 0 offset:324 ; 4-byte Folded Reload
	;; [unrolled: 1-line block ×3, first 2 shown]
	v_readlane_b32 s16, v125, 18
	v_readlane_b32 s17, v125, 19
	v_cndmask_b32_e64 v22, 0, 1, s[16:17]
	v_readlane_b32 s16, v125, 20
	v_readlane_b32 s17, v125, 21
	s_waitcnt lgkmcnt(0)
	ds_read_b32 v21, v15 offset:32
	s_waitcnt vmcnt(2)
	v_xor_b32_e32 v0, vcc_hi, v0
	s_waitcnt vmcnt(1)
	v_xor_b32_e32 v1, vcc_lo, v1
	v_cmp_ne_u32_e32 vcc, 0, v22
	buffer_load_dword v22, off, s[96:99], 0 offset:692 ; 4-byte Folded Reload
	v_and_b32_e32 v1, exec_lo, v1
	s_waitcnt vmcnt(1)
	v_xor_b32_e32 v23, vcc_lo, v23
	v_and_b32_e32 v0, exec_hi, v0
	v_and_b32_e32 v1, v1, v23
	buffer_load_dword v23, off, s[96:99], 0 offset:164 ; 4-byte Folded Reload
	s_waitcnt vmcnt(1)
	v_xor_b32_e32 v22, vcc_hi, v22
	v_and_b32_e32 v0, v0, v22
	v_cndmask_b32_e64 v22, 0, 1, s[16:17]
	v_cmp_ne_u32_e32 vcc, 0, v22
	buffer_load_dword v22, off, s[96:99], 0 offset:696 ; 4-byte Folded Reload
	v_readlane_b32 s16, v125, 22
	s_waitcnt vmcnt(1)
	v_xor_b32_e32 v23, vcc_lo, v23
	v_readlane_b32 s17, v125, 23
	s_waitcnt vmcnt(0)
	v_xor_b32_e32 v22, vcc_hi, v22
	v_and_b32_e32 v0, v0, v22
	v_and_b32_e32 v22, v1, v23
	v_cndmask_b32_e64 v1, 0, 1, s[16:17]
	v_cmp_ne_u32_e32 vcc, 0, v1
	buffer_load_dword v1, off, s[96:99], 0 offset:700 ; 4-byte Folded Reload
	buffer_load_dword v23, off, s[96:99], 0 offset:168 ; 4-byte Folded Reload
	; wave barrier
	s_waitcnt vmcnt(1)
	v_xor_b32_e32 v1, vcc_hi, v1
	s_waitcnt vmcnt(0)
	v_xor_b32_e32 v23, vcc_lo, v23
	v_and_b32_e32 v1, v0, v1
	v_and_b32_e32 v0, v22, v23
	v_mbcnt_lo_u32_b32 v22, v0, 0
	v_mbcnt_hi_u32_b32 v22, v1, v22
	v_cmp_ne_u64_e32 vcc, 0, v[0:1]
	v_cmp_eq_u32_e64 s[16:17], 0, v22
	s_and_b64 s[18:19], vcc, s[16:17]
	s_and_saveexec_b64 s[16:17], s[18:19]
	s_cbranch_execz .LBB86_30
; %bb.29:                               ;   in Loop: Header=BB86_2 Depth=1
	v_bcnt_u32_b32 v0, v0, 0
	v_bcnt_u32_b32 v0, v1, v0
	s_waitcnt lgkmcnt(0)
	v_add_u32_e32 v0, v21, v0
	ds_write_b32 v15, v0 offset:32
.LBB86_30:                              ;   in Loop: Header=BB86_2 Depth=1
	s_or_b64 exec, exec, s[16:17]
	v_cndmask_b32_e64 v0, 0, 1, s[88:89]
	; wave barrier
	v_cmp_ne_u32_e32 vcc, 0, v0
	buffer_load_dword v0, off, s[96:99], 0 offset:460 ; 4-byte Folded Reload
	buffer_load_dword v1, off, s[96:99], 0 offset:328 ; 4-byte Folded Reload
	;; [unrolled: 1-line block ×3, first 2 shown]
	v_readlane_b32 s16, v125, 24
	v_readlane_b32 s17, v125, 25
	v_cndmask_b32_e64 v22, 0, 1, s[16:17]
	v_readlane_b32 s16, v125, 26
	v_readlane_b32 s17, v125, 27
	s_waitcnt lgkmcnt(0)
	ds_read_b32 v21, v16 offset:32
	s_waitcnt vmcnt(2)
	v_xor_b32_e32 v0, vcc_hi, v0
	s_waitcnt vmcnt(1)
	v_xor_b32_e32 v1, vcc_lo, v1
	v_cmp_ne_u32_e32 vcc, 0, v22
	buffer_load_dword v22, off, s[96:99], 0 offset:704 ; 4-byte Folded Reload
	v_and_b32_e32 v1, exec_lo, v1
	s_waitcnt vmcnt(1)
	v_xor_b32_e32 v23, vcc_lo, v23
	v_and_b32_e32 v0, exec_hi, v0
	v_and_b32_e32 v1, v1, v23
	buffer_load_dword v23, off, s[96:99], 0 offset:176 ; 4-byte Folded Reload
	s_waitcnt vmcnt(1)
	v_xor_b32_e32 v22, vcc_hi, v22
	v_and_b32_e32 v0, v0, v22
	v_cndmask_b32_e64 v22, 0, 1, s[16:17]
	v_cmp_ne_u32_e32 vcc, 0, v22
	buffer_load_dword v22, off, s[96:99], 0 offset:708 ; 4-byte Folded Reload
	v_readlane_b32 s16, v125, 28
	s_waitcnt vmcnt(1)
	v_xor_b32_e32 v23, vcc_lo, v23
	v_readlane_b32 s17, v125, 29
	s_waitcnt vmcnt(0)
	v_xor_b32_e32 v22, vcc_hi, v22
	v_and_b32_e32 v0, v0, v22
	v_and_b32_e32 v22, v1, v23
	v_cndmask_b32_e64 v1, 0, 1, s[16:17]
	v_cmp_ne_u32_e32 vcc, 0, v1
	buffer_load_dword v1, off, s[96:99], 0 offset:712 ; 4-byte Folded Reload
	buffer_load_dword v23, off, s[96:99], 0 offset:180 ; 4-byte Folded Reload
	; wave barrier
	s_waitcnt vmcnt(1)
	v_xor_b32_e32 v1, vcc_hi, v1
	s_waitcnt vmcnt(0)
	v_xor_b32_e32 v23, vcc_lo, v23
	v_and_b32_e32 v1, v0, v1
	v_and_b32_e32 v0, v22, v23
	v_mbcnt_lo_u32_b32 v22, v0, 0
	v_mbcnt_hi_u32_b32 v22, v1, v22
	v_cmp_ne_u64_e32 vcc, 0, v[0:1]
	v_cmp_eq_u32_e64 s[16:17], 0, v22
	s_and_b64 s[18:19], vcc, s[16:17]
	s_and_saveexec_b64 s[16:17], s[18:19]
	s_cbranch_execz .LBB86_32
; %bb.31:                               ;   in Loop: Header=BB86_2 Depth=1
	v_bcnt_u32_b32 v0, v0, 0
	v_bcnt_u32_b32 v0, v1, v0
	s_waitcnt lgkmcnt(0)
	v_add_u32_e32 v0, v21, v0
	ds_write_b32 v16, v0 offset:32
.LBB86_32:                              ;   in Loop: Header=BB86_2 Depth=1
	s_or_b64 exec, exec, s[16:17]
	v_cndmask_b32_e64 v0, 0, 1, s[90:91]
	; wave barrier
	v_cmp_ne_u32_e32 vcc, 0, v0
	buffer_load_dword v0, off, s[96:99], 0 offset:464 ; 4-byte Folded Reload
	buffer_load_dword v1, off, s[96:99], 0 offset:332 ; 4-byte Folded Reload
	;; [unrolled: 1-line block ×3, first 2 shown]
	v_readlane_b32 s16, v125, 30
	v_readlane_b32 s17, v125, 31
	v_cndmask_b32_e64 v22, 0, 1, s[16:17]
	v_readlane_b32 s16, v125, 32
	v_readlane_b32 s17, v125, 33
	s_waitcnt lgkmcnt(0)
	ds_read_b32 v21, v17 offset:32
	s_waitcnt vmcnt(2)
	v_xor_b32_e32 v0, vcc_hi, v0
	s_waitcnt vmcnt(1)
	v_xor_b32_e32 v1, vcc_lo, v1
	v_cmp_ne_u32_e32 vcc, 0, v22
	buffer_load_dword v22, off, s[96:99], 0 offset:716 ; 4-byte Folded Reload
	v_and_b32_e32 v1, exec_lo, v1
	s_waitcnt vmcnt(1)
	v_xor_b32_e32 v23, vcc_lo, v23
	v_and_b32_e32 v0, exec_hi, v0
	v_and_b32_e32 v1, v1, v23
	buffer_load_dword v23, off, s[96:99], 0 offset:188 ; 4-byte Folded Reload
	s_waitcnt vmcnt(1)
	v_xor_b32_e32 v22, vcc_hi, v22
	v_and_b32_e32 v0, v0, v22
	v_cndmask_b32_e64 v22, 0, 1, s[16:17]
	v_cmp_ne_u32_e32 vcc, 0, v22
	buffer_load_dword v22, off, s[96:99], 0 offset:720 ; 4-byte Folded Reload
	v_readlane_b32 s16, v125, 34
	s_waitcnt vmcnt(1)
	v_xor_b32_e32 v23, vcc_lo, v23
	v_readlane_b32 s17, v125, 35
	s_waitcnt vmcnt(0)
	v_xor_b32_e32 v22, vcc_hi, v22
	v_and_b32_e32 v0, v0, v22
	v_and_b32_e32 v22, v1, v23
	v_cndmask_b32_e64 v1, 0, 1, s[16:17]
	v_cmp_ne_u32_e32 vcc, 0, v1
	buffer_load_dword v1, off, s[96:99], 0 offset:724 ; 4-byte Folded Reload
	buffer_load_dword v23, off, s[96:99], 0 offset:192 ; 4-byte Folded Reload
	; wave barrier
	s_waitcnt vmcnt(1)
	v_xor_b32_e32 v1, vcc_hi, v1
	s_waitcnt vmcnt(0)
	v_xor_b32_e32 v23, vcc_lo, v23
	v_and_b32_e32 v1, v0, v1
	v_and_b32_e32 v0, v22, v23
	v_mbcnt_lo_u32_b32 v22, v0, 0
	v_mbcnt_hi_u32_b32 v22, v1, v22
	v_cmp_ne_u64_e32 vcc, 0, v[0:1]
	v_cmp_eq_u32_e64 s[16:17], 0, v22
	s_and_b64 s[18:19], vcc, s[16:17]
	s_and_saveexec_b64 s[16:17], s[18:19]
	s_cbranch_execz .LBB86_34
; %bb.33:                               ;   in Loop: Header=BB86_2 Depth=1
	v_bcnt_u32_b32 v0, v0, 0
	v_bcnt_u32_b32 v0, v1, v0
	s_waitcnt lgkmcnt(0)
	v_add_u32_e32 v0, v21, v0
	ds_write_b32 v17, v0 offset:32
.LBB86_34:                              ;   in Loop: Header=BB86_2 Depth=1
	s_or_b64 exec, exec, s[16:17]
	; wave barrier
	s_waitcnt lgkmcnt(0)
	s_barrier
	ds_read_b32 v0, v2 offset:32
	s_waitcnt lgkmcnt(0)
	s_nop 0
	v_mov_b32_dpp v1, v0 row_shr:1 row_mask:0xf bank_mask:0xf
	v_cndmask_b32_e64 v1, v1, 0, s[0:1]
	v_add_u32_e32 v0, v1, v0
	s_nop 1
	v_mov_b32_dpp v1, v0 row_shr:2 row_mask:0xf bank_mask:0xf
	v_cndmask_b32_e64 v1, 0, v1, s[2:3]
	v_add_u32_e32 v0, v0, v1
	;; [unrolled: 4-line block ×4, first 2 shown]
	s_nop 1
	v_mov_b32_dpp v1, v0 row_bcast:15 row_mask:0xf bank_mask:0xf
	v_cndmask_b32_e64 v1, v1, 0, s[8:9]
	v_add_u32_e32 v0, v0, v1
	s_nop 1
	v_mov_b32_dpp v1, v0 row_bcast:31 row_mask:0xf bank_mask:0xf
	v_cndmask_b32_e64 v1, 0, v1, s[14:15]
	v_add_u32_e32 v0, v0, v1
	s_and_saveexec_b64 s[16:17], s[72:73]
	s_cbranch_execz .LBB86_36
; %bb.35:                               ;   in Loop: Header=BB86_2 Depth=1
	buffer_load_dword v1, off, s[96:99], 0  ; 4-byte Folded Reload
	s_waitcnt vmcnt(0)
	ds_write_b32 v1, v0
.LBB86_36:                              ;   in Loop: Header=BB86_2 Depth=1
	s_or_b64 exec, exec, s[16:17]
	s_waitcnt lgkmcnt(0)
	s_barrier
	s_and_saveexec_b64 s[16:17], s[74:75]
	s_cbranch_execz .LBB86_38
; %bb.37:                               ;   in Loop: Header=BB86_2 Depth=1
	ds_read_b32 v1, v2
	v_readlane_b32 s18, v126, 60
	v_readlane_b32 s19, v126, 61
	s_waitcnt lgkmcnt(0)
	v_mov_b32_dpp v21, v1 row_shr:1 row_mask:0xf bank_mask:0xf
	v_cndmask_b32_e64 v21, v21, 0, s[18:19]
	v_add_u32_e32 v1, v21, v1
	v_readlane_b32 s18, v126, 62
	v_readlane_b32 s19, v126, 63
	v_mov_b32_dpp v21, v1 row_shr:2 row_mask:0xf bank_mask:0xf
	v_cndmask_b32_e64 v21, 0, v21, s[18:19]
	v_add_u32_e32 v1, v1, v21
	v_readlane_b32 s18, v127, 0
	v_readlane_b32 s19, v127, 1
	v_mov_b32_dpp v21, v1 row_shr:4 row_mask:0xf bank_mask:0xf
	v_cndmask_b32_e64 v21, 0, v21, s[18:19]
	v_add_u32_e32 v1, v1, v21
	ds_write_b32 v2, v1
.LBB86_38:                              ;   in Loop: Header=BB86_2 Depth=1
	s_or_b64 exec, exec, s[16:17]
	v_mov_b32_e32 v1, 0
	s_waitcnt lgkmcnt(0)
	s_barrier
	s_and_saveexec_b64 s[16:17], s[94:95]
	s_cbranch_execz .LBB86_40
; %bb.39:                               ;   in Loop: Header=BB86_2 Depth=1
	buffer_load_dword v1, off, s[96:99], 0 offset:532 ; 4-byte Folded Reload
	s_waitcnt vmcnt(0)
	ds_read_b32 v1, v1
.LBB86_40:                              ;   in Loop: Header=BB86_2 Depth=1
	s_or_b64 exec, exec, s[16:17]
	s_waitcnt lgkmcnt(0)
	v_add_u32_e32 v0, v1, v0
	ds_bpermute_b32 v0, v4, v0
	v_readlane_b32 s16, v127, 14
	v_readlane_b32 s17, v127, 15
	s_waitcnt lgkmcnt(0)
	v_cndmask_b32_e64 v0, v0, v1, s[10:11]
	ds_write_b32 v2, v0 offset:32
	v_cndmask_b32_e64 v0, 0, 1, s[16:17]
	s_waitcnt lgkmcnt(0)
	s_barrier
	ds_write_b32 v2, v7 offset:32
	s_waitcnt lgkmcnt(0)
	s_barrier
	v_cmp_ne_u32_e32 vcc, 0, v0
	buffer_load_dword v0, off, s[96:99], 0 offset:468 ; 4-byte Folded Reload
	buffer_load_dword v1, off, s[96:99], 0 offset:336 ; 4-byte Folded Reload
	;; [unrolled: 1-line block ×3, first 2 shown]
	v_readlane_b32 s16, v125, 36
	v_readlane_b32 s17, v125, 37
	v_cndmask_b32_e64 v21, 0, 1, s[16:17]
	v_readlane_b32 s16, v125, 38
	v_readlane_b32 s17, v125, 39
	s_waitcnt vmcnt(2)
	v_xor_b32_e32 v0, vcc_hi, v0
	s_waitcnt vmcnt(1)
	v_xor_b32_e32 v1, vcc_lo, v1
	v_cmp_ne_u32_e32 vcc, 0, v21
	buffer_load_dword v21, off, s[96:99], 0 offset:728 ; 4-byte Folded Reload
	v_and_b32_e32 v1, exec_lo, v1
	s_waitcnt vmcnt(1)
	v_xor_b32_e32 v22, vcc_lo, v22
	v_and_b32_e32 v0, exec_hi, v0
	v_and_b32_e32 v1, v1, v22
	buffer_load_dword v22, off, s[96:99], 0 offset:200 ; 4-byte Folded Reload
	s_waitcnt vmcnt(1)
	v_xor_b32_e32 v21, vcc_hi, v21
	v_and_b32_e32 v0, v0, v21
	v_cndmask_b32_e64 v21, 0, 1, s[16:17]
	v_cmp_ne_u32_e32 vcc, 0, v21
	buffer_load_dword v21, off, s[96:99], 0 offset:732 ; 4-byte Folded Reload
	v_readlane_b32 s16, v125, 40
	s_waitcnt vmcnt(1)
	v_xor_b32_e32 v22, vcc_lo, v22
	v_readlane_b32 s17, v125, 41
	s_waitcnt vmcnt(0)
	v_xor_b32_e32 v21, vcc_hi, v21
	v_and_b32_e32 v0, v0, v21
	v_and_b32_e32 v21, v1, v22
	v_cndmask_b32_e64 v1, 0, 1, s[16:17]
	v_cmp_ne_u32_e32 vcc, 0, v1
	buffer_load_dword v1, off, s[96:99], 0 offset:736 ; 4-byte Folded Reload
	buffer_load_dword v22, off, s[96:99], 0 offset:204 ; 4-byte Folded Reload
	; wave barrier
	s_waitcnt vmcnt(1)
	v_xor_b32_e32 v1, vcc_hi, v1
	s_waitcnt vmcnt(0)
	v_xor_b32_e32 v22, vcc_lo, v22
	v_and_b32_e32 v1, v0, v1
	v_and_b32_e32 v0, v21, v22
	v_mbcnt_lo_u32_b32 v21, v0, 0
	v_mbcnt_hi_u32_b32 v87, v1, v21
	v_cmp_ne_u64_e32 vcc, 0, v[0:1]
	v_cmp_eq_u32_e64 s[16:17], 0, v87
	s_and_b64 s[18:19], vcc, s[16:17]
	s_and_saveexec_b64 s[16:17], s[18:19]
	s_cbranch_execz .LBB86_42
; %bb.41:                               ;   in Loop: Header=BB86_2 Depth=1
	v_bcnt_u32_b32 v0, v0, 0
	v_bcnt_u32_b32 v0, v1, v0
	buffer_load_dword v1, off, s[96:99], 0 offset:808 ; 4-byte Folded Reload
	s_waitcnt vmcnt(0)
	v_add_u32_e32 v1, v3, v1
	ds_write_b32 v1, v0 offset:32
.LBB86_42:                              ;   in Loop: Header=BB86_2 Depth=1
	s_or_b64 exec, exec, s[16:17]
	v_readlane_b32 s16, v127, 16
	v_readlane_b32 s17, v127, 17
	v_cndmask_b32_e64 v0, 0, 1, s[16:17]
	; wave barrier
	v_cmp_ne_u32_e32 vcc, 0, v0
	buffer_load_dword v0, off, s[96:99], 0 offset:472 ; 4-byte Folded Reload
	buffer_load_dword v1, off, s[96:99], 0 offset:340 ; 4-byte Folded Reload
	;; [unrolled: 1-line block ×3, first 2 shown]
	v_readlane_b32 s16, v125, 42
	v_readlane_b32 s17, v125, 43
	v_cndmask_b32_e64 v22, 0, 1, s[16:17]
	v_readlane_b32 s16, v125, 44
	v_readlane_b32 s17, v125, 45
	ds_read_b32 v21, v103 offset:32
	s_waitcnt vmcnt(2)
	v_xor_b32_e32 v0, vcc_hi, v0
	s_waitcnt vmcnt(1)
	v_xor_b32_e32 v1, vcc_lo, v1
	v_cmp_ne_u32_e32 vcc, 0, v22
	buffer_load_dword v22, off, s[96:99], 0 offset:740 ; 4-byte Folded Reload
	v_and_b32_e32 v1, exec_lo, v1
	s_waitcnt vmcnt(1)
	v_xor_b32_e32 v23, vcc_lo, v23
	v_and_b32_e32 v0, exec_hi, v0
	v_and_b32_e32 v1, v1, v23
	buffer_load_dword v23, off, s[96:99], 0 offset:212 ; 4-byte Folded Reload
	s_waitcnt vmcnt(1)
	v_xor_b32_e32 v22, vcc_hi, v22
	v_and_b32_e32 v0, v0, v22
	v_cndmask_b32_e64 v22, 0, 1, s[16:17]
	v_cmp_ne_u32_e32 vcc, 0, v22
	buffer_load_dword v22, off, s[96:99], 0 offset:744 ; 4-byte Folded Reload
	v_readlane_b32 s16, v125, 46
	s_waitcnt vmcnt(1)
	v_xor_b32_e32 v23, vcc_lo, v23
	v_readlane_b32 s17, v125, 47
	s_waitcnt vmcnt(0)
	v_xor_b32_e32 v22, vcc_hi, v22
	v_and_b32_e32 v0, v0, v22
	v_and_b32_e32 v22, v1, v23
	v_cndmask_b32_e64 v1, 0, 1, s[16:17]
	v_cmp_ne_u32_e32 vcc, 0, v1
	buffer_load_dword v1, off, s[96:99], 0 offset:748 ; 4-byte Folded Reload
	buffer_load_dword v23, off, s[96:99], 0 offset:216 ; 4-byte Folded Reload
	; wave barrier
	s_waitcnt vmcnt(1)
	v_xor_b32_e32 v1, vcc_hi, v1
	s_waitcnt vmcnt(0)
	v_xor_b32_e32 v23, vcc_lo, v23
	v_and_b32_e32 v1, v0, v1
	v_and_b32_e32 v0, v22, v23
	v_mbcnt_lo_u32_b32 v22, v0, 0
	v_mbcnt_hi_u32_b32 v22, v1, v22
	v_cmp_ne_u64_e32 vcc, 0, v[0:1]
	v_cmp_eq_u32_e64 s[16:17], 0, v22
	s_and_b64 s[18:19], vcc, s[16:17]
	s_and_saveexec_b64 s[16:17], s[18:19]
	s_cbranch_execz .LBB86_44
; %bb.43:                               ;   in Loop: Header=BB86_2 Depth=1
	v_bcnt_u32_b32 v0, v0, 0
	v_bcnt_u32_b32 v0, v1, v0
	s_waitcnt lgkmcnt(0)
	v_add_u32_e32 v0, v21, v0
	ds_write_b32 v103, v0 offset:32
.LBB86_44:                              ;   in Loop: Header=BB86_2 Depth=1
	s_or_b64 exec, exec, s[16:17]
	v_readlane_b32 s16, v127, 18
	v_readlane_b32 s17, v127, 19
	v_cndmask_b32_e64 v0, 0, 1, s[16:17]
	; wave barrier
	v_cmp_ne_u32_e32 vcc, 0, v0
	buffer_load_dword v0, off, s[96:99], 0 offset:476 ; 4-byte Folded Reload
	buffer_load_dword v1, off, s[96:99], 0 offset:344 ; 4-byte Folded Reload
	;; [unrolled: 1-line block ×3, first 2 shown]
	v_readlane_b32 s16, v125, 48
	v_readlane_b32 s17, v125, 49
	v_cndmask_b32_e64 v23, 0, 1, s[16:17]
	v_readlane_b32 s16, v125, 50
	v_readlane_b32 s17, v125, 51
	ds_read_b32 v88, v104 offset:32
	s_waitcnt vmcnt(2)
	v_xor_b32_e32 v0, vcc_hi, v0
	s_waitcnt vmcnt(1)
	v_xor_b32_e32 v1, vcc_lo, v1
	v_cmp_ne_u32_e32 vcc, 0, v23
	buffer_load_dword v23, off, s[96:99], 0 offset:752 ; 4-byte Folded Reload
	v_and_b32_e32 v1, exec_lo, v1
	s_waitcnt vmcnt(1)
	v_xor_b32_e32 v24, vcc_lo, v24
	v_and_b32_e32 v0, exec_hi, v0
	v_and_b32_e32 v1, v1, v24
	buffer_load_dword v24, off, s[96:99], 0 offset:224 ; 4-byte Folded Reload
	s_waitcnt vmcnt(1)
	v_xor_b32_e32 v23, vcc_hi, v23
	v_and_b32_e32 v0, v0, v23
	v_cndmask_b32_e64 v23, 0, 1, s[16:17]
	v_cmp_ne_u32_e32 vcc, 0, v23
	buffer_load_dword v23, off, s[96:99], 0 offset:756 ; 4-byte Folded Reload
	v_readlane_b32 s16, v125, 52
	s_waitcnt vmcnt(1)
	v_xor_b32_e32 v24, vcc_lo, v24
	v_readlane_b32 s17, v125, 53
	s_waitcnt vmcnt(0)
	v_xor_b32_e32 v23, vcc_hi, v23
	v_and_b32_e32 v0, v0, v23
	v_and_b32_e32 v23, v1, v24
	v_cndmask_b32_e64 v1, 0, 1, s[16:17]
	v_cmp_ne_u32_e32 vcc, 0, v1
	buffer_load_dword v1, off, s[96:99], 0 offset:760 ; 4-byte Folded Reload
	buffer_load_dword v24, off, s[96:99], 0 offset:228 ; 4-byte Folded Reload
	; wave barrier
	s_waitcnt vmcnt(1)
	v_xor_b32_e32 v1, vcc_hi, v1
	s_waitcnt vmcnt(0)
	v_xor_b32_e32 v24, vcc_lo, v24
	v_and_b32_e32 v1, v0, v1
	v_and_b32_e32 v0, v23, v24
	v_mbcnt_lo_u32_b32 v23, v0, 0
	v_mbcnt_hi_u32_b32 v23, v1, v23
	v_cmp_ne_u64_e32 vcc, 0, v[0:1]
	v_cmp_eq_u32_e64 s[16:17], 0, v23
	s_and_b64 s[18:19], vcc, s[16:17]
	s_and_saveexec_b64 s[16:17], s[18:19]
	s_cbranch_execz .LBB86_46
; %bb.45:                               ;   in Loop: Header=BB86_2 Depth=1
	v_bcnt_u32_b32 v0, v0, 0
	v_bcnt_u32_b32 v0, v1, v0
	s_waitcnt lgkmcnt(0)
	v_add_u32_e32 v0, v88, v0
	ds_write_b32 v104, v0 offset:32
.LBB86_46:                              ;   in Loop: Header=BB86_2 Depth=1
	s_or_b64 exec, exec, s[16:17]
	v_readlane_b32 s16, v127, 20
	v_readlane_b32 s17, v127, 21
	v_cndmask_b32_e64 v0, 0, 1, s[16:17]
	; wave barrier
	v_cmp_ne_u32_e32 vcc, 0, v0
	buffer_load_dword v0, off, s[96:99], 0 offset:480 ; 4-byte Folded Reload
	buffer_load_dword v1, off, s[96:99], 0 offset:348 ; 4-byte Folded Reload
	;; [unrolled: 1-line block ×3, first 2 shown]
	v_readlane_b32 s16, v125, 54
	v_readlane_b32 s17, v125, 55
	v_cndmask_b32_e64 v24, 0, 1, s[16:17]
	v_readlane_b32 s16, v125, 56
	v_readlane_b32 s17, v125, 57
	ds_read_b32 v89, v105 offset:32
	s_waitcnt vmcnt(2)
	v_xor_b32_e32 v0, vcc_hi, v0
	s_waitcnt vmcnt(1)
	v_xor_b32_e32 v1, vcc_lo, v1
	v_cmp_ne_u32_e32 vcc, 0, v24
	buffer_load_dword v24, off, s[96:99], 0 offset:764 ; 4-byte Folded Reload
	v_and_b32_e32 v1, exec_lo, v1
	s_waitcnt vmcnt(1)
	v_xor_b32_e32 v25, vcc_lo, v25
	v_and_b32_e32 v0, exec_hi, v0
	v_and_b32_e32 v1, v1, v25
	buffer_load_dword v25, off, s[96:99], 0 offset:236 ; 4-byte Folded Reload
	s_waitcnt vmcnt(1)
	v_xor_b32_e32 v24, vcc_hi, v24
	v_and_b32_e32 v0, v0, v24
	v_cndmask_b32_e64 v24, 0, 1, s[16:17]
	v_cmp_ne_u32_e32 vcc, 0, v24
	buffer_load_dword v24, off, s[96:99], 0 offset:768 ; 4-byte Folded Reload
	v_readlane_b32 s16, v125, 58
	s_waitcnt vmcnt(1)
	v_xor_b32_e32 v25, vcc_lo, v25
	v_readlane_b32 s17, v125, 59
	s_waitcnt vmcnt(0)
	v_xor_b32_e32 v24, vcc_hi, v24
	v_and_b32_e32 v0, v0, v24
	v_and_b32_e32 v24, v1, v25
	v_cndmask_b32_e64 v1, 0, 1, s[16:17]
	v_cmp_ne_u32_e32 vcc, 0, v1
	buffer_load_dword v1, off, s[96:99], 0 offset:772 ; 4-byte Folded Reload
	buffer_load_dword v25, off, s[96:99], 0 offset:240 ; 4-byte Folded Reload
	; wave barrier
	s_waitcnt vmcnt(1)
	v_xor_b32_e32 v1, vcc_hi, v1
	s_waitcnt vmcnt(0)
	v_xor_b32_e32 v25, vcc_lo, v25
	v_and_b32_e32 v1, v0, v1
	v_and_b32_e32 v0, v24, v25
	v_mbcnt_lo_u32_b32 v24, v0, 0
	v_mbcnt_hi_u32_b32 v90, v1, v24
	v_cmp_ne_u64_e32 vcc, 0, v[0:1]
	v_cmp_eq_u32_e64 s[16:17], 0, v90
	s_and_b64 s[18:19], vcc, s[16:17]
	s_and_saveexec_b64 s[16:17], s[18:19]
	s_cbranch_execz .LBB86_48
; %bb.47:                               ;   in Loop: Header=BB86_2 Depth=1
	v_bcnt_u32_b32 v0, v0, 0
	v_bcnt_u32_b32 v0, v1, v0
	s_waitcnt lgkmcnt(0)
	v_add_u32_e32 v0, v89, v0
	ds_write_b32 v105, v0 offset:32
.LBB86_48:                              ;   in Loop: Header=BB86_2 Depth=1
	s_or_b64 exec, exec, s[16:17]
	v_readlane_b32 s16, v127, 22
	v_readlane_b32 s17, v127, 23
	v_cndmask_b32_e64 v0, 0, 1, s[16:17]
	; wave barrier
	v_cmp_ne_u32_e32 vcc, 0, v0
	buffer_load_dword v0, off, s[96:99], 0 offset:484 ; 4-byte Folded Reload
	buffer_load_dword v1, off, s[96:99], 0 offset:352 ; 4-byte Folded Reload
	;; [unrolled: 1-line block ×3, first 2 shown]
	v_readlane_b32 s16, v125, 60
	v_readlane_b32 s17, v125, 61
	v_cndmask_b32_e64 v25, 0, 1, s[16:17]
	v_readlane_b32 s16, v125, 62
	v_readlane_b32 s17, v125, 63
	ds_read_b32 v24, v106 offset:32
	s_waitcnt vmcnt(2)
	v_xor_b32_e32 v0, vcc_hi, v0
	s_waitcnt vmcnt(1)
	v_xor_b32_e32 v1, vcc_lo, v1
	v_cmp_ne_u32_e32 vcc, 0, v25
	buffer_load_dword v25, off, s[96:99], 0 offset:776 ; 4-byte Folded Reload
	v_and_b32_e32 v1, exec_lo, v1
	s_waitcnt vmcnt(1)
	v_xor_b32_e32 v26, vcc_lo, v26
	v_and_b32_e32 v0, exec_hi, v0
	v_and_b32_e32 v1, v1, v26
	buffer_load_dword v26, off, s[96:99], 0 offset:248 ; 4-byte Folded Reload
	s_waitcnt vmcnt(1)
	v_xor_b32_e32 v25, vcc_hi, v25
	v_and_b32_e32 v0, v0, v25
	v_cndmask_b32_e64 v25, 0, 1, s[16:17]
	v_cmp_ne_u32_e32 vcc, 0, v25
	buffer_load_dword v25, off, s[96:99], 0 offset:780 ; 4-byte Folded Reload
	v_readlane_b32 s16, v126, 0
	s_waitcnt vmcnt(1)
	v_xor_b32_e32 v26, vcc_lo, v26
	v_readlane_b32 s17, v126, 1
	s_waitcnt vmcnt(0)
	v_xor_b32_e32 v25, vcc_hi, v25
	v_and_b32_e32 v0, v0, v25
	v_and_b32_e32 v25, v1, v26
	v_cndmask_b32_e64 v1, 0, 1, s[16:17]
	v_cmp_ne_u32_e32 vcc, 0, v1
	buffer_load_dword v1, off, s[96:99], 0 offset:784 ; 4-byte Folded Reload
	buffer_load_dword v26, off, s[96:99], 0 offset:252 ; 4-byte Folded Reload
	; wave barrier
	s_waitcnt vmcnt(1)
	v_xor_b32_e32 v1, vcc_hi, v1
	s_waitcnt vmcnt(0)
	v_xor_b32_e32 v26, vcc_lo, v26
	v_and_b32_e32 v1, v0, v1
	v_and_b32_e32 v0, v25, v26
	v_mbcnt_lo_u32_b32 v25, v0, 0
	v_mbcnt_hi_u32_b32 v91, v1, v25
	v_cmp_ne_u64_e32 vcc, 0, v[0:1]
	v_cmp_eq_u32_e64 s[16:17], 0, v91
	s_and_b64 s[18:19], vcc, s[16:17]
	s_and_saveexec_b64 s[16:17], s[18:19]
	s_cbranch_execz .LBB86_50
; %bb.49:                               ;   in Loop: Header=BB86_2 Depth=1
	v_bcnt_u32_b32 v0, v0, 0
	v_bcnt_u32_b32 v0, v1, v0
	s_waitcnt lgkmcnt(0)
	v_add_u32_e32 v0, v24, v0
	ds_write_b32 v106, v0 offset:32
.LBB86_50:                              ;   in Loop: Header=BB86_2 Depth=1
	s_or_b64 exec, exec, s[16:17]
	v_readlane_b32 s16, v127, 24
	v_readlane_b32 s17, v127, 25
	v_cndmask_b32_e64 v0, 0, 1, s[16:17]
	; wave barrier
	v_cmp_ne_u32_e32 vcc, 0, v0
	buffer_load_dword v0, off, s[96:99], 0 offset:488 ; 4-byte Folded Reload
	buffer_load_dword v1, off, s[96:99], 0 offset:356 ; 4-byte Folded Reload
	;; [unrolled: 1-line block ×3, first 2 shown]
	v_readlane_b32 s16, v126, 2
	v_readlane_b32 s17, v126, 3
	v_cndmask_b32_e64 v26, 0, 1, s[16:17]
	v_readlane_b32 s16, v126, 4
	v_readlane_b32 s17, v126, 5
	ds_read_b32 v25, v109 offset:32
	s_waitcnt vmcnt(2)
	v_xor_b32_e32 v0, vcc_hi, v0
	s_waitcnt vmcnt(1)
	v_xor_b32_e32 v1, vcc_lo, v1
	v_cmp_ne_u32_e32 vcc, 0, v26
	buffer_load_dword v26, off, s[96:99], 0 offset:788 ; 4-byte Folded Reload
	v_and_b32_e32 v1, exec_lo, v1
	s_waitcnt vmcnt(1)
	v_xor_b32_e32 v27, vcc_lo, v27
	v_and_b32_e32 v0, exec_hi, v0
	v_and_b32_e32 v1, v1, v27
	buffer_load_dword v27, off, s[96:99], 0 offset:260 ; 4-byte Folded Reload
	s_waitcnt vmcnt(1)
	v_xor_b32_e32 v26, vcc_hi, v26
	v_and_b32_e32 v0, v0, v26
	v_cndmask_b32_e64 v26, 0, 1, s[16:17]
	v_cmp_ne_u32_e32 vcc, 0, v26
	buffer_load_dword v26, off, s[96:99], 0 offset:792 ; 4-byte Folded Reload
	v_readlane_b32 s16, v126, 6
	s_waitcnt vmcnt(1)
	v_xor_b32_e32 v27, vcc_lo, v27
	v_readlane_b32 s17, v126, 7
	s_waitcnt vmcnt(0)
	v_xor_b32_e32 v26, vcc_hi, v26
	v_and_b32_e32 v0, v0, v26
	v_and_b32_e32 v26, v1, v27
	v_cndmask_b32_e64 v1, 0, 1, s[16:17]
	v_cmp_ne_u32_e32 vcc, 0, v1
	buffer_load_dword v1, off, s[96:99], 0 offset:796 ; 4-byte Folded Reload
	buffer_load_dword v27, off, s[96:99], 0 offset:264 ; 4-byte Folded Reload
	; wave barrier
	s_waitcnt vmcnt(1)
	v_xor_b32_e32 v1, vcc_hi, v1
	s_waitcnt vmcnt(0)
	v_xor_b32_e32 v27, vcc_lo, v27
	v_and_b32_e32 v1, v0, v1
	v_and_b32_e32 v0, v26, v27
	v_mbcnt_lo_u32_b32 v26, v0, 0
	v_mbcnt_hi_u32_b32 v92, v1, v26
	v_cmp_ne_u64_e32 vcc, 0, v[0:1]
	v_cmp_eq_u32_e64 s[16:17], 0, v92
	s_and_b64 s[18:19], vcc, s[16:17]
	s_and_saveexec_b64 s[16:17], s[18:19]
	s_cbranch_execz .LBB86_52
; %bb.51:                               ;   in Loop: Header=BB86_2 Depth=1
	v_bcnt_u32_b32 v0, v0, 0
	v_bcnt_u32_b32 v0, v1, v0
	s_waitcnt lgkmcnt(0)
	v_add_u32_e32 v0, v25, v0
	ds_write_b32 v109, v0 offset:32
.LBB86_52:                              ;   in Loop: Header=BB86_2 Depth=1
	s_or_b64 exec, exec, s[16:17]
	v_readlane_b32 s16, v127, 26
	v_readlane_b32 s17, v127, 27
	v_cndmask_b32_e64 v0, 0, 1, s[16:17]
	; wave barrier
	v_cmp_ne_u32_e32 vcc, 0, v0
	buffer_load_dword v0, off, s[96:99], 0 offset:492 ; 4-byte Folded Reload
	buffer_load_dword v1, off, s[96:99], 0 offset:360 ; 4-byte Folded Reload
	;; [unrolled: 1-line block ×3, first 2 shown]
	v_readlane_b32 s16, v126, 8
	v_readlane_b32 s17, v126, 9
	v_cndmask_b32_e64 v27, 0, 1, s[16:17]
	v_readlane_b32 s16, v126, 10
	v_readlane_b32 s17, v126, 11
	ds_read_b32 v26, v110 offset:32
	s_waitcnt vmcnt(2)
	v_xor_b32_e32 v0, vcc_hi, v0
	s_waitcnt vmcnt(1)
	v_xor_b32_e32 v1, vcc_lo, v1
	v_cmp_ne_u32_e32 vcc, 0, v27
	buffer_load_dword v27, off, s[96:99], 0 offset:800 ; 4-byte Folded Reload
	v_and_b32_e32 v1, exec_lo, v1
	s_waitcnt vmcnt(1)
	v_xor_b32_e32 v28, vcc_lo, v28
	v_and_b32_e32 v0, exec_hi, v0
	v_and_b32_e32 v1, v1, v28
	buffer_load_dword v28, off, s[96:99], 0 offset:272 ; 4-byte Folded Reload
	s_waitcnt vmcnt(1)
	v_xor_b32_e32 v27, vcc_hi, v27
	v_and_b32_e32 v0, v0, v27
	v_cndmask_b32_e64 v27, 0, 1, s[16:17]
	v_cmp_ne_u32_e32 vcc, 0, v27
	buffer_load_dword v27, off, s[96:99], 0 offset:804 ; 4-byte Folded Reload
	v_readlane_b32 s16, v126, 12
	s_waitcnt vmcnt(1)
	v_xor_b32_e32 v28, vcc_lo, v28
	v_readlane_b32 s17, v126, 13
	; wave barrier
	s_waitcnt vmcnt(0)
	v_xor_b32_e32 v27, vcc_hi, v27
	v_and_b32_e32 v0, v0, v27
	v_and_b32_e32 v27, v1, v28
	v_cndmask_b32_e64 v1, 0, 1, s[16:17]
	v_cmp_ne_u32_e32 vcc, 0, v1
	v_xor_b32_e32 v1, vcc_hi, v62
	v_xor_b32_e32 v28, vcc_lo, v40
	v_and_b32_e32 v1, v0, v1
	v_and_b32_e32 v0, v27, v28
	v_mbcnt_lo_u32_b32 v27, v0, 0
	v_mbcnt_hi_u32_b32 v93, v1, v27
	v_cmp_ne_u64_e32 vcc, 0, v[0:1]
	v_cmp_eq_u32_e64 s[16:17], 0, v93
	s_and_b64 s[18:19], vcc, s[16:17]
	s_and_saveexec_b64 s[16:17], s[18:19]
	s_cbranch_execz .LBB86_54
; %bb.53:                               ;   in Loop: Header=BB86_2 Depth=1
	v_bcnt_u32_b32 v0, v0, 0
	v_bcnt_u32_b32 v0, v1, v0
	s_waitcnt lgkmcnt(0)
	v_add_u32_e32 v0, v26, v0
	ds_write_b32 v110, v0 offset:32
.LBB86_54:                              ;   in Loop: Header=BB86_2 Depth=1
	s_or_b64 exec, exec, s[16:17]
	v_readlane_b32 s16, v127, 28
	v_readlane_b32 s17, v127, 29
	v_cndmask_b32_e64 v0, 0, 1, s[16:17]
	; wave barrier
	v_cmp_ne_u32_e32 vcc, 0, v0
	buffer_load_dword v0, off, s[96:99], 0 offset:496 ; 4-byte Folded Reload
	buffer_load_dword v1, off, s[96:99], 0 offset:364 ; 4-byte Folded Reload
	v_readlane_b32 s16, v126, 14
	v_readlane_b32 s17, v126, 15
	v_cndmask_b32_e64 v28, 0, 1, s[16:17]
	v_readlane_b32 s16, v126, 16
	v_readlane_b32 s17, v126, 17
	ds_read_b32 v27, v111 offset:32
	; wave barrier
	s_waitcnt vmcnt(1)
	v_xor_b32_e32 v0, vcc_hi, v0
	s_waitcnt vmcnt(0)
	v_xor_b32_e32 v1, vcc_lo, v1
	v_cmp_ne_u32_e32 vcc, 0, v28
	v_and_b32_e32 v0, exec_hi, v0
	v_xor_b32_e32 v28, vcc_hi, v63
	v_and_b32_e32 v0, v0, v28
	v_cndmask_b32_e64 v28, 0, 1, s[16:17]
	v_and_b32_e32 v1, exec_lo, v1
	v_xor_b32_e32 v29, vcc_lo, v51
	v_cmp_ne_u32_e32 vcc, 0, v28
	v_readlane_b32 s16, v126, 18
	v_and_b32_e32 v1, v1, v29
	v_xor_b32_e32 v28, vcc_hi, v64
	v_xor_b32_e32 v29, vcc_lo, v44
	v_readlane_b32 s17, v126, 19
	v_and_b32_e32 v0, v0, v28
	v_and_b32_e32 v28, v1, v29
	v_cndmask_b32_e64 v1, 0, 1, s[16:17]
	v_cmp_ne_u32_e32 vcc, 0, v1
	v_xor_b32_e32 v1, vcc_hi, v65
	v_xor_b32_e32 v29, vcc_lo, v52
	v_and_b32_e32 v1, v0, v1
	v_and_b32_e32 v0, v28, v29
	v_mbcnt_lo_u32_b32 v28, v0, 0
	v_mbcnt_hi_u32_b32 v94, v1, v28
	v_cmp_ne_u64_e32 vcc, 0, v[0:1]
	v_cmp_eq_u32_e64 s[16:17], 0, v94
	s_and_b64 s[18:19], vcc, s[16:17]
	s_and_saveexec_b64 s[16:17], s[18:19]
	s_cbranch_execz .LBB86_56
; %bb.55:                               ;   in Loop: Header=BB86_2 Depth=1
	v_bcnt_u32_b32 v0, v0, 0
	v_bcnt_u32_b32 v0, v1, v0
	s_waitcnt lgkmcnt(0)
	v_add_u32_e32 v0, v27, v0
	ds_write_b32 v111, v0 offset:32
.LBB86_56:                              ;   in Loop: Header=BB86_2 Depth=1
	s_or_b64 exec, exec, s[16:17]
	v_readlane_b32 s16, v127, 30
	v_readlane_b32 s17, v127, 31
	v_cndmask_b32_e64 v0, 0, 1, s[16:17]
	; wave barrier
	v_cmp_ne_u32_e32 vcc, 0, v0
	buffer_load_dword v0, off, s[96:99], 0 offset:500 ; 4-byte Folded Reload
	buffer_load_dword v1, off, s[96:99], 0 offset:368 ; 4-byte Folded Reload
	v_readlane_b32 s16, v126, 20
	v_readlane_b32 s17, v126, 21
	v_cndmask_b32_e64 v29, 0, 1, s[16:17]
	v_readlane_b32 s16, v126, 22
	v_readlane_b32 s17, v126, 23
	ds_read_b32 v28, v113 offset:32
	; wave barrier
	s_waitcnt vmcnt(1)
	v_xor_b32_e32 v0, vcc_hi, v0
	s_waitcnt vmcnt(0)
	v_xor_b32_e32 v1, vcc_lo, v1
	v_cmp_ne_u32_e32 vcc, 0, v29
	v_and_b32_e32 v0, exec_hi, v0
	v_xor_b32_e32 v29, vcc_hi, v66
	v_and_b32_e32 v0, v0, v29
	v_cndmask_b32_e64 v29, 0, 1, s[16:17]
	v_and_b32_e32 v1, exec_lo, v1
	v_xor_b32_e32 v30, vcc_lo, v38
	v_cmp_ne_u32_e32 vcc, 0, v29
	v_readlane_b32 s16, v126, 24
	v_and_b32_e32 v1, v1, v30
	v_xor_b32_e32 v29, vcc_hi, v67
	v_xor_b32_e32 v30, vcc_lo, v107
	v_readlane_b32 s17, v126, 25
	;; [unrolled: 54-line block ×8, first 2 shown]
	v_and_b32_e32 v0, v0, v36
	v_and_b32_e32 v36, v1, v37
	v_cndmask_b32_e64 v1, 0, 1, s[16:17]
	v_cmp_ne_u32_e32 vcc, 0, v1
	v_xor_b32_e32 v1, vcc_hi, v19
	v_xor_b32_e32 v37, vcc_lo, v43
	v_and_b32_e32 v1, v0, v1
	v_and_b32_e32 v0, v36, v37
	v_mbcnt_lo_u32_b32 v36, v0, 0
	v_mbcnt_hi_u32_b32 v36, v1, v36
	v_cmp_ne_u64_e32 vcc, 0, v[0:1]
	v_cmp_eq_u32_e64 s[16:17], 0, v36
	s_and_b64 s[18:19], vcc, s[16:17]
	s_and_saveexec_b64 s[16:17], s[18:19]
	s_cbranch_execz .LBB86_70
; %bb.69:                               ;   in Loop: Header=BB86_2 Depth=1
	v_bcnt_u32_b32 v0, v0, 0
	v_bcnt_u32_b32 v0, v1, v0
	s_waitcnt lgkmcnt(0)
	v_add_u32_e32 v0, v35, v0
	ds_write_b32 v10, v0 offset:32
.LBB86_70:                              ;   in Loop: Header=BB86_2 Depth=1
	s_or_b64 exec, exec, s[16:17]
	v_cndmask_b32_e64 v0, 0, 1, s[92:93]
	; wave barrier
	v_cmp_ne_u32_e32 vcc, 0, v0
	buffer_load_dword v0, off, s[96:99], 0 offset:528 ; 4-byte Folded Reload
	buffer_load_dword v1, off, s[96:99], 0 offset:396 ; 4-byte Folded Reload
	v_readlane_b32 s16, v127, 48
	v_readlane_b32 s17, v127, 49
	v_cndmask_b32_e64 v37, 0, 1, s[16:17]
	ds_read_b32 v100, v14 offset:32
	; wave barrier
	s_waitcnt vmcnt(1)
	v_xor_b32_e32 v0, vcc_hi, v0
	s_waitcnt vmcnt(0)
	v_xor_b32_e32 v1, vcc_lo, v1
	v_cmp_ne_u32_e32 vcc, 0, v37
	v_and_b32_e32 v0, exec_hi, v0
	v_xor_b32_e32 v37, vcc_hi, v85
	v_and_b32_e32 v0, v0, v37
	v_cndmask_b32_e64 v37, 0, 1, s[66:67]
	v_and_b32_e32 v1, exec_lo, v1
	v_xor_b32_e32 v101, vcc_lo, v60
	v_cmp_ne_u32_e32 vcc, 0, v37
	v_and_b32_e32 v1, v1, v101
	v_xor_b32_e32 v37, vcc_hi, v20
	v_xor_b32_e32 v101, vcc_lo, v50
	v_and_b32_e32 v0, v0, v37
	v_and_b32_e32 v37, v1, v101
	v_cndmask_b32_e64 v1, 0, 1, s[12:13]
	v_cmp_ne_u32_e32 vcc, 0, v1
	v_xor_b32_e32 v1, vcc_hi, v86
	v_xor_b32_e32 v101, vcc_lo, v61
	v_and_b32_e32 v1, v0, v1
	v_and_b32_e32 v0, v37, v101
	v_mbcnt_lo_u32_b32 v37, v0, 0
	v_mbcnt_hi_u32_b32 v37, v1, v37
	v_cmp_ne_u64_e32 vcc, 0, v[0:1]
	v_cmp_eq_u32_e64 s[16:17], 0, v37
	s_and_b64 s[18:19], vcc, s[16:17]
	s_and_saveexec_b64 s[16:17], s[18:19]
	s_cbranch_execz .LBB86_72
; %bb.71:                               ;   in Loop: Header=BB86_2 Depth=1
	v_bcnt_u32_b32 v0, v0, 0
	v_bcnt_u32_b32 v0, v1, v0
	s_waitcnt lgkmcnt(0)
	v_add_u32_e32 v0, v100, v0
	ds_write_b32 v14, v0 offset:32
.LBB86_72:                              ;   in Loop: Header=BB86_2 Depth=1
	s_or_b64 exec, exec, s[16:17]
	; wave barrier
	s_waitcnt lgkmcnt(0)
	s_barrier
	ds_read_b32 v0, v2 offset:32
	s_waitcnt lgkmcnt(0)
	s_nop 0
	v_mov_b32_dpp v1, v0 row_shr:1 row_mask:0xf bank_mask:0xf
	v_cndmask_b32_e64 v1, v1, 0, s[0:1]
	v_add_u32_e32 v0, v1, v0
	s_nop 1
	v_mov_b32_dpp v1, v0 row_shr:2 row_mask:0xf bank_mask:0xf
	v_cndmask_b32_e64 v1, 0, v1, s[2:3]
	v_add_u32_e32 v0, v0, v1
	;; [unrolled: 4-line block ×4, first 2 shown]
	s_nop 1
	v_mov_b32_dpp v1, v0 row_bcast:15 row_mask:0xf bank_mask:0xf
	v_cndmask_b32_e64 v1, v1, 0, s[8:9]
	v_add_u32_e32 v0, v0, v1
	s_nop 1
	v_mov_b32_dpp v1, v0 row_bcast:31 row_mask:0xf bank_mask:0xf
	v_cndmask_b32_e64 v1, 0, v1, s[14:15]
	v_add_u32_e32 v0, v0, v1
	s_and_saveexec_b64 s[16:17], s[72:73]
	s_cbranch_execz .LBB86_74
; %bb.73:                               ;   in Loop: Header=BB86_2 Depth=1
	buffer_load_dword v1, off, s[96:99], 0  ; 4-byte Folded Reload
	s_waitcnt vmcnt(0)
	ds_write_b32 v1, v0
.LBB86_74:                              ;   in Loop: Header=BB86_2 Depth=1
	s_or_b64 exec, exec, s[16:17]
	s_waitcnt lgkmcnt(0)
	s_barrier
	s_and_saveexec_b64 s[16:17], s[74:75]
	s_cbranch_execz .LBB86_76
; %bb.75:                               ;   in Loop: Header=BB86_2 Depth=1
	ds_read_b32 v1, v2
	v_readlane_b32 s18, v126, 60
	v_readlane_b32 s19, v126, 61
	s_waitcnt lgkmcnt(0)
	v_mov_b32_dpp v101, v1 row_shr:1 row_mask:0xf bank_mask:0xf
	v_cndmask_b32_e64 v101, v101, 0, s[18:19]
	v_add_u32_e32 v1, v101, v1
	v_readlane_b32 s18, v126, 62
	v_readlane_b32 s19, v126, 63
	v_mov_b32_dpp v101, v1 row_shr:2 row_mask:0xf bank_mask:0xf
	v_cndmask_b32_e64 v101, 0, v101, s[18:19]
	v_add_u32_e32 v1, v1, v101
	v_readlane_b32 s18, v127, 0
	v_readlane_b32 s19, v127, 1
	v_mov_b32_dpp v101, v1 row_shr:4 row_mask:0xf bank_mask:0xf
	v_cndmask_b32_e64 v101, 0, v101, s[18:19]
	v_add_u32_e32 v1, v1, v101
	ds_write_b32 v2, v1
.LBB86_76:                              ;   in Loop: Header=BB86_2 Depth=1
	s_or_b64 exec, exec, s[16:17]
	v_mov_b32_e32 v1, 0
	s_waitcnt lgkmcnt(0)
	s_barrier
	s_and_saveexec_b64 s[16:17], s[94:95]
	s_cbranch_execz .LBB86_1
; %bb.77:                               ;   in Loop: Header=BB86_2 Depth=1
	buffer_load_dword v1, off, s[96:99], 0 offset:532 ; 4-byte Folded Reload
	s_waitcnt vmcnt(0)
	ds_read_b32 v1, v1
	s_branch .LBB86_1
.LBB86_78:
	buffer_load_dword v0, off, s[96:99], 0 offset:808 ; 4-byte Folded Reload
	v_readlane_b32 s0, v127, 44
	v_readlane_b32 s4, v124, 0
	;; [unrolled: 1-line block ×5, first 2 shown]
	s_lshl_b64 s[0:1], s[0:1], 2
	s_mov_b64 s[2:3], s[6:7]
	s_add_u32 s0, s2, s0
	s_addc_u32 s1, s3, s1
	v_readlane_b32 s5, v124, 1
	s_waitcnt vmcnt(0)
	v_add_u32_e32 v0, v3, v0
	ds_read_b32 v1, v14 offset:32
	ds_read_b32 v12, v0 offset:32
	ds_read_b32 v0, v10 offset:32
	ds_read_b32 v4, v46 offset:32
	ds_read_b32 v5, v123 offset:32
	ds_read_b32 v6, v120 offset:32
	ds_read_b32 v8, v117 offset:32
	ds_read_b32 v9, v114 offset:32
	ds_read_b32 v10, v113 offset:32
	ds_read_b32 v11, v111 offset:32
	ds_read_b32 v13, v110 offset:32
	ds_read_b32 v14, v109 offset:32
	ds_read_b32 v15, v106 offset:32
	ds_read_b32 v16, v105 offset:32
	ds_read_b32 v17, v104 offset:32
	ds_read_b32 v18, v103 offset:32
	s_waitcnt lgkmcnt(10)
	v_add3_u32 v7, v98, v97, v6
	s_waitcnt lgkmcnt(9)
	v_add3_u32 v6, v31, v30, v8
	;; [unrolled: 2-line block ×4, first 2 shown]
	buffer_load_dword v16, off, s[96:99], 0 offset:816 ; 4-byte Folded Reload
	v_add3_u32 v3, v37, v100, v1
	v_add3_u32 v2, v36, v35, v0
	;; [unrolled: 1-line block ×8, first 2 shown]
	s_waitcnt lgkmcnt(1)
	v_add3_u32 v14, v23, v88, v17
	s_waitcnt lgkmcnt(0)
	v_add3_u32 v13, v22, v21, v18
	v_add_u32_e32 v12, v12, v87
	v_add3_u32 v11, v94, v27, v11
	s_waitcnt vmcnt(0)
	v_lshlrev_b32_e32 v16, 2, v16
	global_store_dwordx4 v16, v[12:15], s[0:1]
	global_store_dwordx4 v16, v[8:11], s[0:1] offset:16
	global_store_dwordx4 v16, v[4:7], s[0:1] offset:32
	;; [unrolled: 1-line block ×3, first 2 shown]
	s_endpgm
	.section	.rodata,"a",@progbits
	.p2align	6, 0x0
	.amdhsa_kernel _Z11rank_kernelIhLj4ELb0EL18RadixRankAlgorithm2ELj512ELj16ELj10EEvPKT_Pi
		.amdhsa_group_segment_fixed_size 2080
		.amdhsa_private_segment_fixed_size 836
		.amdhsa_kernarg_size 272
		.amdhsa_user_sgpr_count 6
		.amdhsa_user_sgpr_private_segment_buffer 1
		.amdhsa_user_sgpr_dispatch_ptr 0
		.amdhsa_user_sgpr_queue_ptr 0
		.amdhsa_user_sgpr_kernarg_segment_ptr 1
		.amdhsa_user_sgpr_dispatch_id 0
		.amdhsa_user_sgpr_flat_scratch_init 0
		.amdhsa_user_sgpr_private_segment_size 0
		.amdhsa_uses_dynamic_stack 0
		.amdhsa_system_sgpr_private_segment_wavefront_offset 1
		.amdhsa_system_sgpr_workgroup_id_x 1
		.amdhsa_system_sgpr_workgroup_id_y 0
		.amdhsa_system_sgpr_workgroup_id_z 0
		.amdhsa_system_sgpr_workgroup_info 0
		.amdhsa_system_vgpr_workitem_id 2
		.amdhsa_next_free_vgpr 128
		.amdhsa_next_free_sgpr 100
		.amdhsa_reserve_vcc 1
		.amdhsa_reserve_flat_scratch 0
		.amdhsa_float_round_mode_32 0
		.amdhsa_float_round_mode_16_64 0
		.amdhsa_float_denorm_mode_32 3
		.amdhsa_float_denorm_mode_16_64 3
		.amdhsa_dx10_clamp 1
		.amdhsa_ieee_mode 1
		.amdhsa_fp16_overflow 0
		.amdhsa_exception_fp_ieee_invalid_op 0
		.amdhsa_exception_fp_denorm_src 0
		.amdhsa_exception_fp_ieee_div_zero 0
		.amdhsa_exception_fp_ieee_overflow 0
		.amdhsa_exception_fp_ieee_underflow 0
		.amdhsa_exception_fp_ieee_inexact 0
		.amdhsa_exception_int_div_zero 0
	.end_amdhsa_kernel
	.section	.text._Z11rank_kernelIhLj4ELb0EL18RadixRankAlgorithm2ELj512ELj16ELj10EEvPKT_Pi,"axG",@progbits,_Z11rank_kernelIhLj4ELb0EL18RadixRankAlgorithm2ELj512ELj16ELj10EEvPKT_Pi,comdat
.Lfunc_end86:
	.size	_Z11rank_kernelIhLj4ELb0EL18RadixRankAlgorithm2ELj512ELj16ELj10EEvPKT_Pi, .Lfunc_end86-_Z11rank_kernelIhLj4ELb0EL18RadixRankAlgorithm2ELj512ELj16ELj10EEvPKT_Pi
                                        ; -- End function
	.set _Z11rank_kernelIhLj4ELb0EL18RadixRankAlgorithm2ELj512ELj16ELj10EEvPKT_Pi.num_vgpr, 128
	.set _Z11rank_kernelIhLj4ELb0EL18RadixRankAlgorithm2ELj512ELj16ELj10EEvPKT_Pi.num_agpr, 0
	.set _Z11rank_kernelIhLj4ELb0EL18RadixRankAlgorithm2ELj512ELj16ELj10EEvPKT_Pi.numbered_sgpr, 100
	.set _Z11rank_kernelIhLj4ELb0EL18RadixRankAlgorithm2ELj512ELj16ELj10EEvPKT_Pi.num_named_barrier, 0
	.set _Z11rank_kernelIhLj4ELb0EL18RadixRankAlgorithm2ELj512ELj16ELj10EEvPKT_Pi.private_seg_size, 836
	.set _Z11rank_kernelIhLj4ELb0EL18RadixRankAlgorithm2ELj512ELj16ELj10EEvPKT_Pi.uses_vcc, 1
	.set _Z11rank_kernelIhLj4ELb0EL18RadixRankAlgorithm2ELj512ELj16ELj10EEvPKT_Pi.uses_flat_scratch, 0
	.set _Z11rank_kernelIhLj4ELb0EL18RadixRankAlgorithm2ELj512ELj16ELj10EEvPKT_Pi.has_dyn_sized_stack, 0
	.set _Z11rank_kernelIhLj4ELb0EL18RadixRankAlgorithm2ELj512ELj16ELj10EEvPKT_Pi.has_recursion, 0
	.set _Z11rank_kernelIhLj4ELb0EL18RadixRankAlgorithm2ELj512ELj16ELj10EEvPKT_Pi.has_indirect_call, 0
	.section	.AMDGPU.csdata,"",@progbits
; Kernel info:
; codeLenInByte = 21352
; TotalNumSgprs: 104
; NumVgprs: 128
; ScratchSize: 836
; MemoryBound: 0
; FloatMode: 240
; IeeeMode: 1
; LDSByteSize: 2080 bytes/workgroup (compile time only)
; SGPRBlocks: 12
; VGPRBlocks: 31
; NumSGPRsForWavesPerEU: 104
; NumVGPRsForWavesPerEU: 128
; Occupancy: 2
; WaveLimiterHint : 0
; COMPUTE_PGM_RSRC2:SCRATCH_EN: 1
; COMPUTE_PGM_RSRC2:USER_SGPR: 6
; COMPUTE_PGM_RSRC2:TRAP_HANDLER: 0
; COMPUTE_PGM_RSRC2:TGID_X_EN: 1
; COMPUTE_PGM_RSRC2:TGID_Y_EN: 0
; COMPUTE_PGM_RSRC2:TGID_Z_EN: 0
; COMPUTE_PGM_RSRC2:TIDIG_COMP_CNT: 2
	.section	.text._Z11rank_kernelIhLj4ELb0EL18RadixRankAlgorithm0ELj512ELj32ELj10EEvPKT_Pi,"axG",@progbits,_Z11rank_kernelIhLj4ELb0EL18RadixRankAlgorithm0ELj512ELj32ELj10EEvPKT_Pi,comdat
	.protected	_Z11rank_kernelIhLj4ELb0EL18RadixRankAlgorithm0ELj512ELj32ELj10EEvPKT_Pi ; -- Begin function _Z11rank_kernelIhLj4ELb0EL18RadixRankAlgorithm0ELj512ELj32ELj10EEvPKT_Pi
	.globl	_Z11rank_kernelIhLj4ELb0EL18RadixRankAlgorithm0ELj512ELj32ELj10EEvPKT_Pi
	.p2align	8
	.type	_Z11rank_kernelIhLj4ELb0EL18RadixRankAlgorithm0ELj512ELj32ELj10EEvPKT_Pi,@function
_Z11rank_kernelIhLj4ELb0EL18RadixRankAlgorithm0ELj512ELj32ELj10EEvPKT_Pi: ; @_Z11rank_kernelIhLj4ELb0EL18RadixRankAlgorithm0ELj512ELj32ELj10EEvPKT_Pi
; %bb.0:
	s_load_dwordx4 s[24:27], s[4:5], 0x0
	s_lshl_b32 s28, s6, 14
	v_lshlrev_b32_e32 v9, 5, v0
	v_mbcnt_lo_u32_b32 v11, -1, 0
	v_mbcnt_hi_u32_b32 v13, -1, v11
	s_waitcnt lgkmcnt(0)
	s_add_u32 s0, s24, s28
	s_addc_u32 s1, s25, 0
	global_load_dwordx4 v[1:4], v9, s[0:1]
	global_load_dwordx4 v[5:8], v9, s[0:1] offset:16
	v_and_b32_e32 v11, 15, v13
	v_cmp_eq_u32_e64 s[0:1], 0, v11
	v_cmp_lt_u32_e64 s[2:3], 1, v11
	v_cmp_lt_u32_e64 s[4:5], 3, v11
	;; [unrolled: 1-line block ×3, first 2 shown]
	v_and_b32_e32 v11, 16, v13
	v_cmp_eq_u32_e64 s[8:9], 0, v11
	v_or_b32_e32 v11, 63, v0
	v_cmp_eq_u32_e64 s[12:13], v0, v11
	v_subrev_co_u32_e64 v11, s[18:19], 1, v13
	v_and_b32_e32 v12, 64, v13
	v_cmp_lt_i32_e32 vcc, v11, v12
	s_mov_b32 s29, 0
	v_cmp_lt_u32_e64 s[10:11], 31, v13
	v_cndmask_b32_e32 v11, v11, v13, vcc
	v_lshrrev_b32_e32 v12, 4, v0
	v_mul_i32_i24_e32 v16, 0xffffffe4, v0
	v_and_b32_e32 v13, 7, v13
	v_mov_b32_e32 v10, 0
	v_cmp_gt_u32_e64 s[14:15], 8, v0
	v_cmp_lt_u32_e64 s[16:17], 63, v0
	v_lshlrev_b32_e32 v11, 2, v11
	v_and_b32_e32 v12, 28, v12
	v_cmp_eq_u32_e64 s[20:21], 0, v13
	v_cmp_lt_u32_e64 s[22:23], 1, v13
	v_cmp_lt_u32_e64 s[24:25], 3, v13
	v_lshlrev_b32_e32 v14, 2, v0
	v_or_b32_e32 v15, 0xfffffe00, v0
	s_movk_i32 s33, 0xdff
	s_movk_i32 s36, 0xe00
	v_add_u32_e32 v17, v9, v16
	s_mov_b32 s37, s29
	s_branch .LBB87_2
.LBB87_1:                               ;   in Loop: Header=BB87_2 Depth=1
	s_add_i32 s37, s37, 1
	s_cmp_eq_u32 s37, 10
	s_cbranch_scc1 .LBB87_12
.LBB87_2:                               ; =>This Loop Header: Depth=1
                                        ;     Child Loop BB87_4 Depth 2
                                        ;       Child Loop BB87_5 Depth 3
	s_mov_b64 s[30:31], -1
	s_mov_b32 s38, 28
	s_branch .LBB87_4
.LBB87_3:                               ;   in Loop: Header=BB87_4 Depth=2
	s_or_b64 exec, exec, s[34:35]
	s_waitcnt lgkmcnt(0)
	v_add_u32_e32 v80, v81, v80
	ds_bpermute_b32 v80, v11, v80
	ds_read_b32 v88, v10 offset:16412
	ds_read2_b64 v[82:85], v9 offset1:1
	ds_read_b64 v[86:87], v9 offset:16
	ds_read_b32 v89, v9 offset:24
	s_mov_b32 s38, 24
	s_andn2_b64 vcc, exec, s[30:31]
	s_mov_b64 s[30:31], 0
	s_waitcnt lgkmcnt(4)
	v_cndmask_b32_e64 v80, v80, v81, s[18:19]
	s_waitcnt lgkmcnt(3)
	v_lshl_add_u32 v80, v88, 16, v80
	s_waitcnt lgkmcnt(2)
	v_add_u32_e32 v81, v80, v82
	v_add_u32_e32 v82, v83, v81
	v_add_u32_e32 v83, v84, v82
	ds_write2_b64 v9, v[80:81], v[82:83] offset1:1
	v_add_u32_e32 v80, v85, v83
	s_waitcnt lgkmcnt(2)
	v_add_u32_e32 v81, v86, v80
	v_add_u32_e32 v82, v87, v81
	s_waitcnt lgkmcnt(1)
	v_add_u32_e32 v83, v89, v82
	ds_write2_b64 v9, v[80:81], v[82:83] offset0:2 offset1:3
	s_waitcnt lgkmcnt(0)
	s_barrier
	s_cbranch_vccz .LBB87_1
.LBB87_4:                               ;   Parent Loop BB87_2 Depth=1
                                        ; =>  This Loop Header: Depth=2
                                        ;       Child Loop BB87_5 Depth 3
	s_xor_b64 s[30:31], s[30:31], -1
	s_mov_b64 s[34:35], 0
	v_mov_b32_e32 v13, v15
	v_mov_b32_e32 v16, v14
.LBB87_5:                               ;   Parent Loop BB87_2 Depth=1
                                        ;     Parent Loop BB87_4 Depth=2
                                        ; =>    This Inner Loop Header: Depth=3
	v_add_u32_e32 v13, 0x200, v13
	v_cmp_lt_u32_e32 vcc, s33, v13
	ds_write_b32 v16, v10
	s_or_b64 s[34:35], vcc, s[34:35]
	v_add_u32_e32 v16, 0x800, v16
	s_andn2_b64 exec, exec, s[34:35]
	s_cbranch_execnz .LBB87_5
; %bb.6:                                ;   in Loop: Header=BB87_4 Depth=2
	s_or_b64 exec, exec, s[34:35]
	s_waitcnt vmcnt(1)
	v_lshlrev_b32_sdwa v13, s38, v1 dst_sel:DWORD dst_unused:UNUSED_PAD src0_sel:DWORD src1_sel:BYTE_0
	v_lshrrev_b32_e32 v16, 19, v13
	v_and_or_b32 v16, v16, s36, v0
	v_alignbit_b32 v13, v16, v13, 31
	v_lshlrev_b32_e32 v18, 1, v13
	ds_read_u16 v13, v18
	v_lshlrev_b32_sdwa v16, s38, v1 dst_sel:DWORD dst_unused:UNUSED_PAD src0_sel:DWORD src1_sel:BYTE_1
	v_lshrrev_b32_e32 v19, 19, v16
	v_and_or_b32 v19, v19, s36, v0
	v_alignbit_b32 v16, v19, v16, 31
	s_waitcnt lgkmcnt(0)
	v_add_u16_e32 v19, 1, v13
	ds_write_b16 v18, v19
	v_lshlrev_b32_e32 v20, 1, v16
	ds_read_u16 v16, v20
	v_lshlrev_b32_sdwa v19, s38, v1 dst_sel:DWORD dst_unused:UNUSED_PAD src0_sel:DWORD src1_sel:BYTE_2
	v_lshrrev_b32_e32 v21, 19, v19
	v_and_or_b32 v21, v21, s36, v0
	v_alignbit_b32 v19, v21, v19, 31
	s_waitcnt lgkmcnt(0)
	v_add_u16_e32 v22, 1, v16
	ds_write_b16 v20, v22
	v_lshlrev_b32_e32 v22, 1, v19
	ds_read_u16 v19, v22
	v_lshlrev_b32_sdwa v21, s38, v1 dst_sel:DWORD dst_unused:UNUSED_PAD src0_sel:DWORD src1_sel:BYTE_3
	v_lshrrev_b32_e32 v23, 19, v21
	v_and_or_b32 v23, v23, s36, v0
	v_alignbit_b32 v21, v23, v21, 31
	s_waitcnt lgkmcnt(0)
	v_add_u16_e32 v24, 1, v19
	ds_write_b16 v22, v24
	v_lshlrev_b32_e32 v24, 1, v21
	ds_read_u16 v21, v24
	v_lshlrev_b32_sdwa v23, s38, v2 dst_sel:DWORD dst_unused:UNUSED_PAD src0_sel:DWORD src1_sel:BYTE_0
	s_waitcnt lgkmcnt(0)
	v_add_u16_e32 v25, 1, v21
	ds_write_b16 v24, v25
	v_lshrrev_b32_e32 v25, 19, v23
	v_and_or_b32 v25, v25, s36, v0
	v_alignbit_b32 v23, v25, v23, 31
	v_lshlrev_b32_e32 v26, 1, v23
	ds_read_u16 v23, v26
	s_waitcnt lgkmcnt(0)
	v_add_u16_e32 v25, 1, v23
	ds_write_b16 v26, v25
	v_lshlrev_b32_sdwa v25, s38, v2 dst_sel:DWORD dst_unused:UNUSED_PAD src0_sel:DWORD src1_sel:BYTE_1
	v_lshrrev_b32_e32 v27, 19, v25
	v_and_or_b32 v27, v27, s36, v0
	v_alignbit_b32 v25, v27, v25, 31
	v_lshlrev_b32_e32 v29, 1, v25
	ds_read_u16 v25, v29
	s_waitcnt lgkmcnt(0)
	v_add_u16_e32 v27, 1, v25
	ds_write_b16 v29, v27
	v_lshlrev_b32_sdwa v27, s38, v2 dst_sel:DWORD dst_unused:UNUSED_PAD src0_sel:DWORD src1_sel:BYTE_2
	v_lshrrev_b32_e32 v28, 19, v27
	v_and_or_b32 v28, v28, s36, v0
	v_alignbit_b32 v27, v28, v27, 31
	v_lshlrev_b32_e32 v32, 1, v27
	ds_read_u16 v28, v32
	s_waitcnt lgkmcnt(0)
	v_add_u16_e32 v27, 1, v28
	ds_write_b16 v32, v27
	v_lshlrev_b32_sdwa v27, s38, v2 dst_sel:DWORD dst_unused:UNUSED_PAD src0_sel:DWORD src1_sel:BYTE_3
	v_lshrrev_b32_e32 v30, 19, v27
	v_and_or_b32 v30, v30, s36, v0
	v_alignbit_b32 v27, v30, v27, 31
	v_lshlrev_b32_e32 v35, 1, v27
	ds_read_u16 v31, v35
	s_waitcnt lgkmcnt(0)
	v_add_u16_e32 v27, 1, v31
	ds_write_b16 v35, v27
	v_lshlrev_b32_sdwa v27, s38, v3 dst_sel:DWORD dst_unused:UNUSED_PAD src0_sel:DWORD src1_sel:BYTE_0
	v_lshrrev_b32_e32 v30, 19, v27
	v_and_or_b32 v30, v30, s36, v0
	v_alignbit_b32 v27, v30, v27, 31
	v_lshlrev_b32_e32 v33, 1, v27
	ds_read_u16 v27, v33
	s_waitcnt lgkmcnt(0)
	v_add_u16_e32 v30, 1, v27
	ds_write_b16 v33, v30
	v_lshlrev_b32_sdwa v30, s38, v3 dst_sel:DWORD dst_unused:UNUSED_PAD src0_sel:DWORD src1_sel:BYTE_1
	v_lshrrev_b32_e32 v34, 19, v30
	v_and_or_b32 v34, v34, s36, v0
	v_alignbit_b32 v30, v34, v30, 31
	v_lshlrev_b32_e32 v36, 1, v30
	ds_read_u16 v30, v36
	s_waitcnt lgkmcnt(0)
	v_add_u16_e32 v34, 1, v30
	ds_write_b16 v36, v34
	v_lshlrev_b32_sdwa v34, s38, v3 dst_sel:DWORD dst_unused:UNUSED_PAD src0_sel:DWORD src1_sel:BYTE_2
	v_lshrrev_b32_e32 v37, 19, v34
	v_and_or_b32 v37, v37, s36, v0
	v_alignbit_b32 v34, v37, v34, 31
	v_lshlrev_b32_e32 v38, 1, v34
	ds_read_u16 v34, v38
	s_waitcnt lgkmcnt(0)
	v_add_u16_e32 v37, 1, v34
	ds_write_b16 v38, v37
	v_lshlrev_b32_sdwa v37, s38, v3 dst_sel:DWORD dst_unused:UNUSED_PAD src0_sel:DWORD src1_sel:BYTE_3
	v_lshrrev_b32_e32 v39, 19, v37
	v_and_or_b32 v39, v39, s36, v0
	v_alignbit_b32 v37, v39, v37, 31
	v_lshlrev_b32_e32 v40, 1, v37
	ds_read_u16 v37, v40
	s_waitcnt lgkmcnt(0)
	v_add_u16_e32 v39, 1, v37
	ds_write_b16 v40, v39
	v_lshlrev_b32_sdwa v39, s38, v4 dst_sel:DWORD dst_unused:UNUSED_PAD src0_sel:DWORD src1_sel:BYTE_0
	v_lshrrev_b32_e32 v41, 19, v39
	v_and_or_b32 v41, v41, s36, v0
	v_alignbit_b32 v39, v41, v39, 31
	v_lshlrev_b32_e32 v42, 1, v39
	ds_read_u16 v39, v42
	s_waitcnt lgkmcnt(0)
	v_add_u16_e32 v41, 1, v39
	ds_write_b16 v42, v41
	v_lshlrev_b32_sdwa v41, s38, v4 dst_sel:DWORD dst_unused:UNUSED_PAD src0_sel:DWORD src1_sel:BYTE_1
	v_lshrrev_b32_e32 v43, 19, v41
	v_and_or_b32 v43, v43, s36, v0
	v_alignbit_b32 v41, v43, v41, 31
	v_lshlrev_b32_e32 v45, 1, v41
	ds_read_u16 v41, v45
	s_waitcnt lgkmcnt(0)
	v_add_u16_e32 v43, 1, v41
	ds_write_b16 v45, v43
	v_lshlrev_b32_sdwa v43, s38, v4 dst_sel:DWORD dst_unused:UNUSED_PAD src0_sel:DWORD src1_sel:BYTE_2
	v_lshrrev_b32_e32 v44, 19, v43
	v_and_or_b32 v44, v44, s36, v0
	v_alignbit_b32 v43, v44, v43, 31
	v_lshlrev_b32_e32 v48, 1, v43
	ds_read_u16 v44, v48
	s_waitcnt lgkmcnt(0)
	v_add_u16_e32 v43, 1, v44
	ds_write_b16 v48, v43
	v_lshlrev_b32_sdwa v43, s38, v4 dst_sel:DWORD dst_unused:UNUSED_PAD src0_sel:DWORD src1_sel:BYTE_3
	v_lshrrev_b32_e32 v46, 19, v43
	v_and_or_b32 v46, v46, s36, v0
	v_alignbit_b32 v43, v46, v43, 31
	v_lshlrev_b32_e32 v51, 1, v43
	ds_read_u16 v47, v51
	s_waitcnt lgkmcnt(0)
	v_add_u16_e32 v43, 1, v47
	ds_write_b16 v51, v43
	s_waitcnt vmcnt(0)
	v_lshlrev_b32_sdwa v43, s38, v5 dst_sel:DWORD dst_unused:UNUSED_PAD src0_sel:DWORD src1_sel:BYTE_0
	v_lshrrev_b32_e32 v46, 19, v43
	v_and_or_b32 v46, v46, s36, v0
	v_alignbit_b32 v43, v46, v43, 31
	v_lshlrev_b32_e32 v49, 1, v43
	ds_read_u16 v43, v49
	s_waitcnt lgkmcnt(0)
	v_add_u16_e32 v46, 1, v43
	ds_write_b16 v49, v46
	v_lshlrev_b32_sdwa v46, s38, v5 dst_sel:DWORD dst_unused:UNUSED_PAD src0_sel:DWORD src1_sel:BYTE_1
	v_lshrrev_b32_e32 v50, 19, v46
	v_and_or_b32 v50, v50, s36, v0
	v_alignbit_b32 v46, v50, v46, 31
	v_lshlrev_b32_e32 v52, 1, v46
	ds_read_u16 v46, v52
	s_waitcnt lgkmcnt(0)
	v_add_u16_e32 v50, 1, v46
	ds_write_b16 v52, v50
	v_lshlrev_b32_sdwa v50, s38, v5 dst_sel:DWORD dst_unused:UNUSED_PAD src0_sel:DWORD src1_sel:BYTE_2
	v_lshrrev_b32_e32 v53, 19, v50
	v_and_or_b32 v53, v53, s36, v0
	v_alignbit_b32 v50, v53, v50, 31
	v_lshlrev_b32_e32 v54, 1, v50
	ds_read_u16 v50, v54
	s_waitcnt lgkmcnt(0)
	v_add_u16_e32 v53, 1, v50
	ds_write_b16 v54, v53
	v_lshlrev_b32_sdwa v53, s38, v5 dst_sel:DWORD dst_unused:UNUSED_PAD src0_sel:DWORD src1_sel:BYTE_3
	v_lshrrev_b32_e32 v55, 19, v53
	v_and_or_b32 v55, v55, s36, v0
	v_alignbit_b32 v53, v55, v53, 31
	v_lshlrev_b32_e32 v56, 1, v53
	ds_read_u16 v53, v56
	s_waitcnt lgkmcnt(0)
	v_add_u16_e32 v55, 1, v53
	ds_write_b16 v56, v55
	v_lshlrev_b32_sdwa v55, s38, v6 dst_sel:DWORD dst_unused:UNUSED_PAD src0_sel:DWORD src1_sel:BYTE_0
	v_lshrrev_b32_e32 v57, 19, v55
	v_and_or_b32 v57, v57, s36, v0
	v_alignbit_b32 v55, v57, v55, 31
	v_lshlrev_b32_e32 v58, 1, v55
	ds_read_u16 v55, v58
	s_waitcnt lgkmcnt(0)
	v_add_u16_e32 v57, 1, v55
	ds_write_b16 v58, v57
	v_lshlrev_b32_sdwa v57, s38, v6 dst_sel:DWORD dst_unused:UNUSED_PAD src0_sel:DWORD src1_sel:BYTE_1
	v_lshrrev_b32_e32 v59, 19, v57
	v_and_or_b32 v59, v59, s36, v0
	v_alignbit_b32 v57, v59, v57, 31
	v_lshlrev_b32_e32 v61, 1, v57
	ds_read_u16 v57, v61
	s_waitcnt lgkmcnt(0)
	v_add_u16_e32 v59, 1, v57
	ds_write_b16 v61, v59
	v_lshlrev_b32_sdwa v59, s38, v6 dst_sel:DWORD dst_unused:UNUSED_PAD src0_sel:DWORD src1_sel:BYTE_2
	v_lshrrev_b32_e32 v60, 19, v59
	v_and_or_b32 v60, v60, s36, v0
	v_alignbit_b32 v59, v60, v59, 31
	v_lshlrev_b32_e32 v64, 1, v59
	ds_read_u16 v60, v64
	s_waitcnt lgkmcnt(0)
	v_add_u16_e32 v59, 1, v60
	ds_write_b16 v64, v59
	v_lshlrev_b32_sdwa v59, s38, v6 dst_sel:DWORD dst_unused:UNUSED_PAD src0_sel:DWORD src1_sel:BYTE_3
	v_lshrrev_b32_e32 v62, 19, v59
	v_and_or_b32 v62, v62, s36, v0
	v_alignbit_b32 v59, v62, v59, 31
	v_lshlrev_b32_e32 v67, 1, v59
	ds_read_u16 v63, v67
	s_waitcnt lgkmcnt(0)
	v_add_u16_e32 v59, 1, v63
	ds_write_b16 v67, v59
	v_lshlrev_b32_sdwa v59, s38, v7 dst_sel:DWORD dst_unused:UNUSED_PAD src0_sel:DWORD src1_sel:BYTE_0
	v_lshrrev_b32_e32 v62, 19, v59
	v_and_or_b32 v62, v62, s36, v0
	v_alignbit_b32 v59, v62, v59, 31
	v_lshlrev_b32_e32 v65, 1, v59
	ds_read_u16 v59, v65
	s_waitcnt lgkmcnt(0)
	v_add_u16_e32 v62, 1, v59
	ds_write_b16 v65, v62
	v_lshlrev_b32_sdwa v62, s38, v7 dst_sel:DWORD dst_unused:UNUSED_PAD src0_sel:DWORD src1_sel:BYTE_1
	v_lshrrev_b32_e32 v66, 19, v62
	v_and_or_b32 v66, v66, s36, v0
	v_alignbit_b32 v62, v66, v62, 31
	v_lshlrev_b32_e32 v68, 1, v62
	ds_read_u16 v62, v68
	s_waitcnt lgkmcnt(0)
	v_add_u16_e32 v66, 1, v62
	ds_write_b16 v68, v66
	v_lshlrev_b32_sdwa v66, s38, v7 dst_sel:DWORD dst_unused:UNUSED_PAD src0_sel:DWORD src1_sel:BYTE_2
	v_lshrrev_b32_e32 v69, 19, v66
	v_and_or_b32 v69, v69, s36, v0
	v_alignbit_b32 v66, v69, v66, 31
	v_lshlrev_b32_e32 v70, 1, v66
	ds_read_u16 v66, v70
	s_waitcnt lgkmcnt(0)
	v_add_u16_e32 v69, 1, v66
	ds_write_b16 v70, v69
	v_lshlrev_b32_sdwa v69, s38, v7 dst_sel:DWORD dst_unused:UNUSED_PAD src0_sel:DWORD src1_sel:BYTE_3
	v_lshrrev_b32_e32 v71, 19, v69
	v_and_or_b32 v71, v71, s36, v0
	v_alignbit_b32 v69, v71, v69, 31
	v_lshlrev_b32_e32 v72, 1, v69
	ds_read_u16 v69, v72
	s_waitcnt lgkmcnt(0)
	v_add_u16_e32 v71, 1, v69
	ds_write_b16 v72, v71
	v_lshlrev_b32_sdwa v71, s38, v8 dst_sel:DWORD dst_unused:UNUSED_PAD src0_sel:DWORD src1_sel:BYTE_0
	v_lshrrev_b32_e32 v73, 19, v71
	v_and_or_b32 v73, v73, s36, v0
	v_alignbit_b32 v71, v73, v71, 31
	v_lshlrev_b32_e32 v74, 1, v71
	ds_read_u16 v71, v74
	s_waitcnt lgkmcnt(0)
	v_add_u16_e32 v73, 1, v71
	ds_write_b16 v74, v73
	v_lshlrev_b32_sdwa v73, s38, v8 dst_sel:DWORD dst_unused:UNUSED_PAD src0_sel:DWORD src1_sel:BYTE_1
	v_lshrrev_b32_e32 v75, 19, v73
	v_and_or_b32 v75, v75, s36, v0
	v_alignbit_b32 v73, v75, v73, 31
	v_lshlrev_b32_e32 v76, 1, v73
	ds_read_u16 v73, v76
	s_waitcnt lgkmcnt(0)
	v_add_u16_e32 v75, 1, v73
	ds_write_b16 v76, v75
	v_lshlrev_b32_sdwa v75, s38, v8 dst_sel:DWORD dst_unused:UNUSED_PAD src0_sel:DWORD src1_sel:BYTE_2
	v_lshrrev_b32_e32 v77, 19, v75
	v_and_or_b32 v77, v77, s36, v0
	v_alignbit_b32 v75, v77, v75, 31
	v_lshlrev_b32_e32 v78, 1, v75
	ds_read_u16 v75, v78
	s_waitcnt lgkmcnt(0)
	v_add_u16_e32 v77, 1, v75
	ds_write_b16 v78, v77
	v_lshlrev_b32_sdwa v77, s38, v8 dst_sel:DWORD dst_unused:UNUSED_PAD src0_sel:DWORD src1_sel:BYTE_3
	v_lshrrev_b32_e32 v79, 19, v77
	v_and_or_b32 v79, v79, s36, v0
	v_alignbit_b32 v77, v79, v77, 31
	v_lshlrev_b32_e32 v79, 1, v77
	ds_read_u16 v77, v79
	s_waitcnt lgkmcnt(0)
	v_add_u16_e32 v80, 1, v77
	ds_write_b16 v79, v80
	s_waitcnt lgkmcnt(0)
	s_barrier
	ds_read2_b64 v[80:83], v9 offset1:1
	ds_read2_b64 v[84:87], v9 offset0:2 offset1:3
	s_waitcnt lgkmcnt(1)
	v_add_u32_e32 v80, v81, v80
	v_add3_u32 v80, v80, v82, v83
	s_waitcnt lgkmcnt(0)
	v_add3_u32 v80, v80, v84, v85
	v_add3_u32 v80, v80, v86, v87
	s_nop 1
	v_mov_b32_dpp v81, v80 row_shr:1 row_mask:0xf bank_mask:0xf
	v_cndmask_b32_e64 v81, v81, 0, s[0:1]
	v_add_u32_e32 v80, v81, v80
	s_nop 1
	v_mov_b32_dpp v81, v80 row_shr:2 row_mask:0xf bank_mask:0xf
	v_cndmask_b32_e64 v81, 0, v81, s[2:3]
	v_add_u32_e32 v80, v80, v81
	;; [unrolled: 4-line block ×4, first 2 shown]
	s_nop 1
	v_mov_b32_dpp v81, v80 row_bcast:15 row_mask:0xf bank_mask:0xf
	v_cndmask_b32_e64 v81, v81, 0, s[8:9]
	v_add_u32_e32 v80, v80, v81
	s_nop 1
	v_mov_b32_dpp v81, v80 row_bcast:31 row_mask:0xf bank_mask:0xf
	v_cndmask_b32_e64 v81, 0, v81, s[10:11]
	v_add_u32_e32 v80, v80, v81
	s_and_saveexec_b64 s[34:35], s[12:13]
; %bb.7:                                ;   in Loop: Header=BB87_4 Depth=2
	ds_write_b32 v12, v80 offset:16384
; %bb.8:                                ;   in Loop: Header=BB87_4 Depth=2
	s_or_b64 exec, exec, s[34:35]
	s_waitcnt lgkmcnt(0)
	s_barrier
	s_and_saveexec_b64 s[34:35], s[14:15]
	s_cbranch_execz .LBB87_10
; %bb.9:                                ;   in Loop: Header=BB87_4 Depth=2
	ds_read_b32 v81, v17 offset:16384
	s_waitcnt lgkmcnt(0)
	s_nop 0
	v_mov_b32_dpp v82, v81 row_shr:1 row_mask:0xf bank_mask:0xf
	v_cndmask_b32_e64 v82, v82, 0, s[20:21]
	v_add_u32_e32 v81, v82, v81
	s_nop 1
	v_mov_b32_dpp v82, v81 row_shr:2 row_mask:0xf bank_mask:0xf
	v_cndmask_b32_e64 v82, 0, v82, s[22:23]
	v_add_u32_e32 v81, v81, v82
	;; [unrolled: 4-line block ×3, first 2 shown]
	ds_write_b32 v17, v81 offset:16384
.LBB87_10:                              ;   in Loop: Header=BB87_4 Depth=2
	s_or_b64 exec, exec, s[34:35]
	v_mov_b32_e32 v81, 0
	s_waitcnt lgkmcnt(0)
	s_barrier
	s_and_saveexec_b64 s[34:35], s[16:17]
	s_cbranch_execz .LBB87_3
; %bb.11:                               ;   in Loop: Header=BB87_4 Depth=2
	ds_read_b32 v81, v12 offset:16380
	s_branch .LBB87_3
.LBB87_12:
	ds_read_u16 v0, v18
	ds_read_u16 v1, v20
	;; [unrolled: 1-line block ×8, first 2 shown]
	s_waitcnt lgkmcnt(7)
	v_add_u32_sdwa v0, v0, v13 dst_sel:DWORD dst_unused:UNUSED_PAD src0_sel:DWORD src1_sel:WORD_0
	s_waitcnt lgkmcnt(6)
	v_add_u32_sdwa v1, v1, v16 dst_sel:DWORD dst_unused:UNUSED_PAD src0_sel:DWORD src1_sel:WORD_0
	ds_read_u16 v8, v33
	ds_read_u16 v11, v36
	;; [unrolled: 1-line block ×8, first 2 shown]
	s_waitcnt lgkmcnt(13)
	v_add_u32_sdwa v2, v2, v19 dst_sel:DWORD dst_unused:UNUSED_PAD src0_sel:DWORD src1_sel:WORD_0
	s_waitcnt lgkmcnt(12)
	v_add_u32_sdwa v3, v3, v21 dst_sel:DWORD dst_unused:UNUSED_PAD src0_sel:DWORD src1_sel:WORD_0
	;; [unrolled: 2-line block ×5, first 2 shown]
	ds_read_u16 v8, v49
	ds_read_u16 v19, v52
	;; [unrolled: 1-line block ×8, first 2 shown]
	v_add_u32_sdwa v6, v6, v28 dst_sel:DWORD dst_unused:UNUSED_PAD src0_sel:DWORD src1_sel:WORD_0
	v_add_u32_sdwa v7, v7, v31 dst_sel:DWORD dst_unused:UNUSED_PAD src0_sel:DWORD src1_sel:WORD_0
	s_waitcnt lgkmcnt(14)
	v_add_u32_sdwa v11, v11, v30 dst_sel:DWORD dst_unused:UNUSED_PAD src0_sel:DWORD src1_sel:WORD_0
	s_waitcnt lgkmcnt(7)
	v_add_u32_sdwa v18, v8, v43 dst_sel:DWORD dst_unused:UNUSED_PAD src0_sel:DWORD src1_sel:WORD_0
	ds_read_u16 v8, v65
	ds_read_u16 v27, v68
	;; [unrolled: 1-line block ×8, first 2 shown]
	s_lshl_b64 s[0:1], s[28:29], 2
	s_add_u32 s0, s26, s0
	s_waitcnt lgkmcnt(7)
	v_add_u32_sdwa v26, v8, v59 dst_sel:DWORD dst_unused:UNUSED_PAD src0_sel:DWORD src1_sel:WORD_0
	s_addc_u32 s1, s27, s1
	v_lshlrev_b32_e32 v8, 2, v9
	v_add_u32_sdwa v12, v12, v34 dst_sel:DWORD dst_unused:UNUSED_PAD src0_sel:DWORD src1_sel:WORD_0
	v_add_u32_sdwa v13, v13, v37 dst_sel:DWORD dst_unused:UNUSED_PAD src0_sel:DWORD src1_sel:WORD_0
	;; [unrolled: 1-line block ×13, first 2 shown]
	s_waitcnt lgkmcnt(6)
	v_add_u32_sdwa v27, v27, v62 dst_sel:DWORD dst_unused:UNUSED_PAD src0_sel:DWORD src1_sel:WORD_0
	s_waitcnt lgkmcnt(5)
	v_add_u32_sdwa v28, v28, v66 dst_sel:DWORD dst_unused:UNUSED_PAD src0_sel:DWORD src1_sel:WORD_0
	s_waitcnt lgkmcnt(4)
	v_add_u32_sdwa v29, v29, v69 dst_sel:DWORD dst_unused:UNUSED_PAD src0_sel:DWORD src1_sel:WORD_0
	s_waitcnt lgkmcnt(3)
	v_add_u32_sdwa v30, v30, v71 dst_sel:DWORD dst_unused:UNUSED_PAD src0_sel:DWORD src1_sel:WORD_0
	s_waitcnt lgkmcnt(2)
	v_add_u32_sdwa v31, v31, v73 dst_sel:DWORD dst_unused:UNUSED_PAD src0_sel:DWORD src1_sel:WORD_0
	s_waitcnt lgkmcnt(1)
	v_add_u32_sdwa v32, v32, v75 dst_sel:DWORD dst_unused:UNUSED_PAD src0_sel:DWORD src1_sel:WORD_0
	s_waitcnt lgkmcnt(0)
	v_add_u32_sdwa v33, v33, v77 dst_sel:DWORD dst_unused:UNUSED_PAD src0_sel:DWORD src1_sel:WORD_0
	global_store_dwordx4 v8, v[0:3], s[0:1]
	global_store_dwordx4 v8, v[4:7], s[0:1] offset:16
	global_store_dwordx4 v8, v[10:13], s[0:1] offset:32
	;; [unrolled: 1-line block ×7, first 2 shown]
	s_endpgm
	.section	.rodata,"a",@progbits
	.p2align	6, 0x0
	.amdhsa_kernel _Z11rank_kernelIhLj4ELb0EL18RadixRankAlgorithm0ELj512ELj32ELj10EEvPKT_Pi
		.amdhsa_group_segment_fixed_size 16416
		.amdhsa_private_segment_fixed_size 0
		.amdhsa_kernarg_size 16
		.amdhsa_user_sgpr_count 6
		.amdhsa_user_sgpr_private_segment_buffer 1
		.amdhsa_user_sgpr_dispatch_ptr 0
		.amdhsa_user_sgpr_queue_ptr 0
		.amdhsa_user_sgpr_kernarg_segment_ptr 1
		.amdhsa_user_sgpr_dispatch_id 0
		.amdhsa_user_sgpr_flat_scratch_init 0
		.amdhsa_user_sgpr_private_segment_size 0
		.amdhsa_uses_dynamic_stack 0
		.amdhsa_system_sgpr_private_segment_wavefront_offset 0
		.amdhsa_system_sgpr_workgroup_id_x 1
		.amdhsa_system_sgpr_workgroup_id_y 0
		.amdhsa_system_sgpr_workgroup_id_z 0
		.amdhsa_system_sgpr_workgroup_info 0
		.amdhsa_system_vgpr_workitem_id 0
		.amdhsa_next_free_vgpr 90
		.amdhsa_next_free_sgpr 93
		.amdhsa_reserve_vcc 1
		.amdhsa_reserve_flat_scratch 0
		.amdhsa_float_round_mode_32 0
		.amdhsa_float_round_mode_16_64 0
		.amdhsa_float_denorm_mode_32 3
		.amdhsa_float_denorm_mode_16_64 3
		.amdhsa_dx10_clamp 1
		.amdhsa_ieee_mode 1
		.amdhsa_fp16_overflow 0
		.amdhsa_exception_fp_ieee_invalid_op 0
		.amdhsa_exception_fp_denorm_src 0
		.amdhsa_exception_fp_ieee_div_zero 0
		.amdhsa_exception_fp_ieee_overflow 0
		.amdhsa_exception_fp_ieee_underflow 0
		.amdhsa_exception_fp_ieee_inexact 0
		.amdhsa_exception_int_div_zero 0
	.end_amdhsa_kernel
	.section	.text._Z11rank_kernelIhLj4ELb0EL18RadixRankAlgorithm0ELj512ELj32ELj10EEvPKT_Pi,"axG",@progbits,_Z11rank_kernelIhLj4ELb0EL18RadixRankAlgorithm0ELj512ELj32ELj10EEvPKT_Pi,comdat
.Lfunc_end87:
	.size	_Z11rank_kernelIhLj4ELb0EL18RadixRankAlgorithm0ELj512ELj32ELj10EEvPKT_Pi, .Lfunc_end87-_Z11rank_kernelIhLj4ELb0EL18RadixRankAlgorithm0ELj512ELj32ELj10EEvPKT_Pi
                                        ; -- End function
	.set _Z11rank_kernelIhLj4ELb0EL18RadixRankAlgorithm0ELj512ELj32ELj10EEvPKT_Pi.num_vgpr, 90
	.set _Z11rank_kernelIhLj4ELb0EL18RadixRankAlgorithm0ELj512ELj32ELj10EEvPKT_Pi.num_agpr, 0
	.set _Z11rank_kernelIhLj4ELb0EL18RadixRankAlgorithm0ELj512ELj32ELj10EEvPKT_Pi.numbered_sgpr, 39
	.set _Z11rank_kernelIhLj4ELb0EL18RadixRankAlgorithm0ELj512ELj32ELj10EEvPKT_Pi.num_named_barrier, 0
	.set _Z11rank_kernelIhLj4ELb0EL18RadixRankAlgorithm0ELj512ELj32ELj10EEvPKT_Pi.private_seg_size, 0
	.set _Z11rank_kernelIhLj4ELb0EL18RadixRankAlgorithm0ELj512ELj32ELj10EEvPKT_Pi.uses_vcc, 1
	.set _Z11rank_kernelIhLj4ELb0EL18RadixRankAlgorithm0ELj512ELj32ELj10EEvPKT_Pi.uses_flat_scratch, 0
	.set _Z11rank_kernelIhLj4ELb0EL18RadixRankAlgorithm0ELj512ELj32ELj10EEvPKT_Pi.has_dyn_sized_stack, 0
	.set _Z11rank_kernelIhLj4ELb0EL18RadixRankAlgorithm0ELj512ELj32ELj10EEvPKT_Pi.has_recursion, 0
	.set _Z11rank_kernelIhLj4ELb0EL18RadixRankAlgorithm0ELj512ELj32ELj10EEvPKT_Pi.has_indirect_call, 0
	.section	.AMDGPU.csdata,"",@progbits
; Kernel info:
; codeLenInByte = 3320
; TotalNumSgprs: 43
; NumVgprs: 90
; ScratchSize: 0
; MemoryBound: 0
; FloatMode: 240
; IeeeMode: 1
; LDSByteSize: 16416 bytes/workgroup (compile time only)
; SGPRBlocks: 12
; VGPRBlocks: 22
; NumSGPRsForWavesPerEU: 97
; NumVGPRsForWavesPerEU: 90
; Occupancy: 2
; WaveLimiterHint : 0
; COMPUTE_PGM_RSRC2:SCRATCH_EN: 0
; COMPUTE_PGM_RSRC2:USER_SGPR: 6
; COMPUTE_PGM_RSRC2:TRAP_HANDLER: 0
; COMPUTE_PGM_RSRC2:TGID_X_EN: 1
; COMPUTE_PGM_RSRC2:TGID_Y_EN: 0
; COMPUTE_PGM_RSRC2:TGID_Z_EN: 0
; COMPUTE_PGM_RSRC2:TIDIG_COMP_CNT: 0
	.section	.text._Z11rank_kernelIhLj4ELb0EL18RadixRankAlgorithm1ELj512ELj32ELj10EEvPKT_Pi,"axG",@progbits,_Z11rank_kernelIhLj4ELb0EL18RadixRankAlgorithm1ELj512ELj32ELj10EEvPKT_Pi,comdat
	.protected	_Z11rank_kernelIhLj4ELb0EL18RadixRankAlgorithm1ELj512ELj32ELj10EEvPKT_Pi ; -- Begin function _Z11rank_kernelIhLj4ELb0EL18RadixRankAlgorithm1ELj512ELj32ELj10EEvPKT_Pi
	.globl	_Z11rank_kernelIhLj4ELb0EL18RadixRankAlgorithm1ELj512ELj32ELj10EEvPKT_Pi
	.p2align	8
	.type	_Z11rank_kernelIhLj4ELb0EL18RadixRankAlgorithm1ELj512ELj32ELj10EEvPKT_Pi,@function
_Z11rank_kernelIhLj4ELb0EL18RadixRankAlgorithm1ELj512ELj32ELj10EEvPKT_Pi: ; @_Z11rank_kernelIhLj4ELb0EL18RadixRankAlgorithm1ELj512ELj32ELj10EEvPKT_Pi
; %bb.0:
	s_load_dwordx4 s[24:27], s[4:5], 0x0
	s_lshl_b32 s28, s6, 14
	v_lshlrev_b32_e32 v17, 5, v0
	v_mbcnt_lo_u32_b32 v9, -1, 0
	v_mbcnt_hi_u32_b32 v9, -1, v9
	s_waitcnt lgkmcnt(0)
	s_add_u32 s0, s24, s28
	s_addc_u32 s1, s25, 0
	global_load_dwordx4 v[1:4], v17, s[0:1]
	global_load_dwordx4 v[5:8], v17, s[0:1] offset:16
	v_and_b32_e32 v10, 15, v9
	v_cmp_eq_u32_e64 s[0:1], 0, v10
	v_cmp_lt_u32_e64 s[2:3], 1, v10
	v_cmp_lt_u32_e64 s[4:5], 3, v10
	;; [unrolled: 1-line block ×3, first 2 shown]
	v_and_b32_e32 v10, 16, v9
	v_cmp_eq_u32_e64 s[8:9], 0, v10
	v_or_b32_e32 v10, 63, v0
	v_cmp_eq_u32_e64 s[12:13], v0, v10
	v_subrev_co_u32_e64 v10, s[18:19], 1, v9
	v_and_b32_e32 v11, 64, v9
	v_cmp_lt_i32_e32 vcc, v10, v11
	v_cndmask_b32_e32 v10, v10, v9, vcc
	v_lshlrev_b32_e32 v19, 2, v10
	v_lshrrev_b32_e32 v10, 4, v0
	s_mov_b32 s29, 0
	v_cmp_lt_u32_e64 s[10:11], 31, v9
	v_and_b32_e32 v20, 28, v10
	v_mul_i32_i24_e32 v10, 0xffffffe4, v0
	v_and_b32_e32 v9, 7, v9
	v_mov_b32_e32 v18, 0
	v_cmp_gt_u32_e64 s[14:15], 8, v0
	v_cmp_lt_u32_e64 s[16:17], 63, v0
	v_cmp_eq_u32_e64 s[20:21], 0, v9
	v_cmp_lt_u32_e64 s[22:23], 1, v9
	v_cmp_lt_u32_e64 s[24:25], 3, v9
	v_lshlrev_b32_e32 v22, 2, v0
	v_or_b32_e32 v23, 0xfffffe00, v0
	s_movk_i32 s33, 0xdff
	s_movk_i32 s36, 0xe00
	v_add_u32_e32 v25, v17, v10
	s_mov_b32 s37, s29
	s_branch .LBB88_2
.LBB88_1:                               ;   in Loop: Header=BB88_2 Depth=1
	s_add_i32 s37, s37, 1
	s_cmp_eq_u32 s37, 10
	s_cbranch_scc1 .LBB88_12
.LBB88_2:                               ; =>This Loop Header: Depth=1
                                        ;     Child Loop BB88_4 Depth 2
                                        ;       Child Loop BB88_5 Depth 3
	s_mov_b64 s[30:31], -1
	s_mov_b32 s38, 28
	s_branch .LBB88_4
.LBB88_3:                               ;   in Loop: Header=BB88_4 Depth=2
	s_or_b64 exec, exec, s[34:35]
	s_waitcnt lgkmcnt(0)
	v_add_u32_e32 v12, v88, v12
	ds_bpermute_b32 v12, v19, v12
	ds_read_b32 v89, v18 offset:16412
	s_mov_b32 s38, 24
	s_andn2_b64 vcc, exec, s[30:31]
	s_mov_b64 s[30:31], 0
	s_waitcnt lgkmcnt(1)
	v_cndmask_b32_e64 v12, v12, v88, s[18:19]
	s_waitcnt lgkmcnt(0)
	v_lshl_add_u32 v12, v89, 16, v12
	v_add_u32_e32 v13, v12, v13
	v_add_u32_e32 v14, v13, v14
	;; [unrolled: 1-line block ×7, first 2 shown]
	ds_write2_b64 v17, v[12:13], v[14:15] offset1:1
	ds_write2_b64 v17, v[88:89], v[9:10] offset0:2 offset1:3
	s_waitcnt lgkmcnt(0)
	s_barrier
	s_cbranch_vccz .LBB88_1
.LBB88_4:                               ;   Parent Loop BB88_2 Depth=1
                                        ; =>  This Loop Header: Depth=2
                                        ;       Child Loop BB88_5 Depth 3
	s_xor_b64 s[30:31], s[30:31], -1
	s_mov_b64 s[34:35], 0
	v_mov_b32_e32 v9, v23
	v_mov_b32_e32 v10, v22
.LBB88_5:                               ;   Parent Loop BB88_2 Depth=1
                                        ;     Parent Loop BB88_4 Depth=2
                                        ; =>    This Inner Loop Header: Depth=3
	v_add_u32_e32 v9, 0x200, v9
	v_cmp_lt_u32_e32 vcc, s33, v9
	ds_write_b32 v10, v18
	s_or_b64 s[34:35], vcc, s[34:35]
	v_add_u32_e32 v10, 0x800, v10
	s_andn2_b64 exec, exec, s[34:35]
	s_cbranch_execnz .LBB88_5
; %bb.6:                                ;   in Loop: Header=BB88_4 Depth=2
	s_or_b64 exec, exec, s[34:35]
	s_waitcnt vmcnt(1)
	v_lshlrev_b32_sdwa v9, s38, v1 dst_sel:DWORD dst_unused:UNUSED_PAD src0_sel:DWORD src1_sel:BYTE_0
	v_lshrrev_b32_e32 v10, 19, v9
	v_and_or_b32 v10, v10, s36, v0
	v_alignbit_b32 v9, v10, v9, 31
	v_lshlrev_b32_e32 v26, 1, v9
	ds_read_u16 v21, v26
	v_lshlrev_b32_sdwa v9, s38, v1 dst_sel:DWORD dst_unused:UNUSED_PAD src0_sel:DWORD src1_sel:BYTE_1
	v_lshrrev_b32_e32 v10, 19, v9
	v_and_or_b32 v10, v10, s36, v0
	v_alignbit_b32 v9, v10, v9, 31
	s_waitcnt lgkmcnt(0)
	v_add_u16_e32 v10, 1, v21
	ds_write_b16 v26, v10
	v_lshlrev_b32_e32 v28, 1, v9
	ds_read_u16 v24, v28
	v_lshlrev_b32_sdwa v9, s38, v1 dst_sel:DWORD dst_unused:UNUSED_PAD src0_sel:DWORD src1_sel:BYTE_2
	v_lshrrev_b32_e32 v10, 19, v9
	v_and_or_b32 v10, v10, s36, v0
	v_alignbit_b32 v9, v10, v9, 31
	s_waitcnt lgkmcnt(0)
	v_add_u16_e32 v11, 1, v24
	ds_write_b16 v28, v11
	v_lshlrev_b32_e32 v30, 1, v9
	ds_read_u16 v27, v30
	v_lshlrev_b32_sdwa v9, s38, v1 dst_sel:DWORD dst_unused:UNUSED_PAD src0_sel:DWORD src1_sel:BYTE_3
	v_lshrrev_b32_e32 v10, 19, v9
	v_and_or_b32 v10, v10, s36, v0
	v_alignbit_b32 v9, v10, v9, 31
	s_waitcnt lgkmcnt(0)
	v_add_u16_e32 v11, 1, v27
	ds_write_b16 v30, v11
	v_lshlrev_b32_e32 v32, 1, v9
	ds_read_u16 v29, v32
	v_lshlrev_b32_sdwa v9, s38, v2 dst_sel:DWORD dst_unused:UNUSED_PAD src0_sel:DWORD src1_sel:BYTE_0
	s_waitcnt lgkmcnt(0)
	v_add_u16_e32 v10, 1, v29
	ds_write_b16 v32, v10
	v_lshrrev_b32_e32 v10, 19, v9
	v_and_or_b32 v10, v10, s36, v0
	v_alignbit_b32 v9, v10, v9, 31
	v_lshlrev_b32_e32 v34, 1, v9
	ds_read_u16 v31, v34
	s_waitcnt lgkmcnt(0)
	v_add_u16_e32 v9, 1, v31
	ds_write_b16 v34, v9
	v_lshlrev_b32_sdwa v9, s38, v2 dst_sel:DWORD dst_unused:UNUSED_PAD src0_sel:DWORD src1_sel:BYTE_1
	v_lshrrev_b32_e32 v10, 19, v9
	v_and_or_b32 v10, v10, s36, v0
	v_alignbit_b32 v9, v10, v9, 31
	v_lshlrev_b32_e32 v37, 1, v9
	ds_read_u16 v33, v37
	s_waitcnt lgkmcnt(0)
	v_add_u16_e32 v9, 1, v33
	ds_write_b16 v37, v9
	v_lshlrev_b32_sdwa v9, s38, v2 dst_sel:DWORD dst_unused:UNUSED_PAD src0_sel:DWORD src1_sel:BYTE_2
	v_lshrrev_b32_e32 v10, 19, v9
	v_and_or_b32 v10, v10, s36, v0
	v_alignbit_b32 v9, v10, v9, 31
	v_lshlrev_b32_e32 v40, 1, v9
	ds_read_u16 v36, v40
	s_waitcnt lgkmcnt(0)
	v_add_u16_e32 v9, 1, v36
	ds_write_b16 v40, v9
	v_lshlrev_b32_sdwa v9, s38, v2 dst_sel:DWORD dst_unused:UNUSED_PAD src0_sel:DWORD src1_sel:BYTE_3
	v_lshrrev_b32_e32 v10, 19, v9
	v_and_or_b32 v10, v10, s36, v0
	v_alignbit_b32 v9, v10, v9, 31
	v_lshlrev_b32_e32 v43, 1, v9
	ds_read_u16 v39, v43
	s_waitcnt lgkmcnt(0)
	v_add_u16_e32 v9, 1, v39
	ds_write_b16 v43, v9
	v_lshlrev_b32_sdwa v9, s38, v3 dst_sel:DWORD dst_unused:UNUSED_PAD src0_sel:DWORD src1_sel:BYTE_0
	v_lshrrev_b32_e32 v10, 19, v9
	v_and_or_b32 v10, v10, s36, v0
	v_alignbit_b32 v9, v10, v9, 31
	v_lshlrev_b32_e32 v41, 1, v9
	ds_read_u16 v35, v41
	s_waitcnt lgkmcnt(0)
	v_add_u16_e32 v9, 1, v35
	ds_write_b16 v41, v9
	v_lshlrev_b32_sdwa v9, s38, v3 dst_sel:DWORD dst_unused:UNUSED_PAD src0_sel:DWORD src1_sel:BYTE_1
	v_lshrrev_b32_e32 v10, 19, v9
	v_and_or_b32 v10, v10, s36, v0
	v_alignbit_b32 v9, v10, v9, 31
	v_lshlrev_b32_e32 v44, 1, v9
	ds_read_u16 v38, v44
	s_waitcnt lgkmcnt(0)
	v_add_u16_e32 v9, 1, v38
	ds_write_b16 v44, v9
	v_lshlrev_b32_sdwa v9, s38, v3 dst_sel:DWORD dst_unused:UNUSED_PAD src0_sel:DWORD src1_sel:BYTE_2
	v_lshrrev_b32_e32 v10, 19, v9
	v_and_or_b32 v10, v10, s36, v0
	v_alignbit_b32 v9, v10, v9, 31
	v_lshlrev_b32_e32 v46, 1, v9
	ds_read_u16 v42, v46
	s_waitcnt lgkmcnt(0)
	v_add_u16_e32 v9, 1, v42
	ds_write_b16 v46, v9
	v_lshlrev_b32_sdwa v9, s38, v3 dst_sel:DWORD dst_unused:UNUSED_PAD src0_sel:DWORD src1_sel:BYTE_3
	v_lshrrev_b32_e32 v10, 19, v9
	v_and_or_b32 v10, v10, s36, v0
	v_alignbit_b32 v9, v10, v9, 31
	v_lshlrev_b32_e32 v48, 1, v9
	ds_read_u16 v45, v48
	s_waitcnt lgkmcnt(0)
	v_add_u16_e32 v9, 1, v45
	ds_write_b16 v48, v9
	v_lshlrev_b32_sdwa v9, s38, v4 dst_sel:DWORD dst_unused:UNUSED_PAD src0_sel:DWORD src1_sel:BYTE_0
	v_lshrrev_b32_e32 v10, 19, v9
	v_and_or_b32 v10, v10, s36, v0
	v_alignbit_b32 v9, v10, v9, 31
	v_lshlrev_b32_e32 v50, 1, v9
	ds_read_u16 v47, v50
	s_waitcnt lgkmcnt(0)
	v_add_u16_e32 v9, 1, v47
	ds_write_b16 v50, v9
	v_lshlrev_b32_sdwa v9, s38, v4 dst_sel:DWORD dst_unused:UNUSED_PAD src0_sel:DWORD src1_sel:BYTE_1
	v_lshrrev_b32_e32 v10, 19, v9
	v_and_or_b32 v10, v10, s36, v0
	v_alignbit_b32 v9, v10, v9, 31
	v_lshlrev_b32_e32 v53, 1, v9
	ds_read_u16 v49, v53
	s_waitcnt lgkmcnt(0)
	v_add_u16_e32 v9, 1, v49
	ds_write_b16 v53, v9
	v_lshlrev_b32_sdwa v9, s38, v4 dst_sel:DWORD dst_unused:UNUSED_PAD src0_sel:DWORD src1_sel:BYTE_2
	v_lshrrev_b32_e32 v10, 19, v9
	v_and_or_b32 v10, v10, s36, v0
	v_alignbit_b32 v9, v10, v9, 31
	v_lshlrev_b32_e32 v56, 1, v9
	ds_read_u16 v52, v56
	s_waitcnt lgkmcnt(0)
	v_add_u16_e32 v9, 1, v52
	ds_write_b16 v56, v9
	v_lshlrev_b32_sdwa v9, s38, v4 dst_sel:DWORD dst_unused:UNUSED_PAD src0_sel:DWORD src1_sel:BYTE_3
	v_lshrrev_b32_e32 v10, 19, v9
	v_and_or_b32 v10, v10, s36, v0
	v_alignbit_b32 v9, v10, v9, 31
	v_lshlrev_b32_e32 v59, 1, v9
	ds_read_u16 v55, v59
	s_waitcnt lgkmcnt(0)
	v_add_u16_e32 v9, 1, v55
	ds_write_b16 v59, v9
	s_waitcnt vmcnt(0)
	v_lshlrev_b32_sdwa v9, s38, v5 dst_sel:DWORD dst_unused:UNUSED_PAD src0_sel:DWORD src1_sel:BYTE_0
	v_lshrrev_b32_e32 v10, 19, v9
	v_and_or_b32 v10, v10, s36, v0
	v_alignbit_b32 v9, v10, v9, 31
	v_lshlrev_b32_e32 v57, 1, v9
	ds_read_u16 v51, v57
	s_waitcnt lgkmcnt(0)
	v_add_u16_e32 v9, 1, v51
	ds_write_b16 v57, v9
	v_lshlrev_b32_sdwa v9, s38, v5 dst_sel:DWORD dst_unused:UNUSED_PAD src0_sel:DWORD src1_sel:BYTE_1
	v_lshrrev_b32_e32 v10, 19, v9
	v_and_or_b32 v10, v10, s36, v0
	v_alignbit_b32 v9, v10, v9, 31
	v_lshlrev_b32_e32 v60, 1, v9
	ds_read_u16 v54, v60
	s_waitcnt lgkmcnt(0)
	v_add_u16_e32 v9, 1, v54
	ds_write_b16 v60, v9
	v_lshlrev_b32_sdwa v9, s38, v5 dst_sel:DWORD dst_unused:UNUSED_PAD src0_sel:DWORD src1_sel:BYTE_2
	v_lshrrev_b32_e32 v10, 19, v9
	v_and_or_b32 v10, v10, s36, v0
	v_alignbit_b32 v9, v10, v9, 31
	v_lshlrev_b32_e32 v62, 1, v9
	ds_read_u16 v58, v62
	s_waitcnt lgkmcnt(0)
	v_add_u16_e32 v9, 1, v58
	ds_write_b16 v62, v9
	v_lshlrev_b32_sdwa v9, s38, v5 dst_sel:DWORD dst_unused:UNUSED_PAD src0_sel:DWORD src1_sel:BYTE_3
	v_lshrrev_b32_e32 v10, 19, v9
	v_and_or_b32 v10, v10, s36, v0
	v_alignbit_b32 v9, v10, v9, 31
	v_lshlrev_b32_e32 v64, 1, v9
	ds_read_u16 v61, v64
	s_waitcnt lgkmcnt(0)
	v_add_u16_e32 v9, 1, v61
	ds_write_b16 v64, v9
	v_lshlrev_b32_sdwa v9, s38, v6 dst_sel:DWORD dst_unused:UNUSED_PAD src0_sel:DWORD src1_sel:BYTE_0
	v_lshrrev_b32_e32 v10, 19, v9
	v_and_or_b32 v10, v10, s36, v0
	v_alignbit_b32 v9, v10, v9, 31
	v_lshlrev_b32_e32 v66, 1, v9
	ds_read_u16 v63, v66
	s_waitcnt lgkmcnt(0)
	v_add_u16_e32 v9, 1, v63
	ds_write_b16 v66, v9
	v_lshlrev_b32_sdwa v9, s38, v6 dst_sel:DWORD dst_unused:UNUSED_PAD src0_sel:DWORD src1_sel:BYTE_1
	v_lshrrev_b32_e32 v10, 19, v9
	v_and_or_b32 v10, v10, s36, v0
	v_alignbit_b32 v9, v10, v9, 31
	v_lshlrev_b32_e32 v69, 1, v9
	ds_read_u16 v65, v69
	s_waitcnt lgkmcnt(0)
	v_add_u16_e32 v9, 1, v65
	ds_write_b16 v69, v9
	v_lshlrev_b32_sdwa v9, s38, v6 dst_sel:DWORD dst_unused:UNUSED_PAD src0_sel:DWORD src1_sel:BYTE_2
	v_lshrrev_b32_e32 v10, 19, v9
	v_and_or_b32 v10, v10, s36, v0
	v_alignbit_b32 v9, v10, v9, 31
	v_lshlrev_b32_e32 v72, 1, v9
	ds_read_u16 v68, v72
	s_waitcnt lgkmcnt(0)
	v_add_u16_e32 v9, 1, v68
	ds_write_b16 v72, v9
	v_lshlrev_b32_sdwa v9, s38, v6 dst_sel:DWORD dst_unused:UNUSED_PAD src0_sel:DWORD src1_sel:BYTE_3
	v_lshrrev_b32_e32 v10, 19, v9
	v_and_or_b32 v10, v10, s36, v0
	v_alignbit_b32 v9, v10, v9, 31
	v_lshlrev_b32_e32 v75, 1, v9
	ds_read_u16 v71, v75
	s_waitcnt lgkmcnt(0)
	v_add_u16_e32 v9, 1, v71
	ds_write_b16 v75, v9
	v_lshlrev_b32_sdwa v9, s38, v7 dst_sel:DWORD dst_unused:UNUSED_PAD src0_sel:DWORD src1_sel:BYTE_0
	v_lshrrev_b32_e32 v10, 19, v9
	v_and_or_b32 v10, v10, s36, v0
	v_alignbit_b32 v9, v10, v9, 31
	v_lshlrev_b32_e32 v73, 1, v9
	ds_read_u16 v67, v73
	s_waitcnt lgkmcnt(0)
	v_add_u16_e32 v9, 1, v67
	ds_write_b16 v73, v9
	v_lshlrev_b32_sdwa v9, s38, v7 dst_sel:DWORD dst_unused:UNUSED_PAD src0_sel:DWORD src1_sel:BYTE_1
	v_lshrrev_b32_e32 v10, 19, v9
	v_and_or_b32 v10, v10, s36, v0
	v_alignbit_b32 v9, v10, v9, 31
	v_lshlrev_b32_e32 v76, 1, v9
	ds_read_u16 v70, v76
	s_waitcnt lgkmcnt(0)
	v_add_u16_e32 v9, 1, v70
	ds_write_b16 v76, v9
	v_lshlrev_b32_sdwa v9, s38, v7 dst_sel:DWORD dst_unused:UNUSED_PAD src0_sel:DWORD src1_sel:BYTE_2
	v_lshrrev_b32_e32 v10, 19, v9
	v_and_or_b32 v10, v10, s36, v0
	v_alignbit_b32 v9, v10, v9, 31
	v_lshlrev_b32_e32 v78, 1, v9
	ds_read_u16 v74, v78
	s_waitcnt lgkmcnt(0)
	v_add_u16_e32 v9, 1, v74
	ds_write_b16 v78, v9
	v_lshlrev_b32_sdwa v9, s38, v7 dst_sel:DWORD dst_unused:UNUSED_PAD src0_sel:DWORD src1_sel:BYTE_3
	v_lshrrev_b32_e32 v10, 19, v9
	v_and_or_b32 v10, v10, s36, v0
	v_alignbit_b32 v9, v10, v9, 31
	v_lshlrev_b32_e32 v80, 1, v9
	ds_read_u16 v77, v80
	s_waitcnt lgkmcnt(0)
	v_add_u16_e32 v9, 1, v77
	ds_write_b16 v80, v9
	v_lshlrev_b32_sdwa v9, s38, v8 dst_sel:DWORD dst_unused:UNUSED_PAD src0_sel:DWORD src1_sel:BYTE_0
	v_lshrrev_b32_e32 v10, 19, v9
	v_and_or_b32 v10, v10, s36, v0
	v_alignbit_b32 v9, v10, v9, 31
	v_lshlrev_b32_e32 v82, 1, v9
	ds_read_u16 v79, v82
	s_waitcnt lgkmcnt(0)
	v_add_u16_e32 v9, 1, v79
	ds_write_b16 v82, v9
	v_lshlrev_b32_sdwa v9, s38, v8 dst_sel:DWORD dst_unused:UNUSED_PAD src0_sel:DWORD src1_sel:BYTE_1
	v_lshrrev_b32_e32 v10, 19, v9
	v_and_or_b32 v10, v10, s36, v0
	v_alignbit_b32 v9, v10, v9, 31
	v_lshlrev_b32_e32 v84, 1, v9
	ds_read_u16 v81, v84
	s_waitcnt lgkmcnt(0)
	v_add_u16_e32 v9, 1, v81
	ds_write_b16 v84, v9
	v_lshlrev_b32_sdwa v9, s38, v8 dst_sel:DWORD dst_unused:UNUSED_PAD src0_sel:DWORD src1_sel:BYTE_2
	v_lshrrev_b32_e32 v10, 19, v9
	v_and_or_b32 v10, v10, s36, v0
	v_alignbit_b32 v9, v10, v9, 31
	v_lshlrev_b32_e32 v86, 1, v9
	ds_read_u16 v83, v86
	s_waitcnt lgkmcnt(0)
	v_add_u16_e32 v9, 1, v83
	ds_write_b16 v86, v9
	v_lshlrev_b32_sdwa v9, s38, v8 dst_sel:DWORD dst_unused:UNUSED_PAD src0_sel:DWORD src1_sel:BYTE_3
	v_lshrrev_b32_e32 v10, 19, v9
	v_and_or_b32 v10, v10, s36, v0
	v_alignbit_b32 v9, v10, v9, 31
	v_lshlrev_b32_e32 v87, 1, v9
	ds_read_u16 v85, v87
	s_waitcnt lgkmcnt(0)
	v_add_u16_e32 v9, 1, v85
	ds_write_b16 v87, v9
	s_waitcnt lgkmcnt(0)
	s_barrier
	ds_read2_b64 v[13:16], v17 offset1:1
	ds_read2_b64 v[9:12], v17 offset0:2 offset1:3
	s_waitcnt lgkmcnt(1)
	v_add_u32_e32 v88, v14, v13
	v_add3_u32 v88, v88, v15, v16
	s_waitcnt lgkmcnt(0)
	v_add3_u32 v88, v88, v9, v10
	v_add3_u32 v12, v88, v11, v12
	s_nop 1
	v_mov_b32_dpp v88, v12 row_shr:1 row_mask:0xf bank_mask:0xf
	v_cndmask_b32_e64 v88, v88, 0, s[0:1]
	v_add_u32_e32 v12, v88, v12
	s_nop 1
	v_mov_b32_dpp v88, v12 row_shr:2 row_mask:0xf bank_mask:0xf
	v_cndmask_b32_e64 v88, 0, v88, s[2:3]
	v_add_u32_e32 v12, v12, v88
	;; [unrolled: 4-line block ×4, first 2 shown]
	s_nop 1
	v_mov_b32_dpp v88, v12 row_bcast:15 row_mask:0xf bank_mask:0xf
	v_cndmask_b32_e64 v88, v88, 0, s[8:9]
	v_add_u32_e32 v12, v12, v88
	s_nop 1
	v_mov_b32_dpp v88, v12 row_bcast:31 row_mask:0xf bank_mask:0xf
	v_cndmask_b32_e64 v88, 0, v88, s[10:11]
	v_add_u32_e32 v12, v12, v88
	s_and_saveexec_b64 s[34:35], s[12:13]
; %bb.7:                                ;   in Loop: Header=BB88_4 Depth=2
	ds_write_b32 v20, v12 offset:16384
; %bb.8:                                ;   in Loop: Header=BB88_4 Depth=2
	s_or_b64 exec, exec, s[34:35]
	s_waitcnt lgkmcnt(0)
	s_barrier
	s_and_saveexec_b64 s[34:35], s[14:15]
	s_cbranch_execz .LBB88_10
; %bb.9:                                ;   in Loop: Header=BB88_4 Depth=2
	ds_read_b32 v88, v25 offset:16384
	s_waitcnt lgkmcnt(0)
	s_nop 0
	v_mov_b32_dpp v89, v88 row_shr:1 row_mask:0xf bank_mask:0xf
	v_cndmask_b32_e64 v89, v89, 0, s[20:21]
	v_add_u32_e32 v88, v89, v88
	s_nop 1
	v_mov_b32_dpp v89, v88 row_shr:2 row_mask:0xf bank_mask:0xf
	v_cndmask_b32_e64 v89, 0, v89, s[22:23]
	v_add_u32_e32 v88, v88, v89
	;; [unrolled: 4-line block ×3, first 2 shown]
	ds_write_b32 v25, v88 offset:16384
.LBB88_10:                              ;   in Loop: Header=BB88_4 Depth=2
	s_or_b64 exec, exec, s[34:35]
	v_mov_b32_e32 v88, 0
	s_waitcnt lgkmcnt(0)
	s_barrier
	s_and_saveexec_b64 s[34:35], s[16:17]
	s_cbranch_execz .LBB88_3
; %bb.11:                               ;   in Loop: Header=BB88_4 Depth=2
	ds_read_b32 v88, v20 offset:16380
	s_branch .LBB88_3
.LBB88_12:
	ds_read_u16 v0, v26
	ds_read_u16 v1, v28
	;; [unrolled: 1-line block ×8, first 2 shown]
	s_waitcnt lgkmcnt(7)
	v_add_u32_sdwa v0, v0, v21 dst_sel:DWORD dst_unused:UNUSED_PAD src0_sel:DWORD src1_sel:WORD_0
	s_waitcnt lgkmcnt(6)
	v_add_u32_sdwa v1, v1, v24 dst_sel:DWORD dst_unused:UNUSED_PAD src0_sel:DWORD src1_sel:WORD_0
	ds_read_u16 v8, v41
	ds_read_u16 v9, v44
	ds_read_u16 v10, v46
	ds_read_u16 v11, v48
	ds_read_u16 v12, v50
	ds_read_u16 v13, v53
	ds_read_u16 v14, v56
	ds_read_u16 v15, v59
	ds_read_u16 v16, v57
	ds_read_u16 v19, v60
	ds_read_u16 v20, v62
	ds_read_u16 v21, v64
	ds_read_u16 v22, v66
	ds_read_u16 v23, v69
	ds_read_u16 v24, v72
	ds_read_u16 v25, v75
	s_waitcnt lgkmcnt(14)
	v_add_u32_sdwa v2, v2, v27 dst_sel:DWORD dst_unused:UNUSED_PAD src0_sel:DWORD src1_sel:WORD_0
	v_add_u32_sdwa v3, v3, v29 dst_sel:DWORD dst_unused:UNUSED_PAD src0_sel:DWORD src1_sel:WORD_0
	;; [unrolled: 1-line block ×4, first 2 shown]
	s_waitcnt lgkmcnt(7)
	v_add_u32_sdwa v18, v16, v51 dst_sel:DWORD dst_unused:UNUSED_PAD src0_sel:DWORD src1_sel:WORD_0
	ds_read_u16 v16, v73
	ds_read_u16 v27, v76
	;; [unrolled: 1-line block ×8, first 2 shown]
	s_lshl_b64 s[0:1], s[28:29], 2
	s_add_u32 s0, s26, s0
	s_waitcnt lgkmcnt(7)
	v_add_u32_sdwa v26, v16, v67 dst_sel:DWORD dst_unused:UNUSED_PAD src0_sel:DWORD src1_sel:WORD_0
	s_addc_u32 s1, s27, s1
	v_lshlrev_b32_e32 v16, 2, v17
	v_add_u32_sdwa v6, v6, v36 dst_sel:DWORD dst_unused:UNUSED_PAD src0_sel:DWORD src1_sel:WORD_0
	v_add_u32_sdwa v7, v7, v39 dst_sel:DWORD dst_unused:UNUSED_PAD src0_sel:DWORD src1_sel:WORD_0
	;; [unrolled: 1-line block ×17, first 2 shown]
	s_waitcnt lgkmcnt(6)
	v_add_u32_sdwa v27, v27, v70 dst_sel:DWORD dst_unused:UNUSED_PAD src0_sel:DWORD src1_sel:WORD_0
	s_waitcnt lgkmcnt(5)
	v_add_u32_sdwa v28, v28, v74 dst_sel:DWORD dst_unused:UNUSED_PAD src0_sel:DWORD src1_sel:WORD_0
	;; [unrolled: 2-line block ×7, first 2 shown]
	global_store_dwordx4 v16, v[0:3], s[0:1]
	global_store_dwordx4 v16, v[4:7], s[0:1] offset:16
	global_store_dwordx4 v16, v[8:11], s[0:1] offset:32
	;; [unrolled: 1-line block ×7, first 2 shown]
	s_endpgm
	.section	.rodata,"a",@progbits
	.p2align	6, 0x0
	.amdhsa_kernel _Z11rank_kernelIhLj4ELb0EL18RadixRankAlgorithm1ELj512ELj32ELj10EEvPKT_Pi
		.amdhsa_group_segment_fixed_size 16416
		.amdhsa_private_segment_fixed_size 0
		.amdhsa_kernarg_size 16
		.amdhsa_user_sgpr_count 6
		.amdhsa_user_sgpr_private_segment_buffer 1
		.amdhsa_user_sgpr_dispatch_ptr 0
		.amdhsa_user_sgpr_queue_ptr 0
		.amdhsa_user_sgpr_kernarg_segment_ptr 1
		.amdhsa_user_sgpr_dispatch_id 0
		.amdhsa_user_sgpr_flat_scratch_init 0
		.amdhsa_user_sgpr_private_segment_size 0
		.amdhsa_uses_dynamic_stack 0
		.amdhsa_system_sgpr_private_segment_wavefront_offset 0
		.amdhsa_system_sgpr_workgroup_id_x 1
		.amdhsa_system_sgpr_workgroup_id_y 0
		.amdhsa_system_sgpr_workgroup_id_z 0
		.amdhsa_system_sgpr_workgroup_info 0
		.amdhsa_system_vgpr_workitem_id 0
		.amdhsa_next_free_vgpr 90
		.amdhsa_next_free_sgpr 93
		.amdhsa_reserve_vcc 1
		.amdhsa_reserve_flat_scratch 0
		.amdhsa_float_round_mode_32 0
		.amdhsa_float_round_mode_16_64 0
		.amdhsa_float_denorm_mode_32 3
		.amdhsa_float_denorm_mode_16_64 3
		.amdhsa_dx10_clamp 1
		.amdhsa_ieee_mode 1
		.amdhsa_fp16_overflow 0
		.amdhsa_exception_fp_ieee_invalid_op 0
		.amdhsa_exception_fp_denorm_src 0
		.amdhsa_exception_fp_ieee_div_zero 0
		.amdhsa_exception_fp_ieee_overflow 0
		.amdhsa_exception_fp_ieee_underflow 0
		.amdhsa_exception_fp_ieee_inexact 0
		.amdhsa_exception_int_div_zero 0
	.end_amdhsa_kernel
	.section	.text._Z11rank_kernelIhLj4ELb0EL18RadixRankAlgorithm1ELj512ELj32ELj10EEvPKT_Pi,"axG",@progbits,_Z11rank_kernelIhLj4ELb0EL18RadixRankAlgorithm1ELj512ELj32ELj10EEvPKT_Pi,comdat
.Lfunc_end88:
	.size	_Z11rank_kernelIhLj4ELb0EL18RadixRankAlgorithm1ELj512ELj32ELj10EEvPKT_Pi, .Lfunc_end88-_Z11rank_kernelIhLj4ELb0EL18RadixRankAlgorithm1ELj512ELj32ELj10EEvPKT_Pi
                                        ; -- End function
	.set _Z11rank_kernelIhLj4ELb0EL18RadixRankAlgorithm1ELj512ELj32ELj10EEvPKT_Pi.num_vgpr, 90
	.set _Z11rank_kernelIhLj4ELb0EL18RadixRankAlgorithm1ELj512ELj32ELj10EEvPKT_Pi.num_agpr, 0
	.set _Z11rank_kernelIhLj4ELb0EL18RadixRankAlgorithm1ELj512ELj32ELj10EEvPKT_Pi.numbered_sgpr, 39
	.set _Z11rank_kernelIhLj4ELb0EL18RadixRankAlgorithm1ELj512ELj32ELj10EEvPKT_Pi.num_named_barrier, 0
	.set _Z11rank_kernelIhLj4ELb0EL18RadixRankAlgorithm1ELj512ELj32ELj10EEvPKT_Pi.private_seg_size, 0
	.set _Z11rank_kernelIhLj4ELb0EL18RadixRankAlgorithm1ELj512ELj32ELj10EEvPKT_Pi.uses_vcc, 1
	.set _Z11rank_kernelIhLj4ELb0EL18RadixRankAlgorithm1ELj512ELj32ELj10EEvPKT_Pi.uses_flat_scratch, 0
	.set _Z11rank_kernelIhLj4ELb0EL18RadixRankAlgorithm1ELj512ELj32ELj10EEvPKT_Pi.has_dyn_sized_stack, 0
	.set _Z11rank_kernelIhLj4ELb0EL18RadixRankAlgorithm1ELj512ELj32ELj10EEvPKT_Pi.has_recursion, 0
	.set _Z11rank_kernelIhLj4ELb0EL18RadixRankAlgorithm1ELj512ELj32ELj10EEvPKT_Pi.has_indirect_call, 0
	.section	.AMDGPU.csdata,"",@progbits
; Kernel info:
; codeLenInByte = 3264
; TotalNumSgprs: 43
; NumVgprs: 90
; ScratchSize: 0
; MemoryBound: 0
; FloatMode: 240
; IeeeMode: 1
; LDSByteSize: 16416 bytes/workgroup (compile time only)
; SGPRBlocks: 12
; VGPRBlocks: 22
; NumSGPRsForWavesPerEU: 97
; NumVGPRsForWavesPerEU: 90
; Occupancy: 2
; WaveLimiterHint : 0
; COMPUTE_PGM_RSRC2:SCRATCH_EN: 0
; COMPUTE_PGM_RSRC2:USER_SGPR: 6
; COMPUTE_PGM_RSRC2:TRAP_HANDLER: 0
; COMPUTE_PGM_RSRC2:TGID_X_EN: 1
; COMPUTE_PGM_RSRC2:TGID_Y_EN: 0
; COMPUTE_PGM_RSRC2:TGID_Z_EN: 0
; COMPUTE_PGM_RSRC2:TIDIG_COMP_CNT: 0
	.section	.text._Z11rank_kernelIhLj4ELb0EL18RadixRankAlgorithm2ELj512ELj32ELj10EEvPKT_Pi,"axG",@progbits,_Z11rank_kernelIhLj4ELb0EL18RadixRankAlgorithm2ELj512ELj32ELj10EEvPKT_Pi,comdat
	.protected	_Z11rank_kernelIhLj4ELb0EL18RadixRankAlgorithm2ELj512ELj32ELj10EEvPKT_Pi ; -- Begin function _Z11rank_kernelIhLj4ELb0EL18RadixRankAlgorithm2ELj512ELj32ELj10EEvPKT_Pi
	.globl	_Z11rank_kernelIhLj4ELb0EL18RadixRankAlgorithm2ELj512ELj32ELj10EEvPKT_Pi
	.p2align	8
	.type	_Z11rank_kernelIhLj4ELb0EL18RadixRankAlgorithm2ELj512ELj32ELj10EEvPKT_Pi,@function
_Z11rank_kernelIhLj4ELb0EL18RadixRankAlgorithm2ELj512ELj32ELj10EEvPKT_Pi: ; @_Z11rank_kernelIhLj4ELb0EL18RadixRankAlgorithm2ELj512ELj32ELj10EEvPKT_Pi
; %bb.0:
	s_load_dwordx4 s[28:31], s[4:5], 0x0
	s_load_dword s2, s[4:5], 0x1c
	s_lshl_b32 s34, s6, 14
	v_lshlrev_b32_e32 v13, 5, v0
	v_lshlrev_b32_e32 v17, 2, v0
	s_waitcnt lgkmcnt(0)
	s_add_u32 s0, s28, s34
	s_addc_u32 s1, s29, 0
	global_load_dwordx4 v[3:6], v13, s[0:1]
	global_load_dwordx4 v[7:10], v13, s[0:1] offset:16
	s_lshr_b32 s0, s2, 16
	s_and_b32 s1, s2, 0xffff
	v_mad_u32_u24 v1, v2, s0, v1
	v_mad_u64_u32 v[1:2], s[0:1], v1, s1, v[0:1]
	v_mbcnt_lo_u32_b32 v2, -1, 0
	v_mbcnt_hi_u32_b32 v2, -1, v2
	v_and_b32_e32 v12, 15, v2
	v_cmp_eq_u32_e64 s[0:1], 0, v12
	v_cmp_lt_u32_e64 s[2:3], 1, v12
	v_cmp_lt_u32_e64 s[4:5], 3, v12
	;; [unrolled: 1-line block ×3, first 2 shown]
	v_and_b32_e32 v12, 16, v2
	v_cmp_eq_u32_e64 s[8:9], 0, v12
	v_or_b32_e32 v12, 63, v0
	v_cmp_eq_u32_e64 s[12:13], v0, v12
	v_cmp_gt_u32_e64 s[14:15], 8, v0
	v_cmp_lt_u32_e64 s[16:17], 63, v0
	v_subrev_co_u32_e64 v12, s[18:19], 1, v2
	v_and_b32_e32 v14, 64, v2
	v_lshrrev_b32_e32 v0, 4, v0
	v_cmp_lt_i32_e32 vcc, v12, v14
	v_and_b32_e32 v19, 28, v0
	v_and_b32_e32 v0, 7, v2
	s_mov_b32 s35, 0
	v_cndmask_b32_e32 v12, v12, v2, vcc
	v_cmp_eq_u32_e64 s[20:21], 0, v0
	v_cmp_lt_u32_e64 s[22:23], 1, v0
	v_cmp_lt_u32_e64 s[24:25], 3, v0
	v_lshrrev_b32_e32 v0, 4, v1
	v_mov_b32_e32 v11, 0
	v_cmp_lt_u32_e64 s[10:11], 31, v2
	v_lshlrev_b32_e32 v18, 2, v12
	v_add_u32_e32 v21, -4, v19
	v_and_b32_e32 v2, 0xffffffc, v0
	s_mov_b32 s33, s35
	s_branch .LBB89_2
.LBB89_1:                               ;   in Loop: Header=BB89_2 Depth=1
	s_add_i32 s33, s33, 1
	s_cmp_eq_u32 s33, 10
	s_cbranch_scc1 .LBB89_74
.LBB89_2:                               ; =>This Loop Header: Depth=1
                                        ;     Child Loop BB89_4 Depth 2
	s_mov_b64 s[28:29], -1
	s_mov_b32 s36, 28
	s_branch .LBB89_4
.LBB89_3:                               ;   in Loop: Header=BB89_4 Depth=2
	s_or_b64 exec, exec, s[26:27]
	s_waitcnt lgkmcnt(0)
	v_add_u32_e32 v0, v1, v0
	ds_bpermute_b32 v0, v18, v0
	s_xor_b64 s[26:27], s[28:29], -1
	s_mov_b32 s36, 24
	s_andn2_b64 vcc, exec, s[26:27]
	s_mov_b64 s[28:29], 0
	s_waitcnt lgkmcnt(0)
	v_cndmask_b32_e64 v0, v0, v1, s[18:19]
	ds_write_b32 v17, v0 offset:32
	s_waitcnt lgkmcnt(0)
	s_barrier
	s_cbranch_vccz .LBB89_1
.LBB89_4:                               ;   Parent Loop BB89_2 Depth=1
                                        ; =>  This Inner Loop Header: Depth=2
	s_waitcnt vmcnt(1)
	v_lshlrev_b32_sdwa v0, s36, v3 dst_sel:DWORD dst_unused:UNUSED_PAD src0_sel:DWORD src1_sel:BYTE_0
	v_lshrrev_b32_e32 v0, 28, v0
	v_and_b32_e32 v1, 1, v0
	v_add_co_u32_e32 v12, vcc, -1, v1
	v_addc_co_u32_e64 v14, s[26:27], 0, -1, vcc
	v_cmp_ne_u32_e32 vcc, 0, v1
	v_xor_b32_e32 v12, vcc_lo, v12
	v_xor_b32_e32 v1, vcc_hi, v14
	v_and_b32_e32 v14, exec_lo, v12
	v_lshlrev_b32_e32 v12, 30, v0
	v_cmp_gt_i64_e32 vcc, 0, v[11:12]
	v_not_b32_e32 v12, v12
	v_ashrrev_i32_e32 v12, 31, v12
	v_xor_b32_e32 v15, vcc_hi, v12
	v_xor_b32_e32 v12, vcc_lo, v12
	v_and_b32_e32 v14, v14, v12
	v_lshlrev_b32_e32 v12, 29, v0
	v_cmp_gt_i64_e32 vcc, 0, v[11:12]
	v_not_b32_e32 v12, v12
	v_and_b32_e32 v1, exec_hi, v1
	v_ashrrev_i32_e32 v12, 31, v12
	v_and_b32_e32 v1, v1, v15
	v_xor_b32_e32 v15, vcc_hi, v12
	v_xor_b32_e32 v12, vcc_lo, v12
	v_and_b32_e32 v14, v14, v12
	v_lshlrev_b32_e32 v12, 28, v0
	v_mul_u32_u24_e32 v16, 36, v0
	v_cmp_gt_i64_e32 vcc, 0, v[11:12]
	v_not_b32_e32 v0, v12
	v_ashrrev_i32_e32 v0, 31, v0
	v_xor_b32_e32 v12, vcc_hi, v0
	v_xor_b32_e32 v0, vcc_lo, v0
	v_and_b32_e32 v1, v1, v15
	v_and_b32_e32 v0, v14, v0
	;; [unrolled: 1-line block ×3, first 2 shown]
	v_mbcnt_lo_u32_b32 v12, v0, 0
	v_mbcnt_hi_u32_b32 v14, v1, v12
	v_cmp_ne_u64_e32 vcc, 0, v[0:1]
	v_cmp_eq_u32_e64 s[26:27], 0, v14
	s_and_b64 s[38:39], s[26:27], vcc
	ds_write_b32 v17, v11 offset:32
	s_waitcnt vmcnt(0) lgkmcnt(0)
	s_barrier
	; wave barrier
	s_and_saveexec_b64 s[26:27], s[38:39]
; %bb.5:                                ;   in Loop: Header=BB89_4 Depth=2
	v_bcnt_u32_b32 v0, v0, 0
	v_bcnt_u32_b32 v0, v1, v0
	v_add_u32_e32 v1, v2, v16
	ds_write_b32 v1, v0 offset:32
; %bb.6:                                ;   in Loop: Header=BB89_4 Depth=2
	s_or_b64 exec, exec, s[26:27]
	v_lshlrev_b32_sdwa v0, s36, v3 dst_sel:DWORD dst_unused:UNUSED_PAD src0_sel:DWORD src1_sel:BYTE_1
	v_lshrrev_b32_e32 v0, 28, v0
	v_mad_u32_u24 v1, v0, 36, v2
	; wave barrier
	ds_read_b32 v15, v1 offset:32
	v_and_b32_e32 v1, 1, v0
	v_add_co_u32_e32 v12, vcc, -1, v1
	v_addc_co_u32_e64 v20, s[26:27], 0, -1, vcc
	v_cmp_ne_u32_e32 vcc, 0, v1
	v_xor_b32_e32 v12, vcc_lo, v12
	v_xor_b32_e32 v1, vcc_hi, v20
	v_and_b32_e32 v20, exec_lo, v12
	v_lshlrev_b32_e32 v12, 30, v0
	v_cmp_gt_i64_e32 vcc, 0, v[11:12]
	v_not_b32_e32 v12, v12
	v_ashrrev_i32_e32 v12, 31, v12
	v_xor_b32_e32 v22, vcc_hi, v12
	v_xor_b32_e32 v12, vcc_lo, v12
	v_and_b32_e32 v20, v20, v12
	v_lshlrev_b32_e32 v12, 29, v0
	v_cmp_gt_i64_e32 vcc, 0, v[11:12]
	v_not_b32_e32 v12, v12
	v_and_b32_e32 v1, exec_hi, v1
	v_ashrrev_i32_e32 v12, 31, v12
	v_and_b32_e32 v1, v1, v22
	v_xor_b32_e32 v22, vcc_hi, v12
	v_xor_b32_e32 v12, vcc_lo, v12
	v_and_b32_e32 v20, v20, v12
	v_lshlrev_b32_e32 v12, 28, v0
	v_mul_u32_u24_e32 v23, 36, v0
	v_cmp_gt_i64_e32 vcc, 0, v[11:12]
	v_not_b32_e32 v0, v12
	v_ashrrev_i32_e32 v0, 31, v0
	v_xor_b32_e32 v12, vcc_hi, v0
	v_xor_b32_e32 v0, vcc_lo, v0
	v_and_b32_e32 v1, v1, v22
	v_and_b32_e32 v0, v20, v0
	;; [unrolled: 1-line block ×3, first 2 shown]
	v_mbcnt_lo_u32_b32 v12, v0, 0
	v_mbcnt_hi_u32_b32 v20, v1, v12
	v_cmp_ne_u64_e32 vcc, 0, v[0:1]
	v_cmp_eq_u32_e64 s[26:27], 0, v20
	s_and_b64 s[38:39], s[26:27], vcc
	; wave barrier
	s_and_saveexec_b64 s[26:27], s[38:39]
	s_cbranch_execz .LBB89_8
; %bb.7:                                ;   in Loop: Header=BB89_4 Depth=2
	v_bcnt_u32_b32 v0, v0, 0
	v_bcnt_u32_b32 v0, v1, v0
	s_waitcnt lgkmcnt(0)
	v_add_u32_e32 v0, v15, v0
	v_add_u32_e32 v1, v2, v23
	ds_write_b32 v1, v0 offset:32
.LBB89_8:                               ;   in Loop: Header=BB89_4 Depth=2
	s_or_b64 exec, exec, s[26:27]
	v_lshlrev_b32_sdwa v0, s36, v3 dst_sel:DWORD dst_unused:UNUSED_PAD src0_sel:DWORD src1_sel:BYTE_2
	v_lshrrev_b32_e32 v0, 28, v0
	v_mad_u32_u24 v1, v0, 36, v2
	; wave barrier
	ds_read_b32 v22, v1 offset:32
	v_and_b32_e32 v1, 1, v0
	v_add_co_u32_e32 v12, vcc, -1, v1
	v_addc_co_u32_e64 v24, s[26:27], 0, -1, vcc
	v_cmp_ne_u32_e32 vcc, 0, v1
	v_xor_b32_e32 v12, vcc_lo, v12
	v_xor_b32_e32 v1, vcc_hi, v24
	v_and_b32_e32 v24, exec_lo, v12
	v_lshlrev_b32_e32 v12, 30, v0
	v_cmp_gt_i64_e32 vcc, 0, v[11:12]
	v_not_b32_e32 v12, v12
	v_ashrrev_i32_e32 v12, 31, v12
	v_xor_b32_e32 v25, vcc_hi, v12
	v_xor_b32_e32 v12, vcc_lo, v12
	v_and_b32_e32 v24, v24, v12
	v_lshlrev_b32_e32 v12, 29, v0
	v_cmp_gt_i64_e32 vcc, 0, v[11:12]
	v_not_b32_e32 v12, v12
	v_and_b32_e32 v1, exec_hi, v1
	v_ashrrev_i32_e32 v12, 31, v12
	v_and_b32_e32 v1, v1, v25
	v_xor_b32_e32 v25, vcc_hi, v12
	v_xor_b32_e32 v12, vcc_lo, v12
	v_and_b32_e32 v24, v24, v12
	v_lshlrev_b32_e32 v12, 28, v0
	v_mul_u32_u24_e32 v26, 36, v0
	v_cmp_gt_i64_e32 vcc, 0, v[11:12]
	v_not_b32_e32 v0, v12
	v_ashrrev_i32_e32 v0, 31, v0
	v_xor_b32_e32 v12, vcc_hi, v0
	v_xor_b32_e32 v0, vcc_lo, v0
	v_and_b32_e32 v1, v1, v25
	v_and_b32_e32 v0, v24, v0
	;; [unrolled: 1-line block ×3, first 2 shown]
	v_mbcnt_lo_u32_b32 v12, v0, 0
	v_mbcnt_hi_u32_b32 v24, v1, v12
	v_cmp_ne_u64_e32 vcc, 0, v[0:1]
	v_cmp_eq_u32_e64 s[26:27], 0, v24
	s_and_b64 s[38:39], s[26:27], vcc
	; wave barrier
	s_and_saveexec_b64 s[26:27], s[38:39]
	s_cbranch_execz .LBB89_10
; %bb.9:                                ;   in Loop: Header=BB89_4 Depth=2
	v_bcnt_u32_b32 v0, v0, 0
	v_bcnt_u32_b32 v0, v1, v0
	s_waitcnt lgkmcnt(0)
	v_add_u32_e32 v0, v22, v0
	v_add_u32_e32 v1, v2, v26
	ds_write_b32 v1, v0 offset:32
.LBB89_10:                              ;   in Loop: Header=BB89_4 Depth=2
	s_or_b64 exec, exec, s[26:27]
	v_lshlrev_b32_sdwa v0, s36, v3 dst_sel:DWORD dst_unused:UNUSED_PAD src0_sel:DWORD src1_sel:BYTE_3
	v_lshrrev_b32_e32 v0, 28, v0
	v_mad_u32_u24 v1, v0, 36, v2
	; wave barrier
	ds_read_b32 v25, v1 offset:32
	v_and_b32_e32 v1, 1, v0
	v_add_co_u32_e32 v12, vcc, -1, v1
	v_addc_co_u32_e64 v27, s[26:27], 0, -1, vcc
	v_cmp_ne_u32_e32 vcc, 0, v1
	v_xor_b32_e32 v12, vcc_lo, v12
	v_xor_b32_e32 v1, vcc_hi, v27
	v_and_b32_e32 v27, exec_lo, v12
	v_lshlrev_b32_e32 v12, 30, v0
	v_cmp_gt_i64_e32 vcc, 0, v[11:12]
	v_not_b32_e32 v12, v12
	v_ashrrev_i32_e32 v12, 31, v12
	v_xor_b32_e32 v28, vcc_hi, v12
	v_xor_b32_e32 v12, vcc_lo, v12
	v_and_b32_e32 v27, v27, v12
	v_lshlrev_b32_e32 v12, 29, v0
	v_cmp_gt_i64_e32 vcc, 0, v[11:12]
	v_not_b32_e32 v12, v12
	v_and_b32_e32 v1, exec_hi, v1
	v_ashrrev_i32_e32 v12, 31, v12
	v_and_b32_e32 v1, v1, v28
	v_xor_b32_e32 v28, vcc_hi, v12
	v_xor_b32_e32 v12, vcc_lo, v12
	v_and_b32_e32 v27, v27, v12
	v_lshlrev_b32_e32 v12, 28, v0
	v_mul_u32_u24_e32 v29, 36, v0
	v_cmp_gt_i64_e32 vcc, 0, v[11:12]
	v_not_b32_e32 v0, v12
	v_ashrrev_i32_e32 v0, 31, v0
	v_xor_b32_e32 v12, vcc_hi, v0
	v_xor_b32_e32 v0, vcc_lo, v0
	v_and_b32_e32 v1, v1, v28
	v_and_b32_e32 v0, v27, v0
	;; [unrolled: 1-line block ×3, first 2 shown]
	v_mbcnt_lo_u32_b32 v12, v0, 0
	v_mbcnt_hi_u32_b32 v27, v1, v12
	v_cmp_ne_u64_e32 vcc, 0, v[0:1]
	v_cmp_eq_u32_e64 s[26:27], 0, v27
	s_and_b64 s[38:39], s[26:27], vcc
	; wave barrier
	s_and_saveexec_b64 s[26:27], s[38:39]
	s_cbranch_execz .LBB89_12
; %bb.11:                               ;   in Loop: Header=BB89_4 Depth=2
	v_bcnt_u32_b32 v0, v0, 0
	v_bcnt_u32_b32 v0, v1, v0
	s_waitcnt lgkmcnt(0)
	v_add_u32_e32 v0, v25, v0
	v_add_u32_e32 v1, v2, v29
	ds_write_b32 v1, v0 offset:32
.LBB89_12:                              ;   in Loop: Header=BB89_4 Depth=2
	s_or_b64 exec, exec, s[26:27]
	v_lshlrev_b32_sdwa v0, s36, v4 dst_sel:DWORD dst_unused:UNUSED_PAD src0_sel:DWORD src1_sel:BYTE_0
	v_lshrrev_b32_e32 v0, 28, v0
	v_mad_u32_u24 v1, v0, 36, v2
	; wave barrier
	ds_read_b32 v28, v1 offset:32
	v_and_b32_e32 v1, 1, v0
	v_add_co_u32_e32 v12, vcc, -1, v1
	v_addc_co_u32_e64 v31, s[26:27], 0, -1, vcc
	v_cmp_ne_u32_e32 vcc, 0, v1
	v_xor_b32_e32 v12, vcc_lo, v12
	v_xor_b32_e32 v1, vcc_hi, v31
	v_and_b32_e32 v31, exec_lo, v12
	v_lshlrev_b32_e32 v12, 30, v0
	v_cmp_gt_i64_e32 vcc, 0, v[11:12]
	v_not_b32_e32 v12, v12
	v_ashrrev_i32_e32 v12, 31, v12
	v_xor_b32_e32 v32, vcc_hi, v12
	v_xor_b32_e32 v12, vcc_lo, v12
	v_and_b32_e32 v31, v31, v12
	v_lshlrev_b32_e32 v12, 29, v0
	v_cmp_gt_i64_e32 vcc, 0, v[11:12]
	v_not_b32_e32 v12, v12
	v_and_b32_e32 v1, exec_hi, v1
	v_ashrrev_i32_e32 v12, 31, v12
	v_and_b32_e32 v1, v1, v32
	v_xor_b32_e32 v32, vcc_hi, v12
	v_xor_b32_e32 v12, vcc_lo, v12
	v_and_b32_e32 v31, v31, v12
	v_lshlrev_b32_e32 v12, 28, v0
	v_mul_u32_u24_e32 v30, 36, v0
	v_cmp_gt_i64_e32 vcc, 0, v[11:12]
	v_not_b32_e32 v0, v12
	v_ashrrev_i32_e32 v0, 31, v0
	v_xor_b32_e32 v12, vcc_hi, v0
	v_xor_b32_e32 v0, vcc_lo, v0
	v_and_b32_e32 v1, v1, v32
	v_and_b32_e32 v0, v31, v0
	;; [unrolled: 1-line block ×3, first 2 shown]
	v_mbcnt_lo_u32_b32 v12, v0, 0
	v_mbcnt_hi_u32_b32 v31, v1, v12
	v_cmp_ne_u64_e32 vcc, 0, v[0:1]
	v_cmp_eq_u32_e64 s[26:27], 0, v31
	s_and_b64 s[38:39], s[26:27], vcc
	; wave barrier
	s_and_saveexec_b64 s[26:27], s[38:39]
	s_cbranch_execz .LBB89_14
; %bb.13:                               ;   in Loop: Header=BB89_4 Depth=2
	v_bcnt_u32_b32 v0, v0, 0
	v_bcnt_u32_b32 v0, v1, v0
	s_waitcnt lgkmcnt(0)
	v_add_u32_e32 v0, v28, v0
	v_add_u32_e32 v1, v2, v30
	ds_write_b32 v1, v0 offset:32
.LBB89_14:                              ;   in Loop: Header=BB89_4 Depth=2
	s_or_b64 exec, exec, s[26:27]
	v_lshlrev_b32_sdwa v0, s36, v4 dst_sel:DWORD dst_unused:UNUSED_PAD src0_sel:DWORD src1_sel:BYTE_1
	v_lshrrev_b32_e32 v0, 28, v0
	v_mad_u32_u24 v1, v0, 36, v2
	; wave barrier
	ds_read_b32 v32, v1 offset:32
	v_and_b32_e32 v1, 1, v0
	v_add_co_u32_e32 v12, vcc, -1, v1
	v_addc_co_u32_e64 v34, s[26:27], 0, -1, vcc
	v_cmp_ne_u32_e32 vcc, 0, v1
	v_xor_b32_e32 v12, vcc_lo, v12
	v_xor_b32_e32 v1, vcc_hi, v34
	v_and_b32_e32 v34, exec_lo, v12
	v_lshlrev_b32_e32 v12, 30, v0
	v_cmp_gt_i64_e32 vcc, 0, v[11:12]
	v_not_b32_e32 v12, v12
	v_ashrrev_i32_e32 v12, 31, v12
	v_xor_b32_e32 v35, vcc_hi, v12
	v_xor_b32_e32 v12, vcc_lo, v12
	v_and_b32_e32 v34, v34, v12
	v_lshlrev_b32_e32 v12, 29, v0
	v_cmp_gt_i64_e32 vcc, 0, v[11:12]
	v_not_b32_e32 v12, v12
	v_and_b32_e32 v1, exec_hi, v1
	v_ashrrev_i32_e32 v12, 31, v12
	v_and_b32_e32 v1, v1, v35
	v_xor_b32_e32 v35, vcc_hi, v12
	v_xor_b32_e32 v12, vcc_lo, v12
	v_and_b32_e32 v34, v34, v12
	v_lshlrev_b32_e32 v12, 28, v0
	v_mul_u32_u24_e32 v33, 36, v0
	v_cmp_gt_i64_e32 vcc, 0, v[11:12]
	v_not_b32_e32 v0, v12
	v_ashrrev_i32_e32 v0, 31, v0
	v_xor_b32_e32 v12, vcc_hi, v0
	v_xor_b32_e32 v0, vcc_lo, v0
	v_and_b32_e32 v1, v1, v35
	v_and_b32_e32 v0, v34, v0
	v_and_b32_e32 v1, v1, v12
	v_mbcnt_lo_u32_b32 v12, v0, 0
	v_mbcnt_hi_u32_b32 v34, v1, v12
	v_cmp_ne_u64_e32 vcc, 0, v[0:1]
	v_cmp_eq_u32_e64 s[26:27], 0, v34
	s_and_b64 s[38:39], s[26:27], vcc
	; wave barrier
	s_and_saveexec_b64 s[26:27], s[38:39]
	s_cbranch_execz .LBB89_16
; %bb.15:                               ;   in Loop: Header=BB89_4 Depth=2
	v_bcnt_u32_b32 v0, v0, 0
	v_bcnt_u32_b32 v0, v1, v0
	s_waitcnt lgkmcnt(0)
	v_add_u32_e32 v0, v32, v0
	v_add_u32_e32 v1, v2, v33
	ds_write_b32 v1, v0 offset:32
.LBB89_16:                              ;   in Loop: Header=BB89_4 Depth=2
	s_or_b64 exec, exec, s[26:27]
	v_lshlrev_b32_sdwa v0, s36, v4 dst_sel:DWORD dst_unused:UNUSED_PAD src0_sel:DWORD src1_sel:BYTE_2
	v_lshrrev_b32_e32 v0, 28, v0
	v_mad_u32_u24 v1, v0, 36, v2
	; wave barrier
	ds_read_b32 v35, v1 offset:32
	v_and_b32_e32 v1, 1, v0
	v_add_co_u32_e32 v12, vcc, -1, v1
	v_addc_co_u32_e64 v37, s[26:27], 0, -1, vcc
	v_cmp_ne_u32_e32 vcc, 0, v1
	v_xor_b32_e32 v12, vcc_lo, v12
	v_xor_b32_e32 v1, vcc_hi, v37
	v_and_b32_e32 v37, exec_lo, v12
	v_lshlrev_b32_e32 v12, 30, v0
	v_cmp_gt_i64_e32 vcc, 0, v[11:12]
	v_not_b32_e32 v12, v12
	v_ashrrev_i32_e32 v12, 31, v12
	v_xor_b32_e32 v38, vcc_hi, v12
	v_xor_b32_e32 v12, vcc_lo, v12
	v_and_b32_e32 v37, v37, v12
	v_lshlrev_b32_e32 v12, 29, v0
	v_cmp_gt_i64_e32 vcc, 0, v[11:12]
	v_not_b32_e32 v12, v12
	v_and_b32_e32 v1, exec_hi, v1
	v_ashrrev_i32_e32 v12, 31, v12
	v_and_b32_e32 v1, v1, v38
	v_xor_b32_e32 v38, vcc_hi, v12
	v_xor_b32_e32 v12, vcc_lo, v12
	v_and_b32_e32 v37, v37, v12
	v_lshlrev_b32_e32 v12, 28, v0
	v_mul_u32_u24_e32 v36, 36, v0
	v_cmp_gt_i64_e32 vcc, 0, v[11:12]
	v_not_b32_e32 v0, v12
	v_ashrrev_i32_e32 v0, 31, v0
	v_xor_b32_e32 v12, vcc_hi, v0
	v_xor_b32_e32 v0, vcc_lo, v0
	v_and_b32_e32 v1, v1, v38
	v_and_b32_e32 v0, v37, v0
	;; [unrolled: 1-line block ×3, first 2 shown]
	v_mbcnt_lo_u32_b32 v12, v0, 0
	v_mbcnt_hi_u32_b32 v37, v1, v12
	v_cmp_ne_u64_e32 vcc, 0, v[0:1]
	v_cmp_eq_u32_e64 s[26:27], 0, v37
	s_and_b64 s[38:39], s[26:27], vcc
	; wave barrier
	s_and_saveexec_b64 s[26:27], s[38:39]
	s_cbranch_execz .LBB89_18
; %bb.17:                               ;   in Loop: Header=BB89_4 Depth=2
	v_bcnt_u32_b32 v0, v0, 0
	v_bcnt_u32_b32 v0, v1, v0
	s_waitcnt lgkmcnt(0)
	v_add_u32_e32 v0, v35, v0
	v_add_u32_e32 v1, v2, v36
	ds_write_b32 v1, v0 offset:32
.LBB89_18:                              ;   in Loop: Header=BB89_4 Depth=2
	s_or_b64 exec, exec, s[26:27]
	v_lshlrev_b32_sdwa v0, s36, v4 dst_sel:DWORD dst_unused:UNUSED_PAD src0_sel:DWORD src1_sel:BYTE_3
	v_lshrrev_b32_e32 v0, 28, v0
	v_mad_u32_u24 v1, v0, 36, v2
	; wave barrier
	ds_read_b32 v38, v1 offset:32
	v_and_b32_e32 v1, 1, v0
	v_add_co_u32_e32 v12, vcc, -1, v1
	v_addc_co_u32_e64 v39, s[26:27], 0, -1, vcc
	v_cmp_ne_u32_e32 vcc, 0, v1
	v_xor_b32_e32 v12, vcc_lo, v12
	v_xor_b32_e32 v1, vcc_hi, v39
	v_and_b32_e32 v39, exec_lo, v12
	v_lshlrev_b32_e32 v12, 30, v0
	v_cmp_gt_i64_e32 vcc, 0, v[11:12]
	v_not_b32_e32 v12, v12
	v_ashrrev_i32_e32 v12, 31, v12
	v_xor_b32_e32 v41, vcc_hi, v12
	v_xor_b32_e32 v12, vcc_lo, v12
	v_and_b32_e32 v39, v39, v12
	v_lshlrev_b32_e32 v12, 29, v0
	v_cmp_gt_i64_e32 vcc, 0, v[11:12]
	v_not_b32_e32 v12, v12
	v_and_b32_e32 v1, exec_hi, v1
	v_ashrrev_i32_e32 v12, 31, v12
	v_and_b32_e32 v1, v1, v41
	v_xor_b32_e32 v41, vcc_hi, v12
	v_xor_b32_e32 v12, vcc_lo, v12
	v_and_b32_e32 v39, v39, v12
	v_lshlrev_b32_e32 v12, 28, v0
	v_mul_u32_u24_e32 v40, 36, v0
	v_cmp_gt_i64_e32 vcc, 0, v[11:12]
	v_not_b32_e32 v0, v12
	v_ashrrev_i32_e32 v0, 31, v0
	v_xor_b32_e32 v12, vcc_hi, v0
	v_xor_b32_e32 v0, vcc_lo, v0
	v_and_b32_e32 v1, v1, v41
	v_and_b32_e32 v0, v39, v0
	;; [unrolled: 1-line block ×3, first 2 shown]
	v_mbcnt_lo_u32_b32 v12, v0, 0
	v_mbcnt_hi_u32_b32 v41, v1, v12
	v_cmp_ne_u64_e32 vcc, 0, v[0:1]
	v_cmp_eq_u32_e64 s[26:27], 0, v41
	s_and_b64 s[38:39], s[26:27], vcc
	; wave barrier
	s_and_saveexec_b64 s[26:27], s[38:39]
	s_cbranch_execz .LBB89_20
; %bb.19:                               ;   in Loop: Header=BB89_4 Depth=2
	v_bcnt_u32_b32 v0, v0, 0
	v_bcnt_u32_b32 v0, v1, v0
	s_waitcnt lgkmcnt(0)
	v_add_u32_e32 v0, v38, v0
	v_add_u32_e32 v1, v2, v40
	ds_write_b32 v1, v0 offset:32
.LBB89_20:                              ;   in Loop: Header=BB89_4 Depth=2
	s_or_b64 exec, exec, s[26:27]
	v_lshlrev_b32_sdwa v0, s36, v5 dst_sel:DWORD dst_unused:UNUSED_PAD src0_sel:DWORD src1_sel:BYTE_0
	v_lshrrev_b32_e32 v0, 28, v0
	v_mad_u32_u24 v1, v0, 36, v2
	; wave barrier
	ds_read_b32 v39, v1 offset:32
	v_and_b32_e32 v1, 1, v0
	v_add_co_u32_e32 v12, vcc, -1, v1
	v_addc_co_u32_e64 v43, s[26:27], 0, -1, vcc
	v_cmp_ne_u32_e32 vcc, 0, v1
	v_xor_b32_e32 v12, vcc_lo, v12
	v_xor_b32_e32 v1, vcc_hi, v43
	v_and_b32_e32 v43, exec_lo, v12
	v_lshlrev_b32_e32 v12, 30, v0
	v_cmp_gt_i64_e32 vcc, 0, v[11:12]
	v_not_b32_e32 v12, v12
	v_ashrrev_i32_e32 v12, 31, v12
	v_xor_b32_e32 v44, vcc_hi, v12
	v_xor_b32_e32 v12, vcc_lo, v12
	v_and_b32_e32 v43, v43, v12
	v_lshlrev_b32_e32 v12, 29, v0
	v_cmp_gt_i64_e32 vcc, 0, v[11:12]
	v_not_b32_e32 v12, v12
	v_and_b32_e32 v1, exec_hi, v1
	v_ashrrev_i32_e32 v12, 31, v12
	v_and_b32_e32 v1, v1, v44
	v_xor_b32_e32 v44, vcc_hi, v12
	v_xor_b32_e32 v12, vcc_lo, v12
	v_and_b32_e32 v43, v43, v12
	v_lshlrev_b32_e32 v12, 28, v0
	v_mul_u32_u24_e32 v42, 36, v0
	v_cmp_gt_i64_e32 vcc, 0, v[11:12]
	v_not_b32_e32 v0, v12
	v_ashrrev_i32_e32 v0, 31, v0
	v_xor_b32_e32 v12, vcc_hi, v0
	v_xor_b32_e32 v0, vcc_lo, v0
	v_and_b32_e32 v1, v1, v44
	v_and_b32_e32 v0, v43, v0
	;; [unrolled: 1-line block ×3, first 2 shown]
	v_mbcnt_lo_u32_b32 v12, v0, 0
	v_mbcnt_hi_u32_b32 v43, v1, v12
	v_cmp_ne_u64_e32 vcc, 0, v[0:1]
	v_cmp_eq_u32_e64 s[26:27], 0, v43
	s_and_b64 s[38:39], s[26:27], vcc
	; wave barrier
	s_and_saveexec_b64 s[26:27], s[38:39]
	s_cbranch_execz .LBB89_22
; %bb.21:                               ;   in Loop: Header=BB89_4 Depth=2
	v_bcnt_u32_b32 v0, v0, 0
	v_bcnt_u32_b32 v0, v1, v0
	s_waitcnt lgkmcnt(0)
	v_add_u32_e32 v0, v39, v0
	v_add_u32_e32 v1, v2, v42
	ds_write_b32 v1, v0 offset:32
.LBB89_22:                              ;   in Loop: Header=BB89_4 Depth=2
	s_or_b64 exec, exec, s[26:27]
	v_lshlrev_b32_sdwa v0, s36, v5 dst_sel:DWORD dst_unused:UNUSED_PAD src0_sel:DWORD src1_sel:BYTE_1
	v_lshrrev_b32_e32 v0, 28, v0
	v_mad_u32_u24 v1, v0, 36, v2
	; wave barrier
	ds_read_b32 v44, v1 offset:32
	v_and_b32_e32 v1, 1, v0
	v_add_co_u32_e32 v12, vcc, -1, v1
	v_addc_co_u32_e64 v46, s[26:27], 0, -1, vcc
	v_cmp_ne_u32_e32 vcc, 0, v1
	v_xor_b32_e32 v12, vcc_lo, v12
	v_xor_b32_e32 v1, vcc_hi, v46
	v_and_b32_e32 v46, exec_lo, v12
	v_lshlrev_b32_e32 v12, 30, v0
	v_cmp_gt_i64_e32 vcc, 0, v[11:12]
	v_not_b32_e32 v12, v12
	v_ashrrev_i32_e32 v12, 31, v12
	v_xor_b32_e32 v47, vcc_hi, v12
	v_xor_b32_e32 v12, vcc_lo, v12
	v_and_b32_e32 v46, v46, v12
	v_lshlrev_b32_e32 v12, 29, v0
	v_cmp_gt_i64_e32 vcc, 0, v[11:12]
	v_not_b32_e32 v12, v12
	v_and_b32_e32 v1, exec_hi, v1
	v_ashrrev_i32_e32 v12, 31, v12
	v_and_b32_e32 v1, v1, v47
	v_xor_b32_e32 v47, vcc_hi, v12
	v_xor_b32_e32 v12, vcc_lo, v12
	v_and_b32_e32 v46, v46, v12
	v_lshlrev_b32_e32 v12, 28, v0
	v_mul_u32_u24_e32 v45, 36, v0
	v_cmp_gt_i64_e32 vcc, 0, v[11:12]
	v_not_b32_e32 v0, v12
	v_ashrrev_i32_e32 v0, 31, v0
	v_xor_b32_e32 v12, vcc_hi, v0
	v_xor_b32_e32 v0, vcc_lo, v0
	v_and_b32_e32 v1, v1, v47
	v_and_b32_e32 v0, v46, v0
	;; [unrolled: 1-line block ×3, first 2 shown]
	v_mbcnt_lo_u32_b32 v12, v0, 0
	v_mbcnt_hi_u32_b32 v46, v1, v12
	v_cmp_ne_u64_e32 vcc, 0, v[0:1]
	v_cmp_eq_u32_e64 s[26:27], 0, v46
	s_and_b64 s[38:39], s[26:27], vcc
	; wave barrier
	s_and_saveexec_b64 s[26:27], s[38:39]
	s_cbranch_execz .LBB89_24
; %bb.23:                               ;   in Loop: Header=BB89_4 Depth=2
	v_bcnt_u32_b32 v0, v0, 0
	v_bcnt_u32_b32 v0, v1, v0
	s_waitcnt lgkmcnt(0)
	v_add_u32_e32 v0, v44, v0
	v_add_u32_e32 v1, v2, v45
	ds_write_b32 v1, v0 offset:32
.LBB89_24:                              ;   in Loop: Header=BB89_4 Depth=2
	s_or_b64 exec, exec, s[26:27]
	v_lshlrev_b32_sdwa v0, s36, v5 dst_sel:DWORD dst_unused:UNUSED_PAD src0_sel:DWORD src1_sel:BYTE_2
	v_lshrrev_b32_e32 v0, 28, v0
	v_mad_u32_u24 v1, v0, 36, v2
	; wave barrier
	ds_read_b32 v47, v1 offset:32
	v_and_b32_e32 v1, 1, v0
	v_add_co_u32_e32 v12, vcc, -1, v1
	v_addc_co_u32_e64 v49, s[26:27], 0, -1, vcc
	v_cmp_ne_u32_e32 vcc, 0, v1
	v_xor_b32_e32 v12, vcc_lo, v12
	v_xor_b32_e32 v1, vcc_hi, v49
	v_and_b32_e32 v49, exec_lo, v12
	v_lshlrev_b32_e32 v12, 30, v0
	v_cmp_gt_i64_e32 vcc, 0, v[11:12]
	v_not_b32_e32 v12, v12
	v_ashrrev_i32_e32 v12, 31, v12
	v_xor_b32_e32 v50, vcc_hi, v12
	v_xor_b32_e32 v12, vcc_lo, v12
	v_and_b32_e32 v49, v49, v12
	v_lshlrev_b32_e32 v12, 29, v0
	v_cmp_gt_i64_e32 vcc, 0, v[11:12]
	v_not_b32_e32 v12, v12
	v_and_b32_e32 v1, exec_hi, v1
	v_ashrrev_i32_e32 v12, 31, v12
	v_and_b32_e32 v1, v1, v50
	v_xor_b32_e32 v50, vcc_hi, v12
	v_xor_b32_e32 v12, vcc_lo, v12
	v_and_b32_e32 v49, v49, v12
	v_lshlrev_b32_e32 v12, 28, v0
	v_mul_u32_u24_e32 v48, 36, v0
	v_cmp_gt_i64_e32 vcc, 0, v[11:12]
	v_not_b32_e32 v0, v12
	v_ashrrev_i32_e32 v0, 31, v0
	v_xor_b32_e32 v12, vcc_hi, v0
	v_xor_b32_e32 v0, vcc_lo, v0
	v_and_b32_e32 v1, v1, v50
	v_and_b32_e32 v0, v49, v0
	;; [unrolled: 1-line block ×3, first 2 shown]
	v_mbcnt_lo_u32_b32 v12, v0, 0
	v_mbcnt_hi_u32_b32 v49, v1, v12
	v_cmp_ne_u64_e32 vcc, 0, v[0:1]
	v_cmp_eq_u32_e64 s[26:27], 0, v49
	s_and_b64 s[38:39], s[26:27], vcc
	; wave barrier
	s_and_saveexec_b64 s[26:27], s[38:39]
	s_cbranch_execz .LBB89_26
; %bb.25:                               ;   in Loop: Header=BB89_4 Depth=2
	v_bcnt_u32_b32 v0, v0, 0
	v_bcnt_u32_b32 v0, v1, v0
	s_waitcnt lgkmcnt(0)
	v_add_u32_e32 v0, v47, v0
	v_add_u32_e32 v1, v2, v48
	ds_write_b32 v1, v0 offset:32
.LBB89_26:                              ;   in Loop: Header=BB89_4 Depth=2
	s_or_b64 exec, exec, s[26:27]
	v_lshlrev_b32_sdwa v0, s36, v5 dst_sel:DWORD dst_unused:UNUSED_PAD src0_sel:DWORD src1_sel:BYTE_3
	v_lshrrev_b32_e32 v0, 28, v0
	v_mad_u32_u24 v1, v0, 36, v2
	; wave barrier
	ds_read_b32 v50, v1 offset:32
	v_and_b32_e32 v1, 1, v0
	v_add_co_u32_e32 v12, vcc, -1, v1
	v_addc_co_u32_e64 v52, s[26:27], 0, -1, vcc
	v_cmp_ne_u32_e32 vcc, 0, v1
	v_xor_b32_e32 v12, vcc_lo, v12
	v_xor_b32_e32 v1, vcc_hi, v52
	v_and_b32_e32 v52, exec_lo, v12
	v_lshlrev_b32_e32 v12, 30, v0
	v_cmp_gt_i64_e32 vcc, 0, v[11:12]
	v_not_b32_e32 v12, v12
	v_ashrrev_i32_e32 v12, 31, v12
	v_xor_b32_e32 v53, vcc_hi, v12
	v_xor_b32_e32 v12, vcc_lo, v12
	v_and_b32_e32 v52, v52, v12
	v_lshlrev_b32_e32 v12, 29, v0
	v_cmp_gt_i64_e32 vcc, 0, v[11:12]
	v_not_b32_e32 v12, v12
	v_and_b32_e32 v1, exec_hi, v1
	v_ashrrev_i32_e32 v12, 31, v12
	v_and_b32_e32 v1, v1, v53
	v_xor_b32_e32 v53, vcc_hi, v12
	v_xor_b32_e32 v12, vcc_lo, v12
	v_and_b32_e32 v52, v52, v12
	v_lshlrev_b32_e32 v12, 28, v0
	v_mul_u32_u24_e32 v51, 36, v0
	v_cmp_gt_i64_e32 vcc, 0, v[11:12]
	v_not_b32_e32 v0, v12
	v_ashrrev_i32_e32 v0, 31, v0
	v_xor_b32_e32 v12, vcc_hi, v0
	v_xor_b32_e32 v0, vcc_lo, v0
	v_and_b32_e32 v1, v1, v53
	v_and_b32_e32 v0, v52, v0
	;; [unrolled: 1-line block ×3, first 2 shown]
	v_mbcnt_lo_u32_b32 v12, v0, 0
	v_mbcnt_hi_u32_b32 v52, v1, v12
	v_cmp_ne_u64_e32 vcc, 0, v[0:1]
	v_cmp_eq_u32_e64 s[26:27], 0, v52
	s_and_b64 s[38:39], s[26:27], vcc
	; wave barrier
	s_and_saveexec_b64 s[26:27], s[38:39]
	s_cbranch_execz .LBB89_28
; %bb.27:                               ;   in Loop: Header=BB89_4 Depth=2
	v_bcnt_u32_b32 v0, v0, 0
	v_bcnt_u32_b32 v0, v1, v0
	s_waitcnt lgkmcnt(0)
	v_add_u32_e32 v0, v50, v0
	v_add_u32_e32 v1, v2, v51
	ds_write_b32 v1, v0 offset:32
.LBB89_28:                              ;   in Loop: Header=BB89_4 Depth=2
	s_or_b64 exec, exec, s[26:27]
	v_lshlrev_b32_sdwa v0, s36, v6 dst_sel:DWORD dst_unused:UNUSED_PAD src0_sel:DWORD src1_sel:BYTE_0
	v_lshrrev_b32_e32 v0, 28, v0
	v_mad_u32_u24 v1, v0, 36, v2
	; wave barrier
	ds_read_b32 v53, v1 offset:32
	v_and_b32_e32 v1, 1, v0
	v_add_co_u32_e32 v12, vcc, -1, v1
	v_addc_co_u32_e64 v55, s[26:27], 0, -1, vcc
	v_cmp_ne_u32_e32 vcc, 0, v1
	v_xor_b32_e32 v12, vcc_lo, v12
	v_xor_b32_e32 v1, vcc_hi, v55
	v_and_b32_e32 v55, exec_lo, v12
	v_lshlrev_b32_e32 v12, 30, v0
	v_cmp_gt_i64_e32 vcc, 0, v[11:12]
	v_not_b32_e32 v12, v12
	v_ashrrev_i32_e32 v12, 31, v12
	v_xor_b32_e32 v56, vcc_hi, v12
	v_xor_b32_e32 v12, vcc_lo, v12
	v_and_b32_e32 v55, v55, v12
	v_lshlrev_b32_e32 v12, 29, v0
	v_cmp_gt_i64_e32 vcc, 0, v[11:12]
	v_not_b32_e32 v12, v12
	v_and_b32_e32 v1, exec_hi, v1
	v_ashrrev_i32_e32 v12, 31, v12
	v_and_b32_e32 v1, v1, v56
	v_xor_b32_e32 v56, vcc_hi, v12
	v_xor_b32_e32 v12, vcc_lo, v12
	v_and_b32_e32 v55, v55, v12
	v_lshlrev_b32_e32 v12, 28, v0
	v_mul_u32_u24_e32 v54, 36, v0
	v_cmp_gt_i64_e32 vcc, 0, v[11:12]
	v_not_b32_e32 v0, v12
	v_ashrrev_i32_e32 v0, 31, v0
	v_xor_b32_e32 v12, vcc_hi, v0
	v_xor_b32_e32 v0, vcc_lo, v0
	v_and_b32_e32 v1, v1, v56
	v_and_b32_e32 v0, v55, v0
	;; [unrolled: 1-line block ×3, first 2 shown]
	v_mbcnt_lo_u32_b32 v12, v0, 0
	v_mbcnt_hi_u32_b32 v55, v1, v12
	v_cmp_ne_u64_e32 vcc, 0, v[0:1]
	v_cmp_eq_u32_e64 s[26:27], 0, v55
	s_and_b64 s[38:39], s[26:27], vcc
	; wave barrier
	s_and_saveexec_b64 s[26:27], s[38:39]
	s_cbranch_execz .LBB89_30
; %bb.29:                               ;   in Loop: Header=BB89_4 Depth=2
	v_bcnt_u32_b32 v0, v0, 0
	v_bcnt_u32_b32 v0, v1, v0
	s_waitcnt lgkmcnt(0)
	v_add_u32_e32 v0, v53, v0
	v_add_u32_e32 v1, v2, v54
	ds_write_b32 v1, v0 offset:32
.LBB89_30:                              ;   in Loop: Header=BB89_4 Depth=2
	s_or_b64 exec, exec, s[26:27]
	v_lshlrev_b32_sdwa v0, s36, v6 dst_sel:DWORD dst_unused:UNUSED_PAD src0_sel:DWORD src1_sel:BYTE_1
	v_lshrrev_b32_e32 v0, 28, v0
	v_mad_u32_u24 v1, v0, 36, v2
	; wave barrier
	ds_read_b32 v56, v1 offset:32
	v_and_b32_e32 v1, 1, v0
	v_add_co_u32_e32 v12, vcc, -1, v1
	v_addc_co_u32_e64 v58, s[26:27], 0, -1, vcc
	v_cmp_ne_u32_e32 vcc, 0, v1
	v_xor_b32_e32 v12, vcc_lo, v12
	v_xor_b32_e32 v1, vcc_hi, v58
	v_and_b32_e32 v58, exec_lo, v12
	v_lshlrev_b32_e32 v12, 30, v0
	v_cmp_gt_i64_e32 vcc, 0, v[11:12]
	v_not_b32_e32 v12, v12
	v_ashrrev_i32_e32 v12, 31, v12
	v_xor_b32_e32 v59, vcc_hi, v12
	v_xor_b32_e32 v12, vcc_lo, v12
	v_and_b32_e32 v58, v58, v12
	v_lshlrev_b32_e32 v12, 29, v0
	v_cmp_gt_i64_e32 vcc, 0, v[11:12]
	v_not_b32_e32 v12, v12
	v_and_b32_e32 v1, exec_hi, v1
	v_ashrrev_i32_e32 v12, 31, v12
	v_and_b32_e32 v1, v1, v59
	v_xor_b32_e32 v59, vcc_hi, v12
	v_xor_b32_e32 v12, vcc_lo, v12
	v_and_b32_e32 v58, v58, v12
	v_lshlrev_b32_e32 v12, 28, v0
	v_mul_u32_u24_e32 v57, 36, v0
	v_cmp_gt_i64_e32 vcc, 0, v[11:12]
	v_not_b32_e32 v0, v12
	v_ashrrev_i32_e32 v0, 31, v0
	v_xor_b32_e32 v12, vcc_hi, v0
	v_xor_b32_e32 v0, vcc_lo, v0
	v_and_b32_e32 v1, v1, v59
	v_and_b32_e32 v0, v58, v0
	;; [unrolled: 1-line block ×3, first 2 shown]
	v_mbcnt_lo_u32_b32 v12, v0, 0
	v_mbcnt_hi_u32_b32 v58, v1, v12
	v_cmp_ne_u64_e32 vcc, 0, v[0:1]
	v_cmp_eq_u32_e64 s[26:27], 0, v58
	s_and_b64 s[38:39], s[26:27], vcc
	; wave barrier
	s_and_saveexec_b64 s[26:27], s[38:39]
	s_cbranch_execz .LBB89_32
; %bb.31:                               ;   in Loop: Header=BB89_4 Depth=2
	v_bcnt_u32_b32 v0, v0, 0
	v_bcnt_u32_b32 v0, v1, v0
	s_waitcnt lgkmcnt(0)
	v_add_u32_e32 v0, v56, v0
	v_add_u32_e32 v1, v2, v57
	ds_write_b32 v1, v0 offset:32
.LBB89_32:                              ;   in Loop: Header=BB89_4 Depth=2
	s_or_b64 exec, exec, s[26:27]
	v_lshlrev_b32_sdwa v0, s36, v6 dst_sel:DWORD dst_unused:UNUSED_PAD src0_sel:DWORD src1_sel:BYTE_2
	v_lshrrev_b32_e32 v0, 28, v0
	v_mad_u32_u24 v1, v0, 36, v2
	; wave barrier
	ds_read_b32 v59, v1 offset:32
	v_and_b32_e32 v1, 1, v0
	v_add_co_u32_e32 v12, vcc, -1, v1
	v_addc_co_u32_e64 v61, s[26:27], 0, -1, vcc
	v_cmp_ne_u32_e32 vcc, 0, v1
	v_xor_b32_e32 v12, vcc_lo, v12
	v_xor_b32_e32 v1, vcc_hi, v61
	v_and_b32_e32 v61, exec_lo, v12
	v_lshlrev_b32_e32 v12, 30, v0
	v_cmp_gt_i64_e32 vcc, 0, v[11:12]
	v_not_b32_e32 v12, v12
	v_ashrrev_i32_e32 v12, 31, v12
	v_xor_b32_e32 v62, vcc_hi, v12
	v_xor_b32_e32 v12, vcc_lo, v12
	v_and_b32_e32 v61, v61, v12
	v_lshlrev_b32_e32 v12, 29, v0
	v_cmp_gt_i64_e32 vcc, 0, v[11:12]
	v_not_b32_e32 v12, v12
	v_and_b32_e32 v1, exec_hi, v1
	v_ashrrev_i32_e32 v12, 31, v12
	v_and_b32_e32 v1, v1, v62
	v_xor_b32_e32 v62, vcc_hi, v12
	v_xor_b32_e32 v12, vcc_lo, v12
	v_and_b32_e32 v61, v61, v12
	v_lshlrev_b32_e32 v12, 28, v0
	v_mul_u32_u24_e32 v60, 36, v0
	v_cmp_gt_i64_e32 vcc, 0, v[11:12]
	v_not_b32_e32 v0, v12
	v_ashrrev_i32_e32 v0, 31, v0
	v_xor_b32_e32 v12, vcc_hi, v0
	v_xor_b32_e32 v0, vcc_lo, v0
	v_and_b32_e32 v1, v1, v62
	v_and_b32_e32 v0, v61, v0
	;; [unrolled: 1-line block ×3, first 2 shown]
	v_mbcnt_lo_u32_b32 v12, v0, 0
	v_mbcnt_hi_u32_b32 v61, v1, v12
	v_cmp_ne_u64_e32 vcc, 0, v[0:1]
	v_cmp_eq_u32_e64 s[26:27], 0, v61
	s_and_b64 s[38:39], s[26:27], vcc
	; wave barrier
	s_and_saveexec_b64 s[26:27], s[38:39]
	s_cbranch_execz .LBB89_34
; %bb.33:                               ;   in Loop: Header=BB89_4 Depth=2
	v_bcnt_u32_b32 v0, v0, 0
	v_bcnt_u32_b32 v0, v1, v0
	s_waitcnt lgkmcnt(0)
	v_add_u32_e32 v0, v59, v0
	v_add_u32_e32 v1, v2, v60
	ds_write_b32 v1, v0 offset:32
.LBB89_34:                              ;   in Loop: Header=BB89_4 Depth=2
	s_or_b64 exec, exec, s[26:27]
	v_lshlrev_b32_sdwa v0, s36, v6 dst_sel:DWORD dst_unused:UNUSED_PAD src0_sel:DWORD src1_sel:BYTE_3
	v_lshrrev_b32_e32 v0, 28, v0
	v_mad_u32_u24 v1, v0, 36, v2
	; wave barrier
	ds_read_b32 v62, v1 offset:32
	v_and_b32_e32 v1, 1, v0
	v_add_co_u32_e32 v12, vcc, -1, v1
	v_addc_co_u32_e64 v63, s[26:27], 0, -1, vcc
	v_cmp_ne_u32_e32 vcc, 0, v1
	v_xor_b32_e32 v12, vcc_lo, v12
	v_xor_b32_e32 v1, vcc_hi, v63
	v_and_b32_e32 v63, exec_lo, v12
	v_lshlrev_b32_e32 v12, 30, v0
	v_cmp_gt_i64_e32 vcc, 0, v[11:12]
	v_not_b32_e32 v12, v12
	v_ashrrev_i32_e32 v12, 31, v12
	v_xor_b32_e32 v65, vcc_hi, v12
	v_xor_b32_e32 v12, vcc_lo, v12
	v_and_b32_e32 v63, v63, v12
	v_lshlrev_b32_e32 v12, 29, v0
	v_cmp_gt_i64_e32 vcc, 0, v[11:12]
	v_not_b32_e32 v12, v12
	v_and_b32_e32 v1, exec_hi, v1
	v_ashrrev_i32_e32 v12, 31, v12
	v_and_b32_e32 v1, v1, v65
	v_xor_b32_e32 v65, vcc_hi, v12
	v_xor_b32_e32 v12, vcc_lo, v12
	v_and_b32_e32 v63, v63, v12
	v_lshlrev_b32_e32 v12, 28, v0
	v_mul_u32_u24_e32 v64, 36, v0
	v_cmp_gt_i64_e32 vcc, 0, v[11:12]
	v_not_b32_e32 v0, v12
	v_ashrrev_i32_e32 v0, 31, v0
	v_xor_b32_e32 v12, vcc_hi, v0
	v_xor_b32_e32 v0, vcc_lo, v0
	v_and_b32_e32 v1, v1, v65
	v_and_b32_e32 v0, v63, v0
	v_and_b32_e32 v1, v1, v12
	v_mbcnt_lo_u32_b32 v12, v0, 0
	v_mbcnt_hi_u32_b32 v66, v1, v12
	v_cmp_ne_u64_e32 vcc, 0, v[0:1]
	v_cmp_eq_u32_e64 s[26:27], 0, v66
	s_and_b64 s[38:39], s[26:27], vcc
	; wave barrier
	s_and_saveexec_b64 s[26:27], s[38:39]
	s_cbranch_execz .LBB89_36
; %bb.35:                               ;   in Loop: Header=BB89_4 Depth=2
	v_bcnt_u32_b32 v0, v0, 0
	v_bcnt_u32_b32 v0, v1, v0
	s_waitcnt lgkmcnt(0)
	v_add_u32_e32 v0, v62, v0
	v_add_u32_e32 v1, v2, v64
	ds_write_b32 v1, v0 offset:32
.LBB89_36:                              ;   in Loop: Header=BB89_4 Depth=2
	s_or_b64 exec, exec, s[26:27]
	v_lshlrev_b32_sdwa v0, s36, v7 dst_sel:DWORD dst_unused:UNUSED_PAD src0_sel:DWORD src1_sel:BYTE_0
	v_lshrrev_b32_e32 v0, 28, v0
	v_mad_u32_u24 v1, v0, 36, v2
	; wave barrier
	ds_read_b32 v63, v1 offset:32
	v_and_b32_e32 v1, 1, v0
	v_add_co_u32_e32 v12, vcc, -1, v1
	v_addc_co_u32_e64 v67, s[26:27], 0, -1, vcc
	v_cmp_ne_u32_e32 vcc, 0, v1
	v_xor_b32_e32 v12, vcc_lo, v12
	v_xor_b32_e32 v1, vcc_hi, v67
	v_and_b32_e32 v67, exec_lo, v12
	v_lshlrev_b32_e32 v12, 30, v0
	v_cmp_gt_i64_e32 vcc, 0, v[11:12]
	v_not_b32_e32 v12, v12
	v_ashrrev_i32_e32 v12, 31, v12
	v_xor_b32_e32 v68, vcc_hi, v12
	v_xor_b32_e32 v12, vcc_lo, v12
	v_and_b32_e32 v67, v67, v12
	v_lshlrev_b32_e32 v12, 29, v0
	v_cmp_gt_i64_e32 vcc, 0, v[11:12]
	v_not_b32_e32 v12, v12
	v_and_b32_e32 v1, exec_hi, v1
	v_ashrrev_i32_e32 v12, 31, v12
	v_and_b32_e32 v1, v1, v68
	v_xor_b32_e32 v68, vcc_hi, v12
	v_xor_b32_e32 v12, vcc_lo, v12
	v_and_b32_e32 v67, v67, v12
	v_lshlrev_b32_e32 v12, 28, v0
	v_mul_u32_u24_e32 v65, 36, v0
	v_cmp_gt_i64_e32 vcc, 0, v[11:12]
	v_not_b32_e32 v0, v12
	v_ashrrev_i32_e32 v0, 31, v0
	v_xor_b32_e32 v12, vcc_hi, v0
	v_xor_b32_e32 v0, vcc_lo, v0
	v_and_b32_e32 v1, v1, v68
	v_and_b32_e32 v0, v67, v0
	;; [unrolled: 1-line block ×3, first 2 shown]
	v_mbcnt_lo_u32_b32 v12, v0, 0
	v_mbcnt_hi_u32_b32 v67, v1, v12
	v_cmp_ne_u64_e32 vcc, 0, v[0:1]
	v_cmp_eq_u32_e64 s[26:27], 0, v67
	s_and_b64 s[38:39], s[26:27], vcc
	; wave barrier
	s_and_saveexec_b64 s[26:27], s[38:39]
	s_cbranch_execz .LBB89_38
; %bb.37:                               ;   in Loop: Header=BB89_4 Depth=2
	v_bcnt_u32_b32 v0, v0, 0
	v_bcnt_u32_b32 v0, v1, v0
	s_waitcnt lgkmcnt(0)
	v_add_u32_e32 v0, v63, v0
	v_add_u32_e32 v1, v2, v65
	ds_write_b32 v1, v0 offset:32
.LBB89_38:                              ;   in Loop: Header=BB89_4 Depth=2
	s_or_b64 exec, exec, s[26:27]
	v_lshlrev_b32_sdwa v0, s36, v7 dst_sel:DWORD dst_unused:UNUSED_PAD src0_sel:DWORD src1_sel:BYTE_1
	v_lshrrev_b32_e32 v0, 28, v0
	v_mad_u32_u24 v1, v0, 36, v2
	; wave barrier
	ds_read_b32 v68, v1 offset:32
	v_and_b32_e32 v1, 1, v0
	v_add_co_u32_e32 v12, vcc, -1, v1
	v_addc_co_u32_e64 v70, s[26:27], 0, -1, vcc
	v_cmp_ne_u32_e32 vcc, 0, v1
	v_xor_b32_e32 v12, vcc_lo, v12
	v_xor_b32_e32 v1, vcc_hi, v70
	v_and_b32_e32 v70, exec_lo, v12
	v_lshlrev_b32_e32 v12, 30, v0
	v_cmp_gt_i64_e32 vcc, 0, v[11:12]
	v_not_b32_e32 v12, v12
	v_ashrrev_i32_e32 v12, 31, v12
	v_xor_b32_e32 v71, vcc_hi, v12
	v_xor_b32_e32 v12, vcc_lo, v12
	v_and_b32_e32 v70, v70, v12
	v_lshlrev_b32_e32 v12, 29, v0
	v_cmp_gt_i64_e32 vcc, 0, v[11:12]
	v_not_b32_e32 v12, v12
	v_and_b32_e32 v1, exec_hi, v1
	v_ashrrev_i32_e32 v12, 31, v12
	v_and_b32_e32 v1, v1, v71
	v_xor_b32_e32 v71, vcc_hi, v12
	v_xor_b32_e32 v12, vcc_lo, v12
	v_and_b32_e32 v70, v70, v12
	v_lshlrev_b32_e32 v12, 28, v0
	v_mul_u32_u24_e32 v69, 36, v0
	v_cmp_gt_i64_e32 vcc, 0, v[11:12]
	v_not_b32_e32 v0, v12
	v_ashrrev_i32_e32 v0, 31, v0
	v_xor_b32_e32 v12, vcc_hi, v0
	v_xor_b32_e32 v0, vcc_lo, v0
	v_and_b32_e32 v1, v1, v71
	v_and_b32_e32 v0, v70, v0
	;; [unrolled: 1-line block ×3, first 2 shown]
	v_mbcnt_lo_u32_b32 v12, v0, 0
	v_mbcnt_hi_u32_b32 v70, v1, v12
	v_cmp_ne_u64_e32 vcc, 0, v[0:1]
	v_cmp_eq_u32_e64 s[26:27], 0, v70
	s_and_b64 s[38:39], s[26:27], vcc
	; wave barrier
	s_and_saveexec_b64 s[26:27], s[38:39]
	s_cbranch_execz .LBB89_40
; %bb.39:                               ;   in Loop: Header=BB89_4 Depth=2
	v_bcnt_u32_b32 v0, v0, 0
	v_bcnt_u32_b32 v0, v1, v0
	s_waitcnt lgkmcnt(0)
	v_add_u32_e32 v0, v68, v0
	v_add_u32_e32 v1, v2, v69
	ds_write_b32 v1, v0 offset:32
.LBB89_40:                              ;   in Loop: Header=BB89_4 Depth=2
	s_or_b64 exec, exec, s[26:27]
	v_lshlrev_b32_sdwa v0, s36, v7 dst_sel:DWORD dst_unused:UNUSED_PAD src0_sel:DWORD src1_sel:BYTE_2
	v_lshrrev_b32_e32 v0, 28, v0
	v_mad_u32_u24 v1, v0, 36, v2
	; wave barrier
	ds_read_b32 v71, v1 offset:32
	v_and_b32_e32 v1, 1, v0
	v_add_co_u32_e32 v12, vcc, -1, v1
	v_addc_co_u32_e64 v73, s[26:27], 0, -1, vcc
	v_cmp_ne_u32_e32 vcc, 0, v1
	v_xor_b32_e32 v12, vcc_lo, v12
	v_xor_b32_e32 v1, vcc_hi, v73
	v_and_b32_e32 v73, exec_lo, v12
	v_lshlrev_b32_e32 v12, 30, v0
	v_cmp_gt_i64_e32 vcc, 0, v[11:12]
	v_not_b32_e32 v12, v12
	v_ashrrev_i32_e32 v12, 31, v12
	v_xor_b32_e32 v74, vcc_hi, v12
	v_xor_b32_e32 v12, vcc_lo, v12
	v_and_b32_e32 v73, v73, v12
	v_lshlrev_b32_e32 v12, 29, v0
	v_cmp_gt_i64_e32 vcc, 0, v[11:12]
	v_not_b32_e32 v12, v12
	v_and_b32_e32 v1, exec_hi, v1
	v_ashrrev_i32_e32 v12, 31, v12
	v_and_b32_e32 v1, v1, v74
	v_xor_b32_e32 v74, vcc_hi, v12
	v_xor_b32_e32 v12, vcc_lo, v12
	v_and_b32_e32 v73, v73, v12
	v_lshlrev_b32_e32 v12, 28, v0
	v_mul_u32_u24_e32 v72, 36, v0
	v_cmp_gt_i64_e32 vcc, 0, v[11:12]
	v_not_b32_e32 v0, v12
	v_ashrrev_i32_e32 v0, 31, v0
	v_xor_b32_e32 v12, vcc_hi, v0
	v_xor_b32_e32 v0, vcc_lo, v0
	v_and_b32_e32 v1, v1, v74
	v_and_b32_e32 v0, v73, v0
	;; [unrolled: 1-line block ×3, first 2 shown]
	v_mbcnt_lo_u32_b32 v12, v0, 0
	v_mbcnt_hi_u32_b32 v73, v1, v12
	v_cmp_ne_u64_e32 vcc, 0, v[0:1]
	v_cmp_eq_u32_e64 s[26:27], 0, v73
	s_and_b64 s[38:39], s[26:27], vcc
	; wave barrier
	s_and_saveexec_b64 s[26:27], s[38:39]
	s_cbranch_execz .LBB89_42
; %bb.41:                               ;   in Loop: Header=BB89_4 Depth=2
	v_bcnt_u32_b32 v0, v0, 0
	v_bcnt_u32_b32 v0, v1, v0
	s_waitcnt lgkmcnt(0)
	v_add_u32_e32 v0, v71, v0
	v_add_u32_e32 v1, v2, v72
	ds_write_b32 v1, v0 offset:32
.LBB89_42:                              ;   in Loop: Header=BB89_4 Depth=2
	s_or_b64 exec, exec, s[26:27]
	v_lshlrev_b32_sdwa v0, s36, v7 dst_sel:DWORD dst_unused:UNUSED_PAD src0_sel:DWORD src1_sel:BYTE_3
	v_lshrrev_b32_e32 v0, 28, v0
	v_mad_u32_u24 v1, v0, 36, v2
	; wave barrier
	ds_read_b32 v74, v1 offset:32
	v_and_b32_e32 v1, 1, v0
	v_add_co_u32_e32 v12, vcc, -1, v1
	v_addc_co_u32_e64 v76, s[26:27], 0, -1, vcc
	v_cmp_ne_u32_e32 vcc, 0, v1
	v_xor_b32_e32 v12, vcc_lo, v12
	v_xor_b32_e32 v1, vcc_hi, v76
	v_and_b32_e32 v76, exec_lo, v12
	v_lshlrev_b32_e32 v12, 30, v0
	v_cmp_gt_i64_e32 vcc, 0, v[11:12]
	v_not_b32_e32 v12, v12
	v_ashrrev_i32_e32 v12, 31, v12
	v_xor_b32_e32 v77, vcc_hi, v12
	v_xor_b32_e32 v12, vcc_lo, v12
	v_and_b32_e32 v76, v76, v12
	v_lshlrev_b32_e32 v12, 29, v0
	v_cmp_gt_i64_e32 vcc, 0, v[11:12]
	v_not_b32_e32 v12, v12
	v_and_b32_e32 v1, exec_hi, v1
	v_ashrrev_i32_e32 v12, 31, v12
	v_and_b32_e32 v1, v1, v77
	v_xor_b32_e32 v77, vcc_hi, v12
	v_xor_b32_e32 v12, vcc_lo, v12
	v_and_b32_e32 v76, v76, v12
	v_lshlrev_b32_e32 v12, 28, v0
	v_mul_u32_u24_e32 v75, 36, v0
	v_cmp_gt_i64_e32 vcc, 0, v[11:12]
	v_not_b32_e32 v0, v12
	v_ashrrev_i32_e32 v0, 31, v0
	v_xor_b32_e32 v12, vcc_hi, v0
	v_xor_b32_e32 v0, vcc_lo, v0
	v_and_b32_e32 v1, v1, v77
	v_and_b32_e32 v0, v76, v0
	;; [unrolled: 1-line block ×3, first 2 shown]
	v_mbcnt_lo_u32_b32 v12, v0, 0
	v_mbcnt_hi_u32_b32 v76, v1, v12
	v_cmp_ne_u64_e32 vcc, 0, v[0:1]
	v_cmp_eq_u32_e64 s[26:27], 0, v76
	s_and_b64 s[38:39], s[26:27], vcc
	; wave barrier
	s_and_saveexec_b64 s[26:27], s[38:39]
	s_cbranch_execz .LBB89_44
; %bb.43:                               ;   in Loop: Header=BB89_4 Depth=2
	v_bcnt_u32_b32 v0, v0, 0
	v_bcnt_u32_b32 v0, v1, v0
	s_waitcnt lgkmcnt(0)
	v_add_u32_e32 v0, v74, v0
	v_add_u32_e32 v1, v2, v75
	ds_write_b32 v1, v0 offset:32
.LBB89_44:                              ;   in Loop: Header=BB89_4 Depth=2
	s_or_b64 exec, exec, s[26:27]
	v_lshlrev_b32_sdwa v0, s36, v8 dst_sel:DWORD dst_unused:UNUSED_PAD src0_sel:DWORD src1_sel:BYTE_0
	v_lshrrev_b32_e32 v0, 28, v0
	v_mad_u32_u24 v1, v0, 36, v2
	; wave barrier
	ds_read_b32 v77, v1 offset:32
	v_and_b32_e32 v1, 1, v0
	v_add_co_u32_e32 v12, vcc, -1, v1
	v_addc_co_u32_e64 v79, s[26:27], 0, -1, vcc
	v_cmp_ne_u32_e32 vcc, 0, v1
	v_xor_b32_e32 v12, vcc_lo, v12
	v_xor_b32_e32 v1, vcc_hi, v79
	v_and_b32_e32 v79, exec_lo, v12
	v_lshlrev_b32_e32 v12, 30, v0
	v_cmp_gt_i64_e32 vcc, 0, v[11:12]
	v_not_b32_e32 v12, v12
	v_ashrrev_i32_e32 v12, 31, v12
	v_xor_b32_e32 v80, vcc_hi, v12
	v_xor_b32_e32 v12, vcc_lo, v12
	v_and_b32_e32 v79, v79, v12
	v_lshlrev_b32_e32 v12, 29, v0
	v_cmp_gt_i64_e32 vcc, 0, v[11:12]
	v_not_b32_e32 v12, v12
	v_and_b32_e32 v1, exec_hi, v1
	v_ashrrev_i32_e32 v12, 31, v12
	v_and_b32_e32 v1, v1, v80
	v_xor_b32_e32 v80, vcc_hi, v12
	v_xor_b32_e32 v12, vcc_lo, v12
	v_and_b32_e32 v79, v79, v12
	v_lshlrev_b32_e32 v12, 28, v0
	v_mul_u32_u24_e32 v78, 36, v0
	v_cmp_gt_i64_e32 vcc, 0, v[11:12]
	v_not_b32_e32 v0, v12
	v_ashrrev_i32_e32 v0, 31, v0
	v_xor_b32_e32 v12, vcc_hi, v0
	v_xor_b32_e32 v0, vcc_lo, v0
	v_and_b32_e32 v1, v1, v80
	v_and_b32_e32 v0, v79, v0
	;; [unrolled: 1-line block ×3, first 2 shown]
	v_mbcnt_lo_u32_b32 v12, v0, 0
	v_mbcnt_hi_u32_b32 v79, v1, v12
	v_cmp_ne_u64_e32 vcc, 0, v[0:1]
	v_cmp_eq_u32_e64 s[26:27], 0, v79
	s_and_b64 s[38:39], s[26:27], vcc
	; wave barrier
	s_and_saveexec_b64 s[26:27], s[38:39]
	s_cbranch_execz .LBB89_46
; %bb.45:                               ;   in Loop: Header=BB89_4 Depth=2
	v_bcnt_u32_b32 v0, v0, 0
	v_bcnt_u32_b32 v0, v1, v0
	s_waitcnt lgkmcnt(0)
	v_add_u32_e32 v0, v77, v0
	v_add_u32_e32 v1, v2, v78
	ds_write_b32 v1, v0 offset:32
.LBB89_46:                              ;   in Loop: Header=BB89_4 Depth=2
	s_or_b64 exec, exec, s[26:27]
	v_lshlrev_b32_sdwa v0, s36, v8 dst_sel:DWORD dst_unused:UNUSED_PAD src0_sel:DWORD src1_sel:BYTE_1
	v_lshrrev_b32_e32 v0, 28, v0
	v_mad_u32_u24 v1, v0, 36, v2
	; wave barrier
	ds_read_b32 v80, v1 offset:32
	v_and_b32_e32 v1, 1, v0
	v_add_co_u32_e32 v12, vcc, -1, v1
	v_addc_co_u32_e64 v82, s[26:27], 0, -1, vcc
	v_cmp_ne_u32_e32 vcc, 0, v1
	v_xor_b32_e32 v12, vcc_lo, v12
	v_xor_b32_e32 v1, vcc_hi, v82
	v_and_b32_e32 v82, exec_lo, v12
	v_lshlrev_b32_e32 v12, 30, v0
	v_cmp_gt_i64_e32 vcc, 0, v[11:12]
	v_not_b32_e32 v12, v12
	v_ashrrev_i32_e32 v12, 31, v12
	v_xor_b32_e32 v83, vcc_hi, v12
	v_xor_b32_e32 v12, vcc_lo, v12
	v_and_b32_e32 v82, v82, v12
	v_lshlrev_b32_e32 v12, 29, v0
	v_cmp_gt_i64_e32 vcc, 0, v[11:12]
	v_not_b32_e32 v12, v12
	v_and_b32_e32 v1, exec_hi, v1
	v_ashrrev_i32_e32 v12, 31, v12
	v_and_b32_e32 v1, v1, v83
	v_xor_b32_e32 v83, vcc_hi, v12
	v_xor_b32_e32 v12, vcc_lo, v12
	v_and_b32_e32 v82, v82, v12
	v_lshlrev_b32_e32 v12, 28, v0
	v_mul_u32_u24_e32 v81, 36, v0
	v_cmp_gt_i64_e32 vcc, 0, v[11:12]
	v_not_b32_e32 v0, v12
	v_ashrrev_i32_e32 v0, 31, v0
	v_xor_b32_e32 v12, vcc_hi, v0
	v_xor_b32_e32 v0, vcc_lo, v0
	v_and_b32_e32 v1, v1, v83
	v_and_b32_e32 v0, v82, v0
	v_and_b32_e32 v1, v1, v12
	v_mbcnt_lo_u32_b32 v12, v0, 0
	v_mbcnt_hi_u32_b32 v82, v1, v12
	v_cmp_ne_u64_e32 vcc, 0, v[0:1]
	v_cmp_eq_u32_e64 s[26:27], 0, v82
	s_and_b64 s[38:39], s[26:27], vcc
	; wave barrier
	s_and_saveexec_b64 s[26:27], s[38:39]
	s_cbranch_execz .LBB89_48
; %bb.47:                               ;   in Loop: Header=BB89_4 Depth=2
	v_bcnt_u32_b32 v0, v0, 0
	v_bcnt_u32_b32 v0, v1, v0
	s_waitcnt lgkmcnt(0)
	v_add_u32_e32 v0, v80, v0
	v_add_u32_e32 v1, v2, v81
	ds_write_b32 v1, v0 offset:32
.LBB89_48:                              ;   in Loop: Header=BB89_4 Depth=2
	s_or_b64 exec, exec, s[26:27]
	v_lshlrev_b32_sdwa v0, s36, v8 dst_sel:DWORD dst_unused:UNUSED_PAD src0_sel:DWORD src1_sel:BYTE_2
	v_lshrrev_b32_e32 v0, 28, v0
	v_mad_u32_u24 v1, v0, 36, v2
	; wave barrier
	ds_read_b32 v83, v1 offset:32
	v_and_b32_e32 v1, 1, v0
	v_add_co_u32_e32 v12, vcc, -1, v1
	v_addc_co_u32_e64 v85, s[26:27], 0, -1, vcc
	v_cmp_ne_u32_e32 vcc, 0, v1
	v_xor_b32_e32 v12, vcc_lo, v12
	v_xor_b32_e32 v1, vcc_hi, v85
	v_and_b32_e32 v85, exec_lo, v12
	v_lshlrev_b32_e32 v12, 30, v0
	v_cmp_gt_i64_e32 vcc, 0, v[11:12]
	v_not_b32_e32 v12, v12
	v_ashrrev_i32_e32 v12, 31, v12
	v_xor_b32_e32 v86, vcc_hi, v12
	v_xor_b32_e32 v12, vcc_lo, v12
	v_and_b32_e32 v85, v85, v12
	v_lshlrev_b32_e32 v12, 29, v0
	v_cmp_gt_i64_e32 vcc, 0, v[11:12]
	v_not_b32_e32 v12, v12
	v_and_b32_e32 v1, exec_hi, v1
	v_ashrrev_i32_e32 v12, 31, v12
	v_and_b32_e32 v1, v1, v86
	v_xor_b32_e32 v86, vcc_hi, v12
	v_xor_b32_e32 v12, vcc_lo, v12
	v_and_b32_e32 v85, v85, v12
	v_lshlrev_b32_e32 v12, 28, v0
	v_mul_u32_u24_e32 v84, 36, v0
	v_cmp_gt_i64_e32 vcc, 0, v[11:12]
	v_not_b32_e32 v0, v12
	v_ashrrev_i32_e32 v0, 31, v0
	v_xor_b32_e32 v12, vcc_hi, v0
	v_xor_b32_e32 v0, vcc_lo, v0
	v_and_b32_e32 v1, v1, v86
	v_and_b32_e32 v0, v85, v0
	;; [unrolled: 1-line block ×3, first 2 shown]
	v_mbcnt_lo_u32_b32 v12, v0, 0
	v_mbcnt_hi_u32_b32 v85, v1, v12
	v_cmp_ne_u64_e32 vcc, 0, v[0:1]
	v_cmp_eq_u32_e64 s[26:27], 0, v85
	s_and_b64 s[38:39], s[26:27], vcc
	; wave barrier
	s_and_saveexec_b64 s[26:27], s[38:39]
	s_cbranch_execz .LBB89_50
; %bb.49:                               ;   in Loop: Header=BB89_4 Depth=2
	v_bcnt_u32_b32 v0, v0, 0
	v_bcnt_u32_b32 v0, v1, v0
	s_waitcnt lgkmcnt(0)
	v_add_u32_e32 v0, v83, v0
	v_add_u32_e32 v1, v2, v84
	ds_write_b32 v1, v0 offset:32
.LBB89_50:                              ;   in Loop: Header=BB89_4 Depth=2
	s_or_b64 exec, exec, s[26:27]
	v_lshlrev_b32_sdwa v0, s36, v8 dst_sel:DWORD dst_unused:UNUSED_PAD src0_sel:DWORD src1_sel:BYTE_3
	v_lshrrev_b32_e32 v0, 28, v0
	v_mad_u32_u24 v1, v0, 36, v2
	; wave barrier
	ds_read_b32 v86, v1 offset:32
	v_and_b32_e32 v1, 1, v0
	v_add_co_u32_e32 v12, vcc, -1, v1
	v_addc_co_u32_e64 v88, s[26:27], 0, -1, vcc
	v_cmp_ne_u32_e32 vcc, 0, v1
	v_xor_b32_e32 v12, vcc_lo, v12
	v_xor_b32_e32 v1, vcc_hi, v88
	v_and_b32_e32 v88, exec_lo, v12
	v_lshlrev_b32_e32 v12, 30, v0
	v_cmp_gt_i64_e32 vcc, 0, v[11:12]
	v_not_b32_e32 v12, v12
	v_ashrrev_i32_e32 v12, 31, v12
	v_xor_b32_e32 v89, vcc_hi, v12
	v_xor_b32_e32 v12, vcc_lo, v12
	v_and_b32_e32 v88, v88, v12
	v_lshlrev_b32_e32 v12, 29, v0
	v_cmp_gt_i64_e32 vcc, 0, v[11:12]
	v_not_b32_e32 v12, v12
	v_and_b32_e32 v1, exec_hi, v1
	v_ashrrev_i32_e32 v12, 31, v12
	v_and_b32_e32 v1, v1, v89
	v_xor_b32_e32 v89, vcc_hi, v12
	v_xor_b32_e32 v12, vcc_lo, v12
	v_and_b32_e32 v88, v88, v12
	v_lshlrev_b32_e32 v12, 28, v0
	v_mul_u32_u24_e32 v87, 36, v0
	v_cmp_gt_i64_e32 vcc, 0, v[11:12]
	v_not_b32_e32 v0, v12
	v_ashrrev_i32_e32 v0, 31, v0
	v_xor_b32_e32 v12, vcc_hi, v0
	v_xor_b32_e32 v0, vcc_lo, v0
	v_and_b32_e32 v1, v1, v89
	v_and_b32_e32 v0, v88, v0
	;; [unrolled: 1-line block ×3, first 2 shown]
	v_mbcnt_lo_u32_b32 v12, v0, 0
	v_mbcnt_hi_u32_b32 v88, v1, v12
	v_cmp_ne_u64_e32 vcc, 0, v[0:1]
	v_cmp_eq_u32_e64 s[26:27], 0, v88
	s_and_b64 s[38:39], s[26:27], vcc
	; wave barrier
	s_and_saveexec_b64 s[26:27], s[38:39]
	s_cbranch_execz .LBB89_52
; %bb.51:                               ;   in Loop: Header=BB89_4 Depth=2
	v_bcnt_u32_b32 v0, v0, 0
	v_bcnt_u32_b32 v0, v1, v0
	s_waitcnt lgkmcnt(0)
	v_add_u32_e32 v0, v86, v0
	v_add_u32_e32 v1, v2, v87
	ds_write_b32 v1, v0 offset:32
.LBB89_52:                              ;   in Loop: Header=BB89_4 Depth=2
	s_or_b64 exec, exec, s[26:27]
	v_lshlrev_b32_sdwa v0, s36, v9 dst_sel:DWORD dst_unused:UNUSED_PAD src0_sel:DWORD src1_sel:BYTE_0
	v_lshrrev_b32_e32 v0, 28, v0
	v_mad_u32_u24 v1, v0, 36, v2
	; wave barrier
	ds_read_b32 v89, v1 offset:32
	v_and_b32_e32 v1, 1, v0
	v_add_co_u32_e32 v12, vcc, -1, v1
	v_addc_co_u32_e64 v91, s[26:27], 0, -1, vcc
	v_cmp_ne_u32_e32 vcc, 0, v1
	v_xor_b32_e32 v12, vcc_lo, v12
	v_xor_b32_e32 v1, vcc_hi, v91
	v_and_b32_e32 v91, exec_lo, v12
	v_lshlrev_b32_e32 v12, 30, v0
	v_cmp_gt_i64_e32 vcc, 0, v[11:12]
	v_not_b32_e32 v12, v12
	v_ashrrev_i32_e32 v12, 31, v12
	v_xor_b32_e32 v92, vcc_hi, v12
	v_xor_b32_e32 v12, vcc_lo, v12
	v_and_b32_e32 v91, v91, v12
	v_lshlrev_b32_e32 v12, 29, v0
	v_cmp_gt_i64_e32 vcc, 0, v[11:12]
	v_not_b32_e32 v12, v12
	v_and_b32_e32 v1, exec_hi, v1
	v_ashrrev_i32_e32 v12, 31, v12
	v_and_b32_e32 v1, v1, v92
	v_xor_b32_e32 v92, vcc_hi, v12
	v_xor_b32_e32 v12, vcc_lo, v12
	v_and_b32_e32 v91, v91, v12
	v_lshlrev_b32_e32 v12, 28, v0
	v_mul_u32_u24_e32 v90, 36, v0
	v_cmp_gt_i64_e32 vcc, 0, v[11:12]
	v_not_b32_e32 v0, v12
	v_ashrrev_i32_e32 v0, 31, v0
	v_xor_b32_e32 v12, vcc_hi, v0
	v_xor_b32_e32 v0, vcc_lo, v0
	v_and_b32_e32 v1, v1, v92
	v_and_b32_e32 v0, v91, v0
	;; [unrolled: 1-line block ×3, first 2 shown]
	v_mbcnt_lo_u32_b32 v12, v0, 0
	v_mbcnt_hi_u32_b32 v91, v1, v12
	v_cmp_ne_u64_e32 vcc, 0, v[0:1]
	v_cmp_eq_u32_e64 s[26:27], 0, v91
	s_and_b64 s[38:39], s[26:27], vcc
	; wave barrier
	s_and_saveexec_b64 s[26:27], s[38:39]
	s_cbranch_execz .LBB89_54
; %bb.53:                               ;   in Loop: Header=BB89_4 Depth=2
	v_bcnt_u32_b32 v0, v0, 0
	v_bcnt_u32_b32 v0, v1, v0
	s_waitcnt lgkmcnt(0)
	v_add_u32_e32 v0, v89, v0
	v_add_u32_e32 v1, v2, v90
	ds_write_b32 v1, v0 offset:32
.LBB89_54:                              ;   in Loop: Header=BB89_4 Depth=2
	s_or_b64 exec, exec, s[26:27]
	v_lshlrev_b32_sdwa v0, s36, v9 dst_sel:DWORD dst_unused:UNUSED_PAD src0_sel:DWORD src1_sel:BYTE_1
	v_lshrrev_b32_e32 v0, 28, v0
	v_mad_u32_u24 v1, v0, 36, v2
	; wave barrier
	ds_read_b32 v92, v1 offset:32
	v_and_b32_e32 v1, 1, v0
	v_add_co_u32_e32 v12, vcc, -1, v1
	v_addc_co_u32_e64 v94, s[26:27], 0, -1, vcc
	v_cmp_ne_u32_e32 vcc, 0, v1
	v_xor_b32_e32 v12, vcc_lo, v12
	v_xor_b32_e32 v1, vcc_hi, v94
	v_and_b32_e32 v94, exec_lo, v12
	v_lshlrev_b32_e32 v12, 30, v0
	v_cmp_gt_i64_e32 vcc, 0, v[11:12]
	v_not_b32_e32 v12, v12
	v_ashrrev_i32_e32 v12, 31, v12
	v_xor_b32_e32 v95, vcc_hi, v12
	v_xor_b32_e32 v12, vcc_lo, v12
	v_and_b32_e32 v94, v94, v12
	v_lshlrev_b32_e32 v12, 29, v0
	v_cmp_gt_i64_e32 vcc, 0, v[11:12]
	v_not_b32_e32 v12, v12
	v_and_b32_e32 v1, exec_hi, v1
	v_ashrrev_i32_e32 v12, 31, v12
	v_and_b32_e32 v1, v1, v95
	v_xor_b32_e32 v95, vcc_hi, v12
	v_xor_b32_e32 v12, vcc_lo, v12
	v_and_b32_e32 v94, v94, v12
	v_lshlrev_b32_e32 v12, 28, v0
	v_mul_u32_u24_e32 v93, 36, v0
	v_cmp_gt_i64_e32 vcc, 0, v[11:12]
	v_not_b32_e32 v0, v12
	v_ashrrev_i32_e32 v0, 31, v0
	v_xor_b32_e32 v12, vcc_hi, v0
	v_xor_b32_e32 v0, vcc_lo, v0
	v_and_b32_e32 v1, v1, v95
	v_and_b32_e32 v0, v94, v0
	;; [unrolled: 1-line block ×3, first 2 shown]
	v_mbcnt_lo_u32_b32 v12, v0, 0
	v_mbcnt_hi_u32_b32 v94, v1, v12
	v_cmp_ne_u64_e32 vcc, 0, v[0:1]
	v_cmp_eq_u32_e64 s[26:27], 0, v94
	s_and_b64 s[38:39], s[26:27], vcc
	; wave barrier
	s_and_saveexec_b64 s[26:27], s[38:39]
	s_cbranch_execz .LBB89_56
; %bb.55:                               ;   in Loop: Header=BB89_4 Depth=2
	v_bcnt_u32_b32 v0, v0, 0
	v_bcnt_u32_b32 v0, v1, v0
	s_waitcnt lgkmcnt(0)
	v_add_u32_e32 v0, v92, v0
	v_add_u32_e32 v1, v2, v93
	ds_write_b32 v1, v0 offset:32
.LBB89_56:                              ;   in Loop: Header=BB89_4 Depth=2
	s_or_b64 exec, exec, s[26:27]
	v_lshlrev_b32_sdwa v0, s36, v9 dst_sel:DWORD dst_unused:UNUSED_PAD src0_sel:DWORD src1_sel:BYTE_2
	v_lshrrev_b32_e32 v0, 28, v0
	v_mad_u32_u24 v1, v0, 36, v2
	; wave barrier
	ds_read_b32 v95, v1 offset:32
	v_and_b32_e32 v1, 1, v0
	v_add_co_u32_e32 v12, vcc, -1, v1
	v_addc_co_u32_e64 v97, s[26:27], 0, -1, vcc
	v_cmp_ne_u32_e32 vcc, 0, v1
	v_xor_b32_e32 v12, vcc_lo, v12
	v_xor_b32_e32 v1, vcc_hi, v97
	v_and_b32_e32 v97, exec_lo, v12
	v_lshlrev_b32_e32 v12, 30, v0
	v_cmp_gt_i64_e32 vcc, 0, v[11:12]
	v_not_b32_e32 v12, v12
	v_ashrrev_i32_e32 v12, 31, v12
	v_xor_b32_e32 v98, vcc_hi, v12
	v_xor_b32_e32 v12, vcc_lo, v12
	v_and_b32_e32 v97, v97, v12
	v_lshlrev_b32_e32 v12, 29, v0
	v_cmp_gt_i64_e32 vcc, 0, v[11:12]
	v_not_b32_e32 v12, v12
	v_and_b32_e32 v1, exec_hi, v1
	v_ashrrev_i32_e32 v12, 31, v12
	v_and_b32_e32 v1, v1, v98
	v_xor_b32_e32 v98, vcc_hi, v12
	v_xor_b32_e32 v12, vcc_lo, v12
	v_and_b32_e32 v97, v97, v12
	v_lshlrev_b32_e32 v12, 28, v0
	v_mul_u32_u24_e32 v96, 36, v0
	v_cmp_gt_i64_e32 vcc, 0, v[11:12]
	v_not_b32_e32 v0, v12
	v_ashrrev_i32_e32 v0, 31, v0
	v_xor_b32_e32 v12, vcc_hi, v0
	v_xor_b32_e32 v0, vcc_lo, v0
	v_and_b32_e32 v1, v1, v98
	v_and_b32_e32 v0, v97, v0
	v_and_b32_e32 v1, v1, v12
	v_mbcnt_lo_u32_b32 v12, v0, 0
	v_mbcnt_hi_u32_b32 v97, v1, v12
	v_cmp_ne_u64_e32 vcc, 0, v[0:1]
	v_cmp_eq_u32_e64 s[26:27], 0, v97
	s_and_b64 s[38:39], s[26:27], vcc
	; wave barrier
	s_and_saveexec_b64 s[26:27], s[38:39]
	s_cbranch_execz .LBB89_58
; %bb.57:                               ;   in Loop: Header=BB89_4 Depth=2
	v_bcnt_u32_b32 v0, v0, 0
	v_bcnt_u32_b32 v0, v1, v0
	s_waitcnt lgkmcnt(0)
	v_add_u32_e32 v0, v95, v0
	v_add_u32_e32 v1, v2, v96
	ds_write_b32 v1, v0 offset:32
.LBB89_58:                              ;   in Loop: Header=BB89_4 Depth=2
	s_or_b64 exec, exec, s[26:27]
	v_lshlrev_b32_sdwa v0, s36, v9 dst_sel:DWORD dst_unused:UNUSED_PAD src0_sel:DWORD src1_sel:BYTE_3
	v_lshrrev_b32_e32 v0, 28, v0
	v_mad_u32_u24 v1, v0, 36, v2
	; wave barrier
	ds_read_b32 v98, v1 offset:32
	v_and_b32_e32 v1, 1, v0
	v_add_co_u32_e32 v12, vcc, -1, v1
	v_addc_co_u32_e64 v100, s[26:27], 0, -1, vcc
	v_cmp_ne_u32_e32 vcc, 0, v1
	v_xor_b32_e32 v12, vcc_lo, v12
	v_xor_b32_e32 v1, vcc_hi, v100
	v_and_b32_e32 v100, exec_lo, v12
	v_lshlrev_b32_e32 v12, 30, v0
	v_cmp_gt_i64_e32 vcc, 0, v[11:12]
	v_not_b32_e32 v12, v12
	v_ashrrev_i32_e32 v12, 31, v12
	v_xor_b32_e32 v101, vcc_hi, v12
	v_xor_b32_e32 v12, vcc_lo, v12
	v_and_b32_e32 v100, v100, v12
	v_lshlrev_b32_e32 v12, 29, v0
	v_cmp_gt_i64_e32 vcc, 0, v[11:12]
	v_not_b32_e32 v12, v12
	v_and_b32_e32 v1, exec_hi, v1
	v_ashrrev_i32_e32 v12, 31, v12
	v_and_b32_e32 v1, v1, v101
	v_xor_b32_e32 v101, vcc_hi, v12
	v_xor_b32_e32 v12, vcc_lo, v12
	v_and_b32_e32 v100, v100, v12
	v_lshlrev_b32_e32 v12, 28, v0
	v_mul_u32_u24_e32 v99, 36, v0
	v_cmp_gt_i64_e32 vcc, 0, v[11:12]
	v_not_b32_e32 v0, v12
	v_ashrrev_i32_e32 v0, 31, v0
	v_xor_b32_e32 v12, vcc_hi, v0
	v_xor_b32_e32 v0, vcc_lo, v0
	v_and_b32_e32 v1, v1, v101
	v_and_b32_e32 v0, v100, v0
	;; [unrolled: 1-line block ×3, first 2 shown]
	v_mbcnt_lo_u32_b32 v12, v0, 0
	v_mbcnt_hi_u32_b32 v100, v1, v12
	v_cmp_ne_u64_e32 vcc, 0, v[0:1]
	v_cmp_eq_u32_e64 s[26:27], 0, v100
	s_and_b64 s[38:39], s[26:27], vcc
	; wave barrier
	s_and_saveexec_b64 s[26:27], s[38:39]
	s_cbranch_execz .LBB89_60
; %bb.59:                               ;   in Loop: Header=BB89_4 Depth=2
	v_bcnt_u32_b32 v0, v0, 0
	v_bcnt_u32_b32 v0, v1, v0
	s_waitcnt lgkmcnt(0)
	v_add_u32_e32 v0, v98, v0
	v_add_u32_e32 v1, v2, v99
	ds_write_b32 v1, v0 offset:32
.LBB89_60:                              ;   in Loop: Header=BB89_4 Depth=2
	s_or_b64 exec, exec, s[26:27]
	v_lshlrev_b32_sdwa v0, s36, v10 dst_sel:DWORD dst_unused:UNUSED_PAD src0_sel:DWORD src1_sel:BYTE_0
	v_lshrrev_b32_e32 v0, 28, v0
	v_mad_u32_u24 v1, v0, 36, v2
	; wave barrier
	ds_read_b32 v101, v1 offset:32
	v_and_b32_e32 v1, 1, v0
	v_add_co_u32_e32 v12, vcc, -1, v1
	v_addc_co_u32_e64 v103, s[26:27], 0, -1, vcc
	v_cmp_ne_u32_e32 vcc, 0, v1
	v_xor_b32_e32 v12, vcc_lo, v12
	v_xor_b32_e32 v1, vcc_hi, v103
	v_and_b32_e32 v103, exec_lo, v12
	v_lshlrev_b32_e32 v12, 30, v0
	v_cmp_gt_i64_e32 vcc, 0, v[11:12]
	v_not_b32_e32 v12, v12
	v_ashrrev_i32_e32 v12, 31, v12
	v_xor_b32_e32 v104, vcc_hi, v12
	v_xor_b32_e32 v12, vcc_lo, v12
	v_and_b32_e32 v103, v103, v12
	v_lshlrev_b32_e32 v12, 29, v0
	v_cmp_gt_i64_e32 vcc, 0, v[11:12]
	v_not_b32_e32 v12, v12
	v_and_b32_e32 v1, exec_hi, v1
	v_ashrrev_i32_e32 v12, 31, v12
	v_and_b32_e32 v1, v1, v104
	v_xor_b32_e32 v104, vcc_hi, v12
	v_xor_b32_e32 v12, vcc_lo, v12
	v_and_b32_e32 v103, v103, v12
	v_lshlrev_b32_e32 v12, 28, v0
	v_mul_u32_u24_e32 v102, 36, v0
	v_cmp_gt_i64_e32 vcc, 0, v[11:12]
	v_not_b32_e32 v0, v12
	v_ashrrev_i32_e32 v0, 31, v0
	v_xor_b32_e32 v12, vcc_hi, v0
	v_xor_b32_e32 v0, vcc_lo, v0
	v_and_b32_e32 v1, v1, v104
	v_and_b32_e32 v0, v103, v0
	;; [unrolled: 1-line block ×3, first 2 shown]
	v_mbcnt_lo_u32_b32 v12, v0, 0
	v_mbcnt_hi_u32_b32 v103, v1, v12
	v_cmp_ne_u64_e32 vcc, 0, v[0:1]
	v_cmp_eq_u32_e64 s[26:27], 0, v103
	s_and_b64 s[38:39], s[26:27], vcc
	; wave barrier
	s_and_saveexec_b64 s[26:27], s[38:39]
	s_cbranch_execz .LBB89_62
; %bb.61:                               ;   in Loop: Header=BB89_4 Depth=2
	v_bcnt_u32_b32 v0, v0, 0
	v_bcnt_u32_b32 v0, v1, v0
	s_waitcnt lgkmcnt(0)
	v_add_u32_e32 v0, v101, v0
	v_add_u32_e32 v1, v2, v102
	ds_write_b32 v1, v0 offset:32
.LBB89_62:                              ;   in Loop: Header=BB89_4 Depth=2
	s_or_b64 exec, exec, s[26:27]
	v_lshlrev_b32_sdwa v0, s36, v10 dst_sel:DWORD dst_unused:UNUSED_PAD src0_sel:DWORD src1_sel:BYTE_1
	v_lshrrev_b32_e32 v0, 28, v0
	v_mad_u32_u24 v1, v0, 36, v2
	; wave barrier
	ds_read_b32 v104, v1 offset:32
	v_and_b32_e32 v1, 1, v0
	v_add_co_u32_e32 v12, vcc, -1, v1
	v_addc_co_u32_e64 v106, s[26:27], 0, -1, vcc
	v_cmp_ne_u32_e32 vcc, 0, v1
	v_xor_b32_e32 v12, vcc_lo, v12
	v_xor_b32_e32 v1, vcc_hi, v106
	v_and_b32_e32 v106, exec_lo, v12
	v_lshlrev_b32_e32 v12, 30, v0
	v_cmp_gt_i64_e32 vcc, 0, v[11:12]
	v_not_b32_e32 v12, v12
	v_ashrrev_i32_e32 v12, 31, v12
	v_xor_b32_e32 v107, vcc_hi, v12
	v_xor_b32_e32 v12, vcc_lo, v12
	v_and_b32_e32 v106, v106, v12
	v_lshlrev_b32_e32 v12, 29, v0
	v_cmp_gt_i64_e32 vcc, 0, v[11:12]
	v_not_b32_e32 v12, v12
	v_and_b32_e32 v1, exec_hi, v1
	v_ashrrev_i32_e32 v12, 31, v12
	v_and_b32_e32 v1, v1, v107
	v_xor_b32_e32 v107, vcc_hi, v12
	v_xor_b32_e32 v12, vcc_lo, v12
	v_and_b32_e32 v106, v106, v12
	v_lshlrev_b32_e32 v12, 28, v0
	v_mul_u32_u24_e32 v105, 36, v0
	v_cmp_gt_i64_e32 vcc, 0, v[11:12]
	v_not_b32_e32 v0, v12
	v_ashrrev_i32_e32 v0, 31, v0
	v_xor_b32_e32 v12, vcc_hi, v0
	v_xor_b32_e32 v0, vcc_lo, v0
	v_and_b32_e32 v1, v1, v107
	v_and_b32_e32 v0, v106, v0
	;; [unrolled: 1-line block ×3, first 2 shown]
	v_mbcnt_lo_u32_b32 v12, v0, 0
	v_mbcnt_hi_u32_b32 v106, v1, v12
	v_cmp_ne_u64_e32 vcc, 0, v[0:1]
	v_cmp_eq_u32_e64 s[26:27], 0, v106
	s_and_b64 s[38:39], s[26:27], vcc
	; wave barrier
	s_and_saveexec_b64 s[26:27], s[38:39]
	s_cbranch_execz .LBB89_64
; %bb.63:                               ;   in Loop: Header=BB89_4 Depth=2
	v_bcnt_u32_b32 v0, v0, 0
	v_bcnt_u32_b32 v0, v1, v0
	s_waitcnt lgkmcnt(0)
	v_add_u32_e32 v0, v104, v0
	v_add_u32_e32 v1, v2, v105
	ds_write_b32 v1, v0 offset:32
.LBB89_64:                              ;   in Loop: Header=BB89_4 Depth=2
	s_or_b64 exec, exec, s[26:27]
	v_lshlrev_b32_sdwa v0, s36, v10 dst_sel:DWORD dst_unused:UNUSED_PAD src0_sel:DWORD src1_sel:BYTE_2
	v_lshrrev_b32_e32 v0, 28, v0
	v_mad_u32_u24 v1, v0, 36, v2
	; wave barrier
	ds_read_b32 v107, v1 offset:32
	v_and_b32_e32 v1, 1, v0
	v_add_co_u32_e32 v12, vcc, -1, v1
	v_addc_co_u32_e64 v109, s[26:27], 0, -1, vcc
	v_cmp_ne_u32_e32 vcc, 0, v1
	v_xor_b32_e32 v12, vcc_lo, v12
	v_xor_b32_e32 v1, vcc_hi, v109
	v_and_b32_e32 v109, exec_lo, v12
	v_lshlrev_b32_e32 v12, 30, v0
	v_cmp_gt_i64_e32 vcc, 0, v[11:12]
	v_not_b32_e32 v12, v12
	v_ashrrev_i32_e32 v12, 31, v12
	v_xor_b32_e32 v110, vcc_hi, v12
	v_xor_b32_e32 v12, vcc_lo, v12
	v_and_b32_e32 v109, v109, v12
	v_lshlrev_b32_e32 v12, 29, v0
	v_cmp_gt_i64_e32 vcc, 0, v[11:12]
	v_not_b32_e32 v12, v12
	v_and_b32_e32 v1, exec_hi, v1
	v_ashrrev_i32_e32 v12, 31, v12
	v_and_b32_e32 v1, v1, v110
	v_xor_b32_e32 v110, vcc_hi, v12
	v_xor_b32_e32 v12, vcc_lo, v12
	v_and_b32_e32 v109, v109, v12
	v_lshlrev_b32_e32 v12, 28, v0
	v_mul_u32_u24_e32 v108, 36, v0
	v_cmp_gt_i64_e32 vcc, 0, v[11:12]
	v_not_b32_e32 v0, v12
	v_ashrrev_i32_e32 v0, 31, v0
	v_xor_b32_e32 v12, vcc_hi, v0
	v_xor_b32_e32 v0, vcc_lo, v0
	v_and_b32_e32 v1, v1, v110
	v_and_b32_e32 v0, v109, v0
	;; [unrolled: 1-line block ×3, first 2 shown]
	v_mbcnt_lo_u32_b32 v12, v0, 0
	v_mbcnt_hi_u32_b32 v109, v1, v12
	v_cmp_ne_u64_e32 vcc, 0, v[0:1]
	v_cmp_eq_u32_e64 s[26:27], 0, v109
	s_and_b64 s[38:39], s[26:27], vcc
	; wave barrier
	s_and_saveexec_b64 s[26:27], s[38:39]
	s_cbranch_execz .LBB89_66
; %bb.65:                               ;   in Loop: Header=BB89_4 Depth=2
	v_bcnt_u32_b32 v0, v0, 0
	v_bcnt_u32_b32 v0, v1, v0
	s_waitcnt lgkmcnt(0)
	v_add_u32_e32 v0, v107, v0
	v_add_u32_e32 v1, v2, v108
	ds_write_b32 v1, v0 offset:32
.LBB89_66:                              ;   in Loop: Header=BB89_4 Depth=2
	s_or_b64 exec, exec, s[26:27]
	v_lshlrev_b32_sdwa v0, s36, v10 dst_sel:DWORD dst_unused:UNUSED_PAD src0_sel:DWORD src1_sel:BYTE_3
	v_lshrrev_b32_e32 v0, 28, v0
	v_mad_u32_u24 v1, v0, 36, v2
	; wave barrier
	ds_read_b32 v110, v1 offset:32
	v_and_b32_e32 v1, 1, v0
	v_add_co_u32_e32 v12, vcc, -1, v1
	v_addc_co_u32_e64 v112, s[26:27], 0, -1, vcc
	v_cmp_ne_u32_e32 vcc, 0, v1
	v_xor_b32_e32 v12, vcc_lo, v12
	v_xor_b32_e32 v1, vcc_hi, v112
	v_and_b32_e32 v112, exec_lo, v12
	v_lshlrev_b32_e32 v12, 30, v0
	v_cmp_gt_i64_e32 vcc, 0, v[11:12]
	v_not_b32_e32 v12, v12
	v_ashrrev_i32_e32 v12, 31, v12
	v_xor_b32_e32 v113, vcc_hi, v12
	v_xor_b32_e32 v12, vcc_lo, v12
	v_and_b32_e32 v112, v112, v12
	v_lshlrev_b32_e32 v12, 29, v0
	v_cmp_gt_i64_e32 vcc, 0, v[11:12]
	v_not_b32_e32 v12, v12
	v_and_b32_e32 v1, exec_hi, v1
	v_ashrrev_i32_e32 v12, 31, v12
	v_and_b32_e32 v1, v1, v113
	v_xor_b32_e32 v113, vcc_hi, v12
	v_xor_b32_e32 v12, vcc_lo, v12
	v_and_b32_e32 v112, v112, v12
	v_lshlrev_b32_e32 v12, 28, v0
	v_mul_u32_u24_e32 v111, 36, v0
	v_cmp_gt_i64_e32 vcc, 0, v[11:12]
	v_not_b32_e32 v0, v12
	v_ashrrev_i32_e32 v0, 31, v0
	v_xor_b32_e32 v12, vcc_hi, v0
	v_xor_b32_e32 v0, vcc_lo, v0
	v_and_b32_e32 v1, v1, v113
	v_and_b32_e32 v0, v112, v0
	;; [unrolled: 1-line block ×3, first 2 shown]
	v_mbcnt_lo_u32_b32 v12, v0, 0
	v_mbcnt_hi_u32_b32 v12, v1, v12
	v_cmp_ne_u64_e32 vcc, 0, v[0:1]
	v_cmp_eq_u32_e64 s[26:27], 0, v12
	s_and_b64 s[36:37], s[26:27], vcc
	; wave barrier
	s_and_saveexec_b64 s[26:27], s[36:37]
	s_cbranch_execz .LBB89_68
; %bb.67:                               ;   in Loop: Header=BB89_4 Depth=2
	v_bcnt_u32_b32 v0, v0, 0
	v_bcnt_u32_b32 v0, v1, v0
	s_waitcnt lgkmcnt(0)
	v_add_u32_e32 v0, v110, v0
	v_add_u32_e32 v1, v2, v111
	ds_write_b32 v1, v0 offset:32
.LBB89_68:                              ;   in Loop: Header=BB89_4 Depth=2
	s_or_b64 exec, exec, s[26:27]
	; wave barrier
	s_waitcnt lgkmcnt(0)
	s_barrier
	ds_read_b32 v0, v17 offset:32
	s_waitcnt lgkmcnt(0)
	s_nop 0
	v_mov_b32_dpp v1, v0 row_shr:1 row_mask:0xf bank_mask:0xf
	v_cndmask_b32_e64 v1, v1, 0, s[0:1]
	v_add_u32_e32 v0, v1, v0
	s_nop 1
	v_mov_b32_dpp v1, v0 row_shr:2 row_mask:0xf bank_mask:0xf
	v_cndmask_b32_e64 v1, 0, v1, s[2:3]
	v_add_u32_e32 v0, v0, v1
	;; [unrolled: 4-line block ×4, first 2 shown]
	s_nop 1
	v_mov_b32_dpp v1, v0 row_bcast:15 row_mask:0xf bank_mask:0xf
	v_cndmask_b32_e64 v1, v1, 0, s[8:9]
	v_add_u32_e32 v0, v0, v1
	s_nop 1
	v_mov_b32_dpp v1, v0 row_bcast:31 row_mask:0xf bank_mask:0xf
	v_cndmask_b32_e64 v1, 0, v1, s[10:11]
	v_add_u32_e32 v0, v0, v1
	s_and_saveexec_b64 s[26:27], s[12:13]
; %bb.69:                               ;   in Loop: Header=BB89_4 Depth=2
	ds_write_b32 v19, v0
; %bb.70:                               ;   in Loop: Header=BB89_4 Depth=2
	s_or_b64 exec, exec, s[26:27]
	s_waitcnt lgkmcnt(0)
	s_barrier
	s_and_saveexec_b64 s[26:27], s[14:15]
	s_cbranch_execz .LBB89_72
; %bb.71:                               ;   in Loop: Header=BB89_4 Depth=2
	ds_read_b32 v1, v17
	s_waitcnt lgkmcnt(0)
	s_nop 0
	v_mov_b32_dpp v112, v1 row_shr:1 row_mask:0xf bank_mask:0xf
	v_cndmask_b32_e64 v112, v112, 0, s[20:21]
	v_add_u32_e32 v1, v112, v1
	s_nop 1
	v_mov_b32_dpp v112, v1 row_shr:2 row_mask:0xf bank_mask:0xf
	v_cndmask_b32_e64 v112, 0, v112, s[22:23]
	v_add_u32_e32 v1, v1, v112
	;; [unrolled: 4-line block ×3, first 2 shown]
	ds_write_b32 v17, v1
.LBB89_72:                              ;   in Loop: Header=BB89_4 Depth=2
	s_or_b64 exec, exec, s[26:27]
	v_mov_b32_e32 v1, 0
	s_waitcnt lgkmcnt(0)
	s_barrier
	s_and_saveexec_b64 s[26:27], s[16:17]
	s_cbranch_execz .LBB89_3
; %bb.73:                               ;   in Loop: Header=BB89_4 Depth=2
	ds_read_b32 v1, v21
	s_branch .LBB89_3
.LBB89_74:
	v_add_u32_e32 v0, v2, v29
	v_add_u32_e32 v1, v2, v26
	;; [unrolled: 1-line block ×8, first 2 shown]
	ds_read_b32 v0, v0 offset:32
	ds_read_b32 v1, v1 offset:32
	;; [unrolled: 1-line block ×8, first 2 shown]
	s_lshl_b64 s[0:1], s[34:35], 2
	s_add_u32 s0, s30, s0
	s_waitcnt lgkmcnt(7)
	v_add3_u32 v6, v27, v25, v0
	s_waitcnt lgkmcnt(6)
	v_add3_u32 v5, v24, v22, v1
	;; [unrolled: 2-line block ×3, first 2 shown]
	s_waitcnt lgkmcnt(4)
	v_add_u32_e32 v3, v9, v14
	s_addc_u32 s1, s31, s1
	v_lshlrev_b32_e32 v0, 2, v13
	global_store_dwordx4 v0, v[3:6], s[0:1]
	v_add_u32_e32 v1, v2, v51
	s_waitcnt lgkmcnt(3)
	v_add3_u32 v6, v41, v38, v10
	s_waitcnt lgkmcnt(2)
	v_add3_u32 v5, v37, v35, v11
	;; [unrolled: 2-line block ×4, first 2 shown]
	global_store_dwordx4 v0, v[3:6], s[0:1] offset:16
	v_add_u32_e32 v7, v2, v60
	v_add_u32_e32 v3, v2, v48
	;; [unrolled: 1-line block ×7, first 2 shown]
	ds_read_b32 v1, v1 offset:32
	ds_read_b32 v3, v3 offset:32
	;; [unrolled: 1-line block ×8, first 2 shown]
	s_waitcnt lgkmcnt(7)
	v_add3_u32 v6, v52, v50, v1
	s_waitcnt lgkmcnt(6)
	v_add3_u32 v5, v49, v47, v3
	;; [unrolled: 2-line block ×4, first 2 shown]
	global_store_dwordx4 v0, v[3:6], s[0:1] offset:32
	v_add_u32_e32 v1, v2, v111
	s_waitcnt lgkmcnt(3)
	v_add3_u32 v6, v66, v62, v11
	s_waitcnt lgkmcnt(2)
	v_add3_u32 v5, v61, v59, v7
	;; [unrolled: 2-line block ×4, first 2 shown]
	global_store_dwordx4 v0, v[3:6], s[0:1] offset:48
	v_add_u32_e32 v7, v2, v96
	v_add_u32_e32 v3, v2, v108
	;; [unrolled: 1-line block ×7, first 2 shown]
	ds_read_b32 v1, v1 offset:32
	ds_read_b32 v3, v3 offset:32
	;; [unrolled: 1-line block ×8, first 2 shown]
	s_waitcnt lgkmcnt(7)
	v_add3_u32 v6, v12, v110, v1
	s_waitcnt lgkmcnt(6)
	v_add3_u32 v5, v109, v107, v3
	;; [unrolled: 2-line block ×6, first 2 shown]
	v_add_u32_e32 v1, v2, v87
	v_add_u32_e32 v11, v2, v84
	;; [unrolled: 1-line block ×8, first 2 shown]
	ds_read_b32 v1, v1 offset:32
	ds_read_b32 v11, v11 offset:32
	;; [unrolled: 1-line block ×8, first 2 shown]
	s_waitcnt lgkmcnt(6)
	v_add3_u32 v13, v85, v83, v11
	s_waitcnt lgkmcnt(4)
	v_add3_u32 v11, v79, v77, v17
	;; [unrolled: 2-line block ×6, first 2 shown]
	v_add3_u32 v4, v106, v104, v4
	v_add3_u32 v8, v94, v92, v8
	;; [unrolled: 1-line block ×4, first 2 shown]
	global_store_dwordx4 v0, v[15:18], s[0:1] offset:64
	global_store_dwordx4 v0, v[11:14], s[0:1] offset:80
	;; [unrolled: 1-line block ×4, first 2 shown]
	s_endpgm
	.section	.rodata,"a",@progbits
	.p2align	6, 0x0
	.amdhsa_kernel _Z11rank_kernelIhLj4ELb0EL18RadixRankAlgorithm2ELj512ELj32ELj10EEvPKT_Pi
		.amdhsa_group_segment_fixed_size 2080
		.amdhsa_private_segment_fixed_size 0
		.amdhsa_kernarg_size 272
		.amdhsa_user_sgpr_count 6
		.amdhsa_user_sgpr_private_segment_buffer 1
		.amdhsa_user_sgpr_dispatch_ptr 0
		.amdhsa_user_sgpr_queue_ptr 0
		.amdhsa_user_sgpr_kernarg_segment_ptr 1
		.amdhsa_user_sgpr_dispatch_id 0
		.amdhsa_user_sgpr_flat_scratch_init 0
		.amdhsa_user_sgpr_private_segment_size 0
		.amdhsa_uses_dynamic_stack 0
		.amdhsa_system_sgpr_private_segment_wavefront_offset 0
		.amdhsa_system_sgpr_workgroup_id_x 1
		.amdhsa_system_sgpr_workgroup_id_y 0
		.amdhsa_system_sgpr_workgroup_id_z 0
		.amdhsa_system_sgpr_workgroup_info 0
		.amdhsa_system_vgpr_workitem_id 2
		.amdhsa_next_free_vgpr 114
		.amdhsa_next_free_sgpr 40
		.amdhsa_reserve_vcc 1
		.amdhsa_reserve_flat_scratch 0
		.amdhsa_float_round_mode_32 0
		.amdhsa_float_round_mode_16_64 0
		.amdhsa_float_denorm_mode_32 3
		.amdhsa_float_denorm_mode_16_64 3
		.amdhsa_dx10_clamp 1
		.amdhsa_ieee_mode 1
		.amdhsa_fp16_overflow 0
		.amdhsa_exception_fp_ieee_invalid_op 0
		.amdhsa_exception_fp_denorm_src 0
		.amdhsa_exception_fp_ieee_div_zero 0
		.amdhsa_exception_fp_ieee_overflow 0
		.amdhsa_exception_fp_ieee_underflow 0
		.amdhsa_exception_fp_ieee_inexact 0
		.amdhsa_exception_int_div_zero 0
	.end_amdhsa_kernel
	.section	.text._Z11rank_kernelIhLj4ELb0EL18RadixRankAlgorithm2ELj512ELj32ELj10EEvPKT_Pi,"axG",@progbits,_Z11rank_kernelIhLj4ELb0EL18RadixRankAlgorithm2ELj512ELj32ELj10EEvPKT_Pi,comdat
.Lfunc_end89:
	.size	_Z11rank_kernelIhLj4ELb0EL18RadixRankAlgorithm2ELj512ELj32ELj10EEvPKT_Pi, .Lfunc_end89-_Z11rank_kernelIhLj4ELb0EL18RadixRankAlgorithm2ELj512ELj32ELj10EEvPKT_Pi
                                        ; -- End function
	.set _Z11rank_kernelIhLj4ELb0EL18RadixRankAlgorithm2ELj512ELj32ELj10EEvPKT_Pi.num_vgpr, 114
	.set _Z11rank_kernelIhLj4ELb0EL18RadixRankAlgorithm2ELj512ELj32ELj10EEvPKT_Pi.num_agpr, 0
	.set _Z11rank_kernelIhLj4ELb0EL18RadixRankAlgorithm2ELj512ELj32ELj10EEvPKT_Pi.numbered_sgpr, 40
	.set _Z11rank_kernelIhLj4ELb0EL18RadixRankAlgorithm2ELj512ELj32ELj10EEvPKT_Pi.num_named_barrier, 0
	.set _Z11rank_kernelIhLj4ELb0EL18RadixRankAlgorithm2ELj512ELj32ELj10EEvPKT_Pi.private_seg_size, 0
	.set _Z11rank_kernelIhLj4ELb0EL18RadixRankAlgorithm2ELj512ELj32ELj10EEvPKT_Pi.uses_vcc, 1
	.set _Z11rank_kernelIhLj4ELb0EL18RadixRankAlgorithm2ELj512ELj32ELj10EEvPKT_Pi.uses_flat_scratch, 0
	.set _Z11rank_kernelIhLj4ELb0EL18RadixRankAlgorithm2ELj512ELj32ELj10EEvPKT_Pi.has_dyn_sized_stack, 0
	.set _Z11rank_kernelIhLj4ELb0EL18RadixRankAlgorithm2ELj512ELj32ELj10EEvPKT_Pi.has_recursion, 0
	.set _Z11rank_kernelIhLj4ELb0EL18RadixRankAlgorithm2ELj512ELj32ELj10EEvPKT_Pi.has_indirect_call, 0
	.section	.AMDGPU.csdata,"",@progbits
; Kernel info:
; codeLenInByte = 9324
; TotalNumSgprs: 44
; NumVgprs: 114
; ScratchSize: 0
; MemoryBound: 0
; FloatMode: 240
; IeeeMode: 1
; LDSByteSize: 2080 bytes/workgroup (compile time only)
; SGPRBlocks: 5
; VGPRBlocks: 28
; NumSGPRsForWavesPerEU: 44
; NumVGPRsForWavesPerEU: 114
; Occupancy: 2
; WaveLimiterHint : 0
; COMPUTE_PGM_RSRC2:SCRATCH_EN: 0
; COMPUTE_PGM_RSRC2:USER_SGPR: 6
; COMPUTE_PGM_RSRC2:TRAP_HANDLER: 0
; COMPUTE_PGM_RSRC2:TGID_X_EN: 1
; COMPUTE_PGM_RSRC2:TGID_Y_EN: 0
; COMPUTE_PGM_RSRC2:TGID_Z_EN: 0
; COMPUTE_PGM_RSRC2:TIDIG_COMP_CNT: 2
	.section	.text._Z11rank_kernelIxLj4ELb0EL18RadixRankAlgorithm0ELj128ELj1ELj10EEvPKT_Pi,"axG",@progbits,_Z11rank_kernelIxLj4ELb0EL18RadixRankAlgorithm0ELj128ELj1ELj10EEvPKT_Pi,comdat
	.protected	_Z11rank_kernelIxLj4ELb0EL18RadixRankAlgorithm0ELj128ELj1ELj10EEvPKT_Pi ; -- Begin function _Z11rank_kernelIxLj4ELb0EL18RadixRankAlgorithm0ELj128ELj1ELj10EEvPKT_Pi
	.globl	_Z11rank_kernelIxLj4ELb0EL18RadixRankAlgorithm0ELj128ELj1ELj10EEvPKT_Pi
	.p2align	8
	.type	_Z11rank_kernelIxLj4ELb0EL18RadixRankAlgorithm0ELj128ELj1ELj10EEvPKT_Pi,@function
_Z11rank_kernelIxLj4ELb0EL18RadixRankAlgorithm0ELj128ELj1ELj10EEvPKT_Pi: ; @_Z11rank_kernelIxLj4ELb0EL18RadixRankAlgorithm0ELj128ELj1ELj10EEvPKT_Pi
; %bb.0:
	s_load_dwordx4 s[20:23], s[4:5], 0x0
	s_lshl_b32 s24, s6, 7
	s_mov_b32 s25, 0
	s_lshl_b64 s[0:1], s[24:25], 3
	v_lshlrev_b32_e32 v1, 3, v0
	s_waitcnt lgkmcnt(0)
	s_add_u32 s0, s20, s0
	s_addc_u32 s1, s21, s1
	global_load_dwordx2 v[1:2], v1, s[0:1]
	v_mbcnt_lo_u32_b32 v5, -1, 0
	v_mbcnt_hi_u32_b32 v9, -1, v5
	v_subrev_co_u32_e64 v13, s[6:7], 1, v9
	v_and_b32_e32 v14, 64, v9
	v_cmp_lt_i32_e64 s[18:19], v13, v14
	v_lshlrev_b32_e32 v4, 5, v0
	v_or_b32_e32 v7, 63, v0
	v_lshrrev_b32_e32 v8, 4, v0
	v_mul_i32_i24_e32 v10, 0xffffffe4, v0
	v_and_b32_e32 v11, 15, v9
	v_and_b32_e32 v12, 16, v9
	v_cmp_lt_u32_e64 s[2:3], 31, v9
	v_and_b32_e32 v15, 1, v9
	v_cndmask_b32_e64 v9, v13, v9, s[18:19]
	v_mov_b32_e32 v3, 0
	s_movk_i32 s28, 0x37f
	s_movk_i32 s29, 0x380
	v_cmp_gt_u32_e32 vcc, 2, v0
	v_cmp_lt_u32_e64 s[0:1], 63, v0
	v_lshlrev_b32_e32 v5, 2, v0
	v_or_b32_e32 v6, 0xffffff80, v0
	v_cmp_eq_u32_e64 s[4:5], v0, v7
	v_and_b32_e32 v7, 4, v8
	v_add_u32_e32 v8, v4, v10
	v_cmp_eq_u32_e64 s[8:9], 0, v11
	v_cmp_lt_u32_e64 s[10:11], 1, v11
	v_cmp_lt_u32_e64 s[12:13], 3, v11
	;; [unrolled: 1-line block ×3, first 2 shown]
	v_cmp_eq_u32_e64 s[16:17], 0, v12
	v_cmp_eq_u32_e64 s[18:19], 0, v15
	v_lshlrev_b32_e32 v9, 2, v9
	s_mov_b32 s30, s25
	s_waitcnt vmcnt(0)
	v_xor_b32_e32 v2, 0x80000000, v2
	s_branch .LBB90_2
.LBB90_1:                               ;   in Loop: Header=BB90_2 Depth=1
	s_add_i32 s30, s30, 1
	s_cmp_eq_u32 s30, 10
	s_cbranch_scc1 .LBB90_12
.LBB90_2:                               ; =>This Loop Header: Depth=1
                                        ;     Child Loop BB90_4 Depth 2
                                        ;       Child Loop BB90_5 Depth 3
	s_mov_b32 s31, 0
	s_branch .LBB90_4
.LBB90_3:                               ;   in Loop: Header=BB90_4 Depth=2
	s_or_b64 exec, exec, s[20:21]
	s_waitcnt lgkmcnt(0)
	v_add_u32_e32 v12, v13, v12
	ds_bpermute_b32 v12, v9, v12
	ds_read_b32 v20, v3 offset:4100
	ds_read2_b64 v[14:17], v4 offset1:1
	ds_read_b64 v[18:19], v4 offset:16
	ds_read_b32 v21, v4 offset:24
	s_add_i32 s20, s31, 4
	s_cmp_lt_u32 s31, 60
	s_mov_b32 s31, s20
	s_waitcnt lgkmcnt(4)
	v_cndmask_b32_e64 v12, v12, v13, s[6:7]
	s_waitcnt lgkmcnt(3)
	v_lshl_add_u32 v12, v20, 16, v12
	s_waitcnt lgkmcnt(2)
	v_add_u32_e32 v13, v12, v14
	v_add_u32_e32 v14, v15, v13
	;; [unrolled: 1-line block ×3, first 2 shown]
	ds_write2_b64 v4, v[12:13], v[14:15] offset1:1
	v_add_u32_e32 v12, v17, v15
	s_waitcnt lgkmcnt(2)
	v_add_u32_e32 v13, v18, v12
	v_add_u32_e32 v14, v19, v13
	s_waitcnt lgkmcnt(1)
	v_add_u32_e32 v15, v21, v14
	ds_write2_b64 v4, v[12:13], v[14:15] offset0:2 offset1:3
	s_waitcnt lgkmcnt(0)
	s_barrier
	s_cbranch_scc0 .LBB90_1
.LBB90_4:                               ;   Parent Loop BB90_2 Depth=1
                                        ; =>  This Loop Header: Depth=2
                                        ;       Child Loop BB90_5 Depth 3
	s_mov_b64 s[26:27], 0
	v_mov_b32_e32 v10, v6
	v_mov_b32_e32 v11, v5
.LBB90_5:                               ;   Parent Loop BB90_2 Depth=1
                                        ;     Parent Loop BB90_4 Depth=2
                                        ; =>    This Inner Loop Header: Depth=3
	v_add_u32_e32 v10, 0x80, v10
	v_cmp_lt_u32_e64 s[20:21], s28, v10
	ds_write_b32 v11, v3
	s_or_b64 s[26:27], s[20:21], s[26:27]
	v_add_u32_e32 v11, 0x200, v11
	s_andn2_b64 exec, exec, s[26:27]
	s_cbranch_execnz .LBB90_5
; %bb.6:                                ;   in Loop: Header=BB90_4 Depth=2
	s_or_b64 exec, exec, s[26:27]
	s_sub_i32 s20, 60, s31
	v_lshlrev_b64 v[10:11], s20, v[1:2]
	v_lshrrev_b32_e32 v10, 21, v11
	v_lshrrev_b32_e32 v11, 30, v11
	v_and_or_b32 v10, v10, s29, v0
	v_and_b32_e32 v11, 2, v11
	v_lshl_or_b32 v11, v10, 2, v11
	ds_read_u16 v10, v11
	s_waitcnt lgkmcnt(0)
	v_add_u16_e32 v12, 1, v10
	ds_write_b16 v11, v12
	s_waitcnt lgkmcnt(0)
	s_barrier
	ds_read2_b64 v[12:15], v4 offset1:1
	ds_read2_b64 v[16:19], v4 offset0:2 offset1:3
	s_waitcnt lgkmcnt(1)
	v_add_u32_e32 v12, v13, v12
	v_add3_u32 v12, v12, v14, v15
	s_waitcnt lgkmcnt(0)
	v_add3_u32 v12, v12, v16, v17
	v_add3_u32 v12, v12, v18, v19
	s_nop 1
	v_mov_b32_dpp v13, v12 row_shr:1 row_mask:0xf bank_mask:0xf
	v_cndmask_b32_e64 v13, v13, 0, s[8:9]
	v_add_u32_e32 v12, v13, v12
	s_nop 1
	v_mov_b32_dpp v13, v12 row_shr:2 row_mask:0xf bank_mask:0xf
	v_cndmask_b32_e64 v13, 0, v13, s[10:11]
	v_add_u32_e32 v12, v12, v13
	;; [unrolled: 4-line block ×4, first 2 shown]
	s_nop 1
	v_mov_b32_dpp v13, v12 row_bcast:15 row_mask:0xf bank_mask:0xf
	v_cndmask_b32_e64 v13, v13, 0, s[16:17]
	v_add_u32_e32 v12, v12, v13
	s_nop 1
	v_mov_b32_dpp v13, v12 row_bcast:31 row_mask:0xf bank_mask:0xf
	v_cndmask_b32_e64 v13, 0, v13, s[2:3]
	v_add_u32_e32 v12, v12, v13
	s_and_saveexec_b64 s[20:21], s[4:5]
	s_xor_b64 s[20:21], exec, s[20:21]
; %bb.7:                                ;   in Loop: Header=BB90_4 Depth=2
	ds_write_b32 v7, v12 offset:4096
; %bb.8:                                ;   in Loop: Header=BB90_4 Depth=2
	s_or_b64 exec, exec, s[20:21]
	s_waitcnt lgkmcnt(0)
	s_barrier
	s_and_saveexec_b64 s[20:21], vcc
	s_cbranch_execz .LBB90_10
; %bb.9:                                ;   in Loop: Header=BB90_4 Depth=2
	ds_read_b32 v13, v8 offset:4096
	s_waitcnt lgkmcnt(0)
	s_nop 0
	v_mov_b32_dpp v14, v13 row_shr:1 row_mask:0xf bank_mask:0xf
	v_cndmask_b32_e64 v14, v14, 0, s[18:19]
	v_add_u32_e32 v13, v14, v13
	ds_write_b32 v8, v13 offset:4096
.LBB90_10:                              ;   in Loop: Header=BB90_4 Depth=2
	s_or_b64 exec, exec, s[20:21]
	v_mov_b32_e32 v13, 0
	s_waitcnt lgkmcnt(0)
	s_barrier
	s_and_saveexec_b64 s[20:21], s[0:1]
	s_cbranch_execz .LBB90_3
; %bb.11:                               ;   in Loop: Header=BB90_4 Depth=2
	ds_read_b32 v13, v7 offset:4092
	s_branch .LBB90_3
.LBB90_12:
	ds_read_u16 v1, v11
	s_lshl_b64 s[0:1], s[24:25], 2
	s_add_u32 s0, s22, s0
	s_addc_u32 s1, s23, s1
	v_lshlrev_b32_e32 v0, 2, v0
	s_waitcnt lgkmcnt(0)
	v_add_u32_sdwa v1, v1, v10 dst_sel:DWORD dst_unused:UNUSED_PAD src0_sel:DWORD src1_sel:WORD_0
	global_store_dword v0, v1, s[0:1]
	s_endpgm
	.section	.rodata,"a",@progbits
	.p2align	6, 0x0
	.amdhsa_kernel _Z11rank_kernelIxLj4ELb0EL18RadixRankAlgorithm0ELj128ELj1ELj10EEvPKT_Pi
		.amdhsa_group_segment_fixed_size 4104
		.amdhsa_private_segment_fixed_size 0
		.amdhsa_kernarg_size 16
		.amdhsa_user_sgpr_count 6
		.amdhsa_user_sgpr_private_segment_buffer 1
		.amdhsa_user_sgpr_dispatch_ptr 0
		.amdhsa_user_sgpr_queue_ptr 0
		.amdhsa_user_sgpr_kernarg_segment_ptr 1
		.amdhsa_user_sgpr_dispatch_id 0
		.amdhsa_user_sgpr_flat_scratch_init 0
		.amdhsa_user_sgpr_private_segment_size 0
		.amdhsa_uses_dynamic_stack 0
		.amdhsa_system_sgpr_private_segment_wavefront_offset 0
		.amdhsa_system_sgpr_workgroup_id_x 1
		.amdhsa_system_sgpr_workgroup_id_y 0
		.amdhsa_system_sgpr_workgroup_id_z 0
		.amdhsa_system_sgpr_workgroup_info 0
		.amdhsa_system_vgpr_workitem_id 0
		.amdhsa_next_free_vgpr 29
		.amdhsa_next_free_sgpr 61
		.amdhsa_reserve_vcc 1
		.amdhsa_reserve_flat_scratch 0
		.amdhsa_float_round_mode_32 0
		.amdhsa_float_round_mode_16_64 0
		.amdhsa_float_denorm_mode_32 3
		.amdhsa_float_denorm_mode_16_64 3
		.amdhsa_dx10_clamp 1
		.amdhsa_ieee_mode 1
		.amdhsa_fp16_overflow 0
		.amdhsa_exception_fp_ieee_invalid_op 0
		.amdhsa_exception_fp_denorm_src 0
		.amdhsa_exception_fp_ieee_div_zero 0
		.amdhsa_exception_fp_ieee_overflow 0
		.amdhsa_exception_fp_ieee_underflow 0
		.amdhsa_exception_fp_ieee_inexact 0
		.amdhsa_exception_int_div_zero 0
	.end_amdhsa_kernel
	.section	.text._Z11rank_kernelIxLj4ELb0EL18RadixRankAlgorithm0ELj128ELj1ELj10EEvPKT_Pi,"axG",@progbits,_Z11rank_kernelIxLj4ELb0EL18RadixRankAlgorithm0ELj128ELj1ELj10EEvPKT_Pi,comdat
.Lfunc_end90:
	.size	_Z11rank_kernelIxLj4ELb0EL18RadixRankAlgorithm0ELj128ELj1ELj10EEvPKT_Pi, .Lfunc_end90-_Z11rank_kernelIxLj4ELb0EL18RadixRankAlgorithm0ELj128ELj1ELj10EEvPKT_Pi
                                        ; -- End function
	.set _Z11rank_kernelIxLj4ELb0EL18RadixRankAlgorithm0ELj128ELj1ELj10EEvPKT_Pi.num_vgpr, 22
	.set _Z11rank_kernelIxLj4ELb0EL18RadixRankAlgorithm0ELj128ELj1ELj10EEvPKT_Pi.num_agpr, 0
	.set _Z11rank_kernelIxLj4ELb0EL18RadixRankAlgorithm0ELj128ELj1ELj10EEvPKT_Pi.numbered_sgpr, 32
	.set _Z11rank_kernelIxLj4ELb0EL18RadixRankAlgorithm0ELj128ELj1ELj10EEvPKT_Pi.num_named_barrier, 0
	.set _Z11rank_kernelIxLj4ELb0EL18RadixRankAlgorithm0ELj128ELj1ELj10EEvPKT_Pi.private_seg_size, 0
	.set _Z11rank_kernelIxLj4ELb0EL18RadixRankAlgorithm0ELj128ELj1ELj10EEvPKT_Pi.uses_vcc, 1
	.set _Z11rank_kernelIxLj4ELb0EL18RadixRankAlgorithm0ELj128ELj1ELj10EEvPKT_Pi.uses_flat_scratch, 0
	.set _Z11rank_kernelIxLj4ELb0EL18RadixRankAlgorithm0ELj128ELj1ELj10EEvPKT_Pi.has_dyn_sized_stack, 0
	.set _Z11rank_kernelIxLj4ELb0EL18RadixRankAlgorithm0ELj128ELj1ELj10EEvPKT_Pi.has_recursion, 0
	.set _Z11rank_kernelIxLj4ELb0EL18RadixRankAlgorithm0ELj128ELj1ELj10EEvPKT_Pi.has_indirect_call, 0
	.section	.AMDGPU.csdata,"",@progbits
; Kernel info:
; codeLenInByte = 920
; TotalNumSgprs: 36
; NumVgprs: 22
; ScratchSize: 0
; MemoryBound: 0
; FloatMode: 240
; IeeeMode: 1
; LDSByteSize: 4104 bytes/workgroup (compile time only)
; SGPRBlocks: 8
; VGPRBlocks: 7
; NumSGPRsForWavesPerEU: 65
; NumVGPRsForWavesPerEU: 29
; Occupancy: 8
; WaveLimiterHint : 0
; COMPUTE_PGM_RSRC2:SCRATCH_EN: 0
; COMPUTE_PGM_RSRC2:USER_SGPR: 6
; COMPUTE_PGM_RSRC2:TRAP_HANDLER: 0
; COMPUTE_PGM_RSRC2:TGID_X_EN: 1
; COMPUTE_PGM_RSRC2:TGID_Y_EN: 0
; COMPUTE_PGM_RSRC2:TGID_Z_EN: 0
; COMPUTE_PGM_RSRC2:TIDIG_COMP_CNT: 0
	.section	.text._Z11rank_kernelIxLj4ELb0EL18RadixRankAlgorithm1ELj128ELj1ELj10EEvPKT_Pi,"axG",@progbits,_Z11rank_kernelIxLj4ELb0EL18RadixRankAlgorithm1ELj128ELj1ELj10EEvPKT_Pi,comdat
	.protected	_Z11rank_kernelIxLj4ELb0EL18RadixRankAlgorithm1ELj128ELj1ELj10EEvPKT_Pi ; -- Begin function _Z11rank_kernelIxLj4ELb0EL18RadixRankAlgorithm1ELj128ELj1ELj10EEvPKT_Pi
	.globl	_Z11rank_kernelIxLj4ELb0EL18RadixRankAlgorithm1ELj128ELj1ELj10EEvPKT_Pi
	.p2align	8
	.type	_Z11rank_kernelIxLj4ELb0EL18RadixRankAlgorithm1ELj128ELj1ELj10EEvPKT_Pi,@function
_Z11rank_kernelIxLj4ELb0EL18RadixRankAlgorithm1ELj128ELj1ELj10EEvPKT_Pi: ; @_Z11rank_kernelIxLj4ELb0EL18RadixRankAlgorithm1ELj128ELj1ELj10EEvPKT_Pi
; %bb.0:
	s_load_dwordx4 s[20:23], s[4:5], 0x0
	s_lshl_b32 s24, s6, 7
	s_mov_b32 s25, 0
	s_lshl_b64 s[0:1], s[24:25], 3
	v_lshlrev_b32_e32 v1, 3, v0
	s_waitcnt lgkmcnt(0)
	s_add_u32 s0, s20, s0
	s_addc_u32 s1, s21, s1
	global_load_dwordx2 v[9:10], v1, s[0:1]
	v_mbcnt_lo_u32_b32 v1, -1, 0
	v_mbcnt_hi_u32_b32 v1, -1, v1
	v_or_b32_e32 v2, 63, v0
	v_cmp_eq_u32_e64 s[4:5], v0, v2
	v_subrev_co_u32_e64 v2, s[6:7], 1, v1
	v_and_b32_e32 v7, 64, v1
	v_lshrrev_b32_e32 v3, 4, v0
	v_cmp_lt_i32_e64 s[18:19], v2, v7
	v_lshlrev_b32_e32 v12, 5, v0
	v_mul_i32_i24_e32 v4, 0xffffffe4, v0
	v_and_b32_e32 v5, 15, v1
	v_and_b32_e32 v6, 16, v1
	v_cmp_lt_u32_e64 s[2:3], 31, v1
	v_and_b32_e32 v15, 4, v3
	v_and_b32_e32 v3, 1, v1
	v_cndmask_b32_e64 v1, v2, v1, s[18:19]
	v_mov_b32_e32 v11, 0
	s_movk_i32 s28, 0x37f
	s_movk_i32 s29, 0x380
	v_cmp_gt_u32_e32 vcc, 2, v0
	v_cmp_lt_u32_e64 s[0:1], 63, v0
	v_lshlrev_b32_e32 v13, 2, v0
	v_or_b32_e32 v14, 0xffffff80, v0
	v_add_u32_e32 v16, v12, v4
	v_cmp_eq_u32_e64 s[8:9], 0, v5
	v_cmp_lt_u32_e64 s[10:11], 1, v5
	v_cmp_lt_u32_e64 s[12:13], 3, v5
	;; [unrolled: 1-line block ×3, first 2 shown]
	v_cmp_eq_u32_e64 s[16:17], 0, v6
	v_cmp_eq_u32_e64 s[18:19], 0, v3
	v_lshlrev_b32_e32 v17, 2, v1
	s_mov_b32 s30, s25
	s_waitcnt vmcnt(0)
	v_xor_b32_e32 v10, 0x80000000, v10
	s_branch .LBB91_2
.LBB91_1:                               ;   in Loop: Header=BB91_2 Depth=1
	s_add_i32 s30, s30, 1
	s_cmp_eq_u32 s30, 10
	s_cbranch_scc1 .LBB91_12
.LBB91_2:                               ; =>This Loop Header: Depth=1
                                        ;     Child Loop BB91_4 Depth 2
                                        ;       Child Loop BB91_5 Depth 3
	s_mov_b32 s31, 0
	s_branch .LBB91_4
.LBB91_3:                               ;   in Loop: Header=BB91_4 Depth=2
	s_or_b64 exec, exec, s[20:21]
	s_waitcnt lgkmcnt(0)
	v_add_u32_e32 v4, v20, v4
	ds_bpermute_b32 v4, v17, v4
	ds_read_b32 v21, v11 offset:4100
	s_add_i32 s20, s31, 4
	s_cmp_lt_u32 s31, 60
	s_mov_b32 s31, s20
	s_waitcnt lgkmcnt(1)
	v_cndmask_b32_e64 v4, v4, v20, s[6:7]
	s_waitcnt lgkmcnt(0)
	v_lshl_add_u32 v4, v21, 16, v4
	v_add_u32_e32 v5, v4, v5
	v_add_u32_e32 v6, v5, v6
	;; [unrolled: 1-line block ×7, first 2 shown]
	ds_write2_b64 v12, v[4:5], v[6:7] offset1:1
	ds_write2_b64 v12, v[20:21], v[1:2] offset0:2 offset1:3
	s_waitcnt lgkmcnt(0)
	s_barrier
	s_cbranch_scc0 .LBB91_1
.LBB91_4:                               ;   Parent Loop BB91_2 Depth=1
                                        ; =>  This Loop Header: Depth=2
                                        ;       Child Loop BB91_5 Depth 3
	s_mov_b64 s[26:27], 0
	v_mov_b32_e32 v1, v14
	v_mov_b32_e32 v2, v13
.LBB91_5:                               ;   Parent Loop BB91_2 Depth=1
                                        ;     Parent Loop BB91_4 Depth=2
                                        ; =>    This Inner Loop Header: Depth=3
	v_add_u32_e32 v1, 0x80, v1
	v_cmp_lt_u32_e64 s[20:21], s28, v1
	ds_write_b32 v2, v11
	s_or_b64 s[26:27], s[20:21], s[26:27]
	v_add_u32_e32 v2, 0x200, v2
	s_andn2_b64 exec, exec, s[26:27]
	s_cbranch_execnz .LBB91_5
; %bb.6:                                ;   in Loop: Header=BB91_4 Depth=2
	s_or_b64 exec, exec, s[26:27]
	s_sub_i32 s20, 60, s31
	v_lshlrev_b64 v[1:2], s20, v[9:10]
	v_lshrrev_b32_e32 v1, 21, v2
	v_lshrrev_b32_e32 v2, 30, v2
	v_and_or_b32 v1, v1, s29, v0
	v_and_b32_e32 v2, 2, v2
	v_lshl_or_b32 v19, v1, 2, v2
	ds_read_u16 v18, v19
	s_waitcnt lgkmcnt(0)
	v_add_u16_e32 v1, 1, v18
	ds_write_b16 v19, v1
	s_waitcnt lgkmcnt(0)
	s_barrier
	ds_read2_b64 v[5:8], v12 offset1:1
	ds_read2_b64 v[1:4], v12 offset0:2 offset1:3
	s_waitcnt lgkmcnt(1)
	v_add_u32_e32 v20, v6, v5
	v_add3_u32 v20, v20, v7, v8
	s_waitcnt lgkmcnt(0)
	v_add3_u32 v20, v20, v1, v2
	v_add3_u32 v4, v20, v3, v4
	s_nop 1
	v_mov_b32_dpp v20, v4 row_shr:1 row_mask:0xf bank_mask:0xf
	v_cndmask_b32_e64 v20, v20, 0, s[8:9]
	v_add_u32_e32 v4, v20, v4
	s_nop 1
	v_mov_b32_dpp v20, v4 row_shr:2 row_mask:0xf bank_mask:0xf
	v_cndmask_b32_e64 v20, 0, v20, s[10:11]
	v_add_u32_e32 v4, v4, v20
	;; [unrolled: 4-line block ×4, first 2 shown]
	s_nop 1
	v_mov_b32_dpp v20, v4 row_bcast:15 row_mask:0xf bank_mask:0xf
	v_cndmask_b32_e64 v20, v20, 0, s[16:17]
	v_add_u32_e32 v4, v4, v20
	s_nop 1
	v_mov_b32_dpp v20, v4 row_bcast:31 row_mask:0xf bank_mask:0xf
	v_cndmask_b32_e64 v20, 0, v20, s[2:3]
	v_add_u32_e32 v4, v4, v20
	s_and_saveexec_b64 s[20:21], s[4:5]
	s_xor_b64 s[20:21], exec, s[20:21]
; %bb.7:                                ;   in Loop: Header=BB91_4 Depth=2
	ds_write_b32 v15, v4 offset:4096
; %bb.8:                                ;   in Loop: Header=BB91_4 Depth=2
	s_or_b64 exec, exec, s[20:21]
	s_waitcnt lgkmcnt(0)
	s_barrier
	s_and_saveexec_b64 s[20:21], vcc
	s_cbranch_execz .LBB91_10
; %bb.9:                                ;   in Loop: Header=BB91_4 Depth=2
	ds_read_b32 v20, v16 offset:4096
	s_waitcnt lgkmcnt(0)
	s_nop 0
	v_mov_b32_dpp v21, v20 row_shr:1 row_mask:0xf bank_mask:0xf
	v_cndmask_b32_e64 v21, v21, 0, s[18:19]
	v_add_u32_e32 v20, v21, v20
	ds_write_b32 v16, v20 offset:4096
.LBB91_10:                              ;   in Loop: Header=BB91_4 Depth=2
	s_or_b64 exec, exec, s[20:21]
	v_mov_b32_e32 v20, 0
	s_waitcnt lgkmcnt(0)
	s_barrier
	s_and_saveexec_b64 s[20:21], s[0:1]
	s_cbranch_execz .LBB91_3
; %bb.11:                               ;   in Loop: Header=BB91_4 Depth=2
	ds_read_b32 v20, v15 offset:4092
	s_branch .LBB91_3
.LBB91_12:
	ds_read_u16 v1, v19
	s_lshl_b64 s[0:1], s[24:25], 2
	s_add_u32 s0, s22, s0
	s_addc_u32 s1, s23, s1
	v_lshlrev_b32_e32 v0, 2, v0
	s_waitcnt lgkmcnt(0)
	v_add_u32_sdwa v1, v1, v18 dst_sel:DWORD dst_unused:UNUSED_PAD src0_sel:DWORD src1_sel:WORD_0
	global_store_dword v0, v1, s[0:1]
	s_endpgm
	.section	.rodata,"a",@progbits
	.p2align	6, 0x0
	.amdhsa_kernel _Z11rank_kernelIxLj4ELb0EL18RadixRankAlgorithm1ELj128ELj1ELj10EEvPKT_Pi
		.amdhsa_group_segment_fixed_size 4104
		.amdhsa_private_segment_fixed_size 0
		.amdhsa_kernarg_size 16
		.amdhsa_user_sgpr_count 6
		.amdhsa_user_sgpr_private_segment_buffer 1
		.amdhsa_user_sgpr_dispatch_ptr 0
		.amdhsa_user_sgpr_queue_ptr 0
		.amdhsa_user_sgpr_kernarg_segment_ptr 1
		.amdhsa_user_sgpr_dispatch_id 0
		.amdhsa_user_sgpr_flat_scratch_init 0
		.amdhsa_user_sgpr_private_segment_size 0
		.amdhsa_uses_dynamic_stack 0
		.amdhsa_system_sgpr_private_segment_wavefront_offset 0
		.amdhsa_system_sgpr_workgroup_id_x 1
		.amdhsa_system_sgpr_workgroup_id_y 0
		.amdhsa_system_sgpr_workgroup_id_z 0
		.amdhsa_system_sgpr_workgroup_info 0
		.amdhsa_system_vgpr_workitem_id 0
		.amdhsa_next_free_vgpr 29
		.amdhsa_next_free_sgpr 61
		.amdhsa_reserve_vcc 1
		.amdhsa_reserve_flat_scratch 0
		.amdhsa_float_round_mode_32 0
		.amdhsa_float_round_mode_16_64 0
		.amdhsa_float_denorm_mode_32 3
		.amdhsa_float_denorm_mode_16_64 3
		.amdhsa_dx10_clamp 1
		.amdhsa_ieee_mode 1
		.amdhsa_fp16_overflow 0
		.amdhsa_exception_fp_ieee_invalid_op 0
		.amdhsa_exception_fp_denorm_src 0
		.amdhsa_exception_fp_ieee_div_zero 0
		.amdhsa_exception_fp_ieee_overflow 0
		.amdhsa_exception_fp_ieee_underflow 0
		.amdhsa_exception_fp_ieee_inexact 0
		.amdhsa_exception_int_div_zero 0
	.end_amdhsa_kernel
	.section	.text._Z11rank_kernelIxLj4ELb0EL18RadixRankAlgorithm1ELj128ELj1ELj10EEvPKT_Pi,"axG",@progbits,_Z11rank_kernelIxLj4ELb0EL18RadixRankAlgorithm1ELj128ELj1ELj10EEvPKT_Pi,comdat
.Lfunc_end91:
	.size	_Z11rank_kernelIxLj4ELb0EL18RadixRankAlgorithm1ELj128ELj1ELj10EEvPKT_Pi, .Lfunc_end91-_Z11rank_kernelIxLj4ELb0EL18RadixRankAlgorithm1ELj128ELj1ELj10EEvPKT_Pi
                                        ; -- End function
	.set _Z11rank_kernelIxLj4ELb0EL18RadixRankAlgorithm1ELj128ELj1ELj10EEvPKT_Pi.num_vgpr, 22
	.set _Z11rank_kernelIxLj4ELb0EL18RadixRankAlgorithm1ELj128ELj1ELj10EEvPKT_Pi.num_agpr, 0
	.set _Z11rank_kernelIxLj4ELb0EL18RadixRankAlgorithm1ELj128ELj1ELj10EEvPKT_Pi.numbered_sgpr, 32
	.set _Z11rank_kernelIxLj4ELb0EL18RadixRankAlgorithm1ELj128ELj1ELj10EEvPKT_Pi.num_named_barrier, 0
	.set _Z11rank_kernelIxLj4ELb0EL18RadixRankAlgorithm1ELj128ELj1ELj10EEvPKT_Pi.private_seg_size, 0
	.set _Z11rank_kernelIxLj4ELb0EL18RadixRankAlgorithm1ELj128ELj1ELj10EEvPKT_Pi.uses_vcc, 1
	.set _Z11rank_kernelIxLj4ELb0EL18RadixRankAlgorithm1ELj128ELj1ELj10EEvPKT_Pi.uses_flat_scratch, 0
	.set _Z11rank_kernelIxLj4ELb0EL18RadixRankAlgorithm1ELj128ELj1ELj10EEvPKT_Pi.has_dyn_sized_stack, 0
	.set _Z11rank_kernelIxLj4ELb0EL18RadixRankAlgorithm1ELj128ELj1ELj10EEvPKT_Pi.has_recursion, 0
	.set _Z11rank_kernelIxLj4ELb0EL18RadixRankAlgorithm1ELj128ELj1ELj10EEvPKT_Pi.has_indirect_call, 0
	.section	.AMDGPU.csdata,"",@progbits
; Kernel info:
; codeLenInByte = 884
; TotalNumSgprs: 36
; NumVgprs: 22
; ScratchSize: 0
; MemoryBound: 0
; FloatMode: 240
; IeeeMode: 1
; LDSByteSize: 4104 bytes/workgroup (compile time only)
; SGPRBlocks: 8
; VGPRBlocks: 7
; NumSGPRsForWavesPerEU: 65
; NumVGPRsForWavesPerEU: 29
; Occupancy: 8
; WaveLimiterHint : 0
; COMPUTE_PGM_RSRC2:SCRATCH_EN: 0
; COMPUTE_PGM_RSRC2:USER_SGPR: 6
; COMPUTE_PGM_RSRC2:TRAP_HANDLER: 0
; COMPUTE_PGM_RSRC2:TGID_X_EN: 1
; COMPUTE_PGM_RSRC2:TGID_Y_EN: 0
; COMPUTE_PGM_RSRC2:TGID_Z_EN: 0
; COMPUTE_PGM_RSRC2:TIDIG_COMP_CNT: 0
	.section	.text._Z11rank_kernelIxLj4ELb0EL18RadixRankAlgorithm2ELj128ELj1ELj10EEvPKT_Pi,"axG",@progbits,_Z11rank_kernelIxLj4ELb0EL18RadixRankAlgorithm2ELj128ELj1ELj10EEvPKT_Pi,comdat
	.protected	_Z11rank_kernelIxLj4ELb0EL18RadixRankAlgorithm2ELj128ELj1ELj10EEvPKT_Pi ; -- Begin function _Z11rank_kernelIxLj4ELb0EL18RadixRankAlgorithm2ELj128ELj1ELj10EEvPKT_Pi
	.globl	_Z11rank_kernelIxLj4ELb0EL18RadixRankAlgorithm2ELj128ELj1ELj10EEvPKT_Pi
	.p2align	8
	.type	_Z11rank_kernelIxLj4ELb0EL18RadixRankAlgorithm2ELj128ELj1ELj10EEvPKT_Pi,@function
_Z11rank_kernelIxLj4ELb0EL18RadixRankAlgorithm2ELj128ELj1ELj10EEvPKT_Pi: ; @_Z11rank_kernelIxLj4ELb0EL18RadixRankAlgorithm2ELj128ELj1ELj10EEvPKT_Pi
; %bb.0:
	s_load_dwordx4 s[24:27], s[4:5], 0x0
	s_load_dword s20, s[4:5], 0x1c
	s_lshl_b32 s28, s6, 7
	s_mov_b32 s29, 0
	s_lshl_b64 s[0:1], s[28:29], 3
	s_waitcnt lgkmcnt(0)
	s_add_u32 s0, s24, s0
	s_addc_u32 s1, s25, s1
	v_lshlrev_b32_e32 v3, 3, v0
	global_load_dwordx2 v[3:4], v3, s[0:1]
	v_mbcnt_lo_u32_b32 v6, -1, 0
	v_mbcnt_hi_u32_b32 v6, -1, v6
	s_lshr_b32 s21, s20, 16
	v_subrev_co_u32_e64 v12, s[6:7], 1, v6
	v_and_b32_e32 v13, 64, v6
	s_and_b32 s20, s20, 0xffff
	v_mad_u32_u24 v1, v2, s21, v1
	v_or_b32_e32 v8, 63, v0
	v_lshrrev_b32_e32 v9, 4, v0
	v_cmp_lt_i32_e64 s[18:19], v12, v13
	v_mad_u32_u24 v1, v1, s20, v0
	v_and_b32_e32 v10, 15, v6
	v_and_b32_e32 v11, 16, v6
	v_cmp_lt_u32_e64 s[2:3], 31, v6
	v_cmp_eq_u32_e64 s[4:5], v0, v8
	v_and_b32_e32 v8, 4, v9
	v_and_b32_e32 v9, 1, v6
	v_cndmask_b32_e64 v6, v12, v6, s[18:19]
	v_lshrrev_b32_e32 v1, 4, v1
	v_mov_b32_e32 v5, 0
	v_lshlrev_b32_e32 v7, 2, v0
	v_cmp_gt_u32_e32 vcc, 2, v0
	v_cmp_lt_u32_e64 s[0:1], 63, v0
	v_cmp_eq_u32_e64 s[8:9], 0, v10
	v_cmp_lt_u32_e64 s[10:11], 1, v10
	v_cmp_lt_u32_e64 s[12:13], 3, v10
	;; [unrolled: 1-line block ×3, first 2 shown]
	v_cmp_eq_u32_e64 s[16:17], 0, v11
	v_cmp_eq_u32_e64 s[18:19], 0, v9
	v_add_u32_e32 v9, -4, v8
	v_lshlrev_b32_e32 v10, 2, v6
	v_and_b32_e32 v11, 0xffffffc, v1
	s_mov_b32 s30, s29
	s_waitcnt vmcnt(0)
	v_xor_b32_e32 v4, 0x80000000, v4
	s_branch .LBB92_2
.LBB92_1:                               ;   in Loop: Header=BB92_2 Depth=1
	s_add_i32 s30, s30, 1
	s_cmp_eq_u32 s30, 10
	s_cbranch_scc1 .LBB92_12
.LBB92_2:                               ; =>This Loop Header: Depth=1
                                        ;     Child Loop BB92_4 Depth 2
	s_mov_b64 s[24:25], 60
	s_mov_b32 s31, -4
	s_branch .LBB92_4
.LBB92_3:                               ;   in Loop: Header=BB92_4 Depth=2
	s_or_b64 exec, exec, s[20:21]
	s_waitcnt lgkmcnt(0)
	v_add_u32_e32 v1, v2, v1
	ds_bpermute_b32 v1, v10, v1
	s_add_i32 s31, s31, 4
	s_add_u32 s24, s24, -4
	s_addc_u32 s25, s25, -1
	s_cmp_lt_u32 s31, 60
	s_waitcnt lgkmcnt(0)
	v_cndmask_b32_e64 v1, v1, v2, s[6:7]
	ds_write_b32 v7, v1 offset:8
	s_waitcnt lgkmcnt(0)
	s_barrier
	s_cbranch_scc0 .LBB92_1
.LBB92_4:                               ;   Parent Loop BB92_2 Depth=1
                                        ; =>  This Inner Loop Header: Depth=2
	v_lshlrev_b64 v[1:2], s24, v[3:4]
	ds_write_b32 v7, v5 offset:8
	v_bfe_u32 v6, v2, 28, 1
	v_add_co_u32_e64 v14, s[20:21], -1, v6
	v_addc_co_u32_e64 v15, s[20:21], 0, -1, s[20:21]
	v_cmp_ne_u32_e64 s[20:21], 0, v6
	v_lshrrev_b32_e32 v13, 28, v2
	v_xor_b32_e32 v6, s21, v15
	v_and_b32_e32 v15, exec_hi, v6
	v_lshlrev_b32_e32 v6, 30, v13
	v_xor_b32_e32 v14, s20, v14
	v_cmp_gt_i64_e64 s[20:21], 0, v[5:6]
	v_not_b32_e32 v6, v6
	v_ashrrev_i32_e32 v6, 31, v6
	v_and_b32_e32 v14, exec_lo, v14
	v_xor_b32_e32 v16, s21, v6
	v_xor_b32_e32 v6, s20, v6
	v_and_b32_e32 v14, v14, v6
	v_lshlrev_b32_e32 v6, 29, v13
	v_cmp_gt_i64_e64 s[20:21], 0, v[5:6]
	v_not_b32_e32 v6, v6
	v_ashrrev_i32_e32 v6, 31, v6
	v_mul_u32_u24_e32 v12, 12, v13
	v_xor_b32_e32 v13, s21, v6
	v_xor_b32_e32 v6, s20, v6
	v_cmp_gt_i64_e64 s[20:21], 0, v[1:2]
	v_not_b32_e32 v1, v2
	v_ashrrev_i32_e32 v1, 31, v1
	v_and_b32_e32 v15, v15, v16
	v_and_b32_e32 v6, v14, v6
	v_xor_b32_e32 v2, s21, v1
	v_xor_b32_e32 v1, s20, v1
	v_and_b32_e32 v13, v15, v13
	v_and_b32_e32 v1, v6, v1
	;; [unrolled: 1-line block ×3, first 2 shown]
	v_mbcnt_lo_u32_b32 v6, v1, 0
	v_mbcnt_hi_u32_b32 v6, v2, v6
	v_cmp_ne_u64_e64 s[20:21], 0, v[1:2]
	v_cmp_eq_u32_e64 s[22:23], 0, v6
	s_and_b64 s[22:23], s[20:21], s[22:23]
	s_waitcnt lgkmcnt(0)
	s_barrier
	; wave barrier
	s_and_saveexec_b64 s[20:21], s[22:23]
; %bb.5:                                ;   in Loop: Header=BB92_4 Depth=2
	v_bcnt_u32_b32 v1, v1, 0
	v_bcnt_u32_b32 v1, v2, v1
	v_add_u32_e32 v2, v11, v12
	ds_write_b32 v2, v1 offset:8
; %bb.6:                                ;   in Loop: Header=BB92_4 Depth=2
	s_or_b64 exec, exec, s[20:21]
	; wave barrier
	s_waitcnt lgkmcnt(0)
	s_barrier
	ds_read_b32 v1, v7 offset:8
	s_waitcnt lgkmcnt(0)
	s_nop 0
	v_mov_b32_dpp v2, v1 row_shr:1 row_mask:0xf bank_mask:0xf
	v_cndmask_b32_e64 v2, v2, 0, s[8:9]
	v_add_u32_e32 v1, v2, v1
	s_nop 1
	v_mov_b32_dpp v2, v1 row_shr:2 row_mask:0xf bank_mask:0xf
	v_cndmask_b32_e64 v2, 0, v2, s[10:11]
	v_add_u32_e32 v1, v1, v2
	;; [unrolled: 4-line block ×4, first 2 shown]
	s_nop 1
	v_mov_b32_dpp v2, v1 row_bcast:15 row_mask:0xf bank_mask:0xf
	v_cndmask_b32_e64 v2, v2, 0, s[16:17]
	v_add_u32_e32 v1, v1, v2
	s_nop 1
	v_mov_b32_dpp v2, v1 row_bcast:31 row_mask:0xf bank_mask:0xf
	v_cndmask_b32_e64 v2, 0, v2, s[2:3]
	v_add_u32_e32 v1, v1, v2
	s_and_saveexec_b64 s[20:21], s[4:5]
; %bb.7:                                ;   in Loop: Header=BB92_4 Depth=2
	ds_write_b32 v8, v1
; %bb.8:                                ;   in Loop: Header=BB92_4 Depth=2
	s_or_b64 exec, exec, s[20:21]
	s_waitcnt lgkmcnt(0)
	s_barrier
	s_and_saveexec_b64 s[20:21], vcc
	s_cbranch_execz .LBB92_10
; %bb.9:                                ;   in Loop: Header=BB92_4 Depth=2
	ds_read_b32 v2, v7
	s_waitcnt lgkmcnt(0)
	s_nop 0
	v_mov_b32_dpp v13, v2 row_shr:1 row_mask:0xf bank_mask:0xf
	v_cndmask_b32_e64 v13, v13, 0, s[18:19]
	v_add_u32_e32 v2, v13, v2
	ds_write_b32 v7, v2
.LBB92_10:                              ;   in Loop: Header=BB92_4 Depth=2
	s_or_b64 exec, exec, s[20:21]
	v_mov_b32_e32 v2, 0
	s_waitcnt lgkmcnt(0)
	s_barrier
	s_and_saveexec_b64 s[20:21], s[0:1]
	s_cbranch_execz .LBB92_3
; %bb.11:                               ;   in Loop: Header=BB92_4 Depth=2
	ds_read_b32 v2, v9
	s_branch .LBB92_3
.LBB92_12:
	v_add_u32_e32 v1, v11, v12
	ds_read_b32 v1, v1 offset:8
	s_lshl_b64 s[0:1], s[28:29], 2
	s_add_u32 s0, s26, s0
	s_addc_u32 s1, s27, s1
	v_lshlrev_b32_e32 v0, 2, v0
	s_waitcnt lgkmcnt(0)
	v_add_u32_e32 v1, v1, v6
	global_store_dword v0, v1, s[0:1]
	s_endpgm
	.section	.rodata,"a",@progbits
	.p2align	6, 0x0
	.amdhsa_kernel _Z11rank_kernelIxLj4ELb0EL18RadixRankAlgorithm2ELj128ELj1ELj10EEvPKT_Pi
		.amdhsa_group_segment_fixed_size 520
		.amdhsa_private_segment_fixed_size 0
		.amdhsa_kernarg_size 272
		.amdhsa_user_sgpr_count 6
		.amdhsa_user_sgpr_private_segment_buffer 1
		.amdhsa_user_sgpr_dispatch_ptr 0
		.amdhsa_user_sgpr_queue_ptr 0
		.amdhsa_user_sgpr_kernarg_segment_ptr 1
		.amdhsa_user_sgpr_dispatch_id 0
		.amdhsa_user_sgpr_flat_scratch_init 0
		.amdhsa_user_sgpr_private_segment_size 0
		.amdhsa_uses_dynamic_stack 0
		.amdhsa_system_sgpr_private_segment_wavefront_offset 0
		.amdhsa_system_sgpr_workgroup_id_x 1
		.amdhsa_system_sgpr_workgroup_id_y 0
		.amdhsa_system_sgpr_workgroup_id_z 0
		.amdhsa_system_sgpr_workgroup_info 0
		.amdhsa_system_vgpr_workitem_id 2
		.amdhsa_next_free_vgpr 17
		.amdhsa_next_free_sgpr 32
		.amdhsa_reserve_vcc 1
		.amdhsa_reserve_flat_scratch 0
		.amdhsa_float_round_mode_32 0
		.amdhsa_float_round_mode_16_64 0
		.amdhsa_float_denorm_mode_32 3
		.amdhsa_float_denorm_mode_16_64 3
		.amdhsa_dx10_clamp 1
		.amdhsa_ieee_mode 1
		.amdhsa_fp16_overflow 0
		.amdhsa_exception_fp_ieee_invalid_op 0
		.amdhsa_exception_fp_denorm_src 0
		.amdhsa_exception_fp_ieee_div_zero 0
		.amdhsa_exception_fp_ieee_overflow 0
		.amdhsa_exception_fp_ieee_underflow 0
		.amdhsa_exception_fp_ieee_inexact 0
		.amdhsa_exception_int_div_zero 0
	.end_amdhsa_kernel
	.section	.text._Z11rank_kernelIxLj4ELb0EL18RadixRankAlgorithm2ELj128ELj1ELj10EEvPKT_Pi,"axG",@progbits,_Z11rank_kernelIxLj4ELb0EL18RadixRankAlgorithm2ELj128ELj1ELj10EEvPKT_Pi,comdat
.Lfunc_end92:
	.size	_Z11rank_kernelIxLj4ELb0EL18RadixRankAlgorithm2ELj128ELj1ELj10EEvPKT_Pi, .Lfunc_end92-_Z11rank_kernelIxLj4ELb0EL18RadixRankAlgorithm2ELj128ELj1ELj10EEvPKT_Pi
                                        ; -- End function
	.set _Z11rank_kernelIxLj4ELb0EL18RadixRankAlgorithm2ELj128ELj1ELj10EEvPKT_Pi.num_vgpr, 17
	.set _Z11rank_kernelIxLj4ELb0EL18RadixRankAlgorithm2ELj128ELj1ELj10EEvPKT_Pi.num_agpr, 0
	.set _Z11rank_kernelIxLj4ELb0EL18RadixRankAlgorithm2ELj128ELj1ELj10EEvPKT_Pi.numbered_sgpr, 32
	.set _Z11rank_kernelIxLj4ELb0EL18RadixRankAlgorithm2ELj128ELj1ELj10EEvPKT_Pi.num_named_barrier, 0
	.set _Z11rank_kernelIxLj4ELb0EL18RadixRankAlgorithm2ELj128ELj1ELj10EEvPKT_Pi.private_seg_size, 0
	.set _Z11rank_kernelIxLj4ELb0EL18RadixRankAlgorithm2ELj128ELj1ELj10EEvPKT_Pi.uses_vcc, 1
	.set _Z11rank_kernelIxLj4ELb0EL18RadixRankAlgorithm2ELj128ELj1ELj10EEvPKT_Pi.uses_flat_scratch, 0
	.set _Z11rank_kernelIxLj4ELb0EL18RadixRankAlgorithm2ELj128ELj1ELj10EEvPKT_Pi.has_dyn_sized_stack, 0
	.set _Z11rank_kernelIxLj4ELb0EL18RadixRankAlgorithm2ELj128ELj1ELj10EEvPKT_Pi.has_recursion, 0
	.set _Z11rank_kernelIxLj4ELb0EL18RadixRankAlgorithm2ELj128ELj1ELj10EEvPKT_Pi.has_indirect_call, 0
	.section	.AMDGPU.csdata,"",@progbits
; Kernel info:
; codeLenInByte = 944
; TotalNumSgprs: 36
; NumVgprs: 17
; ScratchSize: 0
; MemoryBound: 0
; FloatMode: 240
; IeeeMode: 1
; LDSByteSize: 520 bytes/workgroup (compile time only)
; SGPRBlocks: 4
; VGPRBlocks: 4
; NumSGPRsForWavesPerEU: 36
; NumVGPRsForWavesPerEU: 17
; Occupancy: 10
; WaveLimiterHint : 0
; COMPUTE_PGM_RSRC2:SCRATCH_EN: 0
; COMPUTE_PGM_RSRC2:USER_SGPR: 6
; COMPUTE_PGM_RSRC2:TRAP_HANDLER: 0
; COMPUTE_PGM_RSRC2:TGID_X_EN: 1
; COMPUTE_PGM_RSRC2:TGID_Y_EN: 0
; COMPUTE_PGM_RSRC2:TGID_Z_EN: 0
; COMPUTE_PGM_RSRC2:TIDIG_COMP_CNT: 2
	.section	.text._Z11rank_kernelIxLj4ELb0EL18RadixRankAlgorithm0ELj128ELj4ELj10EEvPKT_Pi,"axG",@progbits,_Z11rank_kernelIxLj4ELb0EL18RadixRankAlgorithm0ELj128ELj4ELj10EEvPKT_Pi,comdat
	.protected	_Z11rank_kernelIxLj4ELb0EL18RadixRankAlgorithm0ELj128ELj4ELj10EEvPKT_Pi ; -- Begin function _Z11rank_kernelIxLj4ELb0EL18RadixRankAlgorithm0ELj128ELj4ELj10EEvPKT_Pi
	.globl	_Z11rank_kernelIxLj4ELb0EL18RadixRankAlgorithm0ELj128ELj4ELj10EEvPKT_Pi
	.p2align	8
	.type	_Z11rank_kernelIxLj4ELb0EL18RadixRankAlgorithm0ELj128ELj4ELj10EEvPKT_Pi,@function
_Z11rank_kernelIxLj4ELb0EL18RadixRankAlgorithm0ELj128ELj4ELj10EEvPKT_Pi: ; @_Z11rank_kernelIxLj4ELb0EL18RadixRankAlgorithm0ELj128ELj4ELj10EEvPKT_Pi
; %bb.0:
	s_load_dwordx4 s[20:23], s[4:5], 0x0
	s_lshl_b32 s24, s6, 9
	s_mov_b32 s25, 0
	s_lshl_b64 s[0:1], s[24:25], 3
	v_lshlrev_b32_e32 v9, 5, v0
	s_waitcnt lgkmcnt(0)
	s_add_u32 s0, s20, s0
	s_addc_u32 s1, s21, s1
	global_load_dwordx4 v[1:4], v9, s[0:1]
	global_load_dwordx4 v[5:8], v9, s[0:1] offset:16
	v_mbcnt_lo_u32_b32 v12, -1, 0
	v_mbcnt_hi_u32_b32 v15, -1, v12
	v_subrev_co_u32_e64 v19, s[6:7], 1, v15
	v_and_b32_e32 v20, 64, v15
	v_cmp_lt_i32_e64 s[18:19], v19, v20
	v_or_b32_e32 v13, 63, v0
	v_lshrrev_b32_e32 v14, 4, v0
	v_mul_i32_i24_e32 v16, 0xffffffe4, v0
	v_and_b32_e32 v17, 15, v15
	v_and_b32_e32 v18, 16, v15
	v_cmp_lt_u32_e64 s[2:3], 31, v15
	v_and_b32_e32 v21, 1, v15
	v_cndmask_b32_e64 v15, v19, v15, s[18:19]
	v_mov_b32_e32 v10, 0
	s_movk_i32 s28, 0x37f
	s_movk_i32 s29, 0x380
	v_lshlrev_b32_e32 v11, 2, v0
	v_cmp_gt_u32_e32 vcc, 2, v0
	v_cmp_lt_u32_e64 s[0:1], 63, v0
	v_or_b32_e32 v12, 0xffffff80, v0
	v_cmp_eq_u32_e64 s[4:5], v0, v13
	v_and_b32_e32 v13, 4, v14
	v_add_u32_e32 v14, v9, v16
	v_cmp_eq_u32_e64 s[8:9], 0, v17
	v_cmp_lt_u32_e64 s[10:11], 1, v17
	v_cmp_lt_u32_e64 s[12:13], 3, v17
	;; [unrolled: 1-line block ×3, first 2 shown]
	v_cmp_eq_u32_e64 s[16:17], 0, v18
	v_cmp_eq_u32_e64 s[18:19], 0, v21
	v_lshlrev_b32_e32 v15, 2, v15
	s_mov_b32 s30, s25
	s_waitcnt vmcnt(1)
	v_xor_b32_e32 v2, 0x80000000, v2
	v_xor_b32_e32 v4, 0x80000000, v4
	s_waitcnt vmcnt(0)
	v_xor_b32_e32 v6, 0x80000000, v6
	v_xor_b32_e32 v8, 0x80000000, v8
	s_branch .LBB93_2
.LBB93_1:                               ;   in Loop: Header=BB93_2 Depth=1
	s_add_i32 s30, s30, 1
	s_cmp_eq_u32 s30, 10
	s_cbranch_scc1 .LBB93_12
.LBB93_2:                               ; =>This Loop Header: Depth=1
                                        ;     Child Loop BB93_4 Depth 2
                                        ;       Child Loop BB93_5 Depth 3
	s_mov_b32 s31, 0
	s_branch .LBB93_4
.LBB93_3:                               ;   in Loop: Header=BB93_4 Depth=2
	s_or_b64 exec, exec, s[20:21]
	s_waitcnt lgkmcnt(0)
	v_add_u32_e32 v24, v25, v24
	ds_bpermute_b32 v24, v15, v24
	s_add_i32 s20, s31, 4
	s_cmp_lt_u32 s31, 60
	s_mov_b32 s31, s20
	s_waitcnt lgkmcnt(0)
	v_cndmask_b32_e64 v24, v24, v25, s[6:7]
	ds_read_b32 v25, v10 offset:4100
	s_waitcnt lgkmcnt(0)
	v_lshl_add_u32 v28, v25, 16, v24
	ds_read2_b64 v[24:27], v9 offset1:1
	s_waitcnt lgkmcnt(0)
	v_add_u32_e32 v29, v28, v24
	v_add_u32_e32 v24, v25, v29
	;; [unrolled: 1-line block ×3, first 2 shown]
	ds_write2_b64 v9, v[28:29], v[24:25] offset1:1
	v_add_u32_e32 v24, v27, v25
	ds_read_b64 v[25:26], v9 offset:16
	ds_read_b32 v27, v9 offset:24
	s_waitcnt lgkmcnt(1)
	v_add_u32_e32 v25, v25, v24
	v_add_u32_e32 v26, v26, v25
	s_waitcnt lgkmcnt(0)
	v_add_u32_e32 v27, v27, v26
	ds_write2_b64 v9, v[24:25], v[26:27] offset0:2 offset1:3
	s_waitcnt lgkmcnt(0)
	s_barrier
	s_cbranch_scc0 .LBB93_1
.LBB93_4:                               ;   Parent Loop BB93_2 Depth=1
                                        ; =>  This Loop Header: Depth=2
                                        ;       Child Loop BB93_5 Depth 3
	s_mov_b64 s[26:27], 0
	v_mov_b32_e32 v16, v12
	v_mov_b32_e32 v17, v11
.LBB93_5:                               ;   Parent Loop BB93_2 Depth=1
                                        ;     Parent Loop BB93_4 Depth=2
                                        ; =>    This Inner Loop Header: Depth=3
	v_add_u32_e32 v16, 0x80, v16
	v_cmp_lt_u32_e64 s[20:21], s28, v16
	ds_write_b32 v17, v10
	s_or_b64 s[26:27], s[20:21], s[26:27]
	v_add_u32_e32 v17, 0x200, v17
	s_andn2_b64 exec, exec, s[26:27]
	s_cbranch_execnz .LBB93_5
; %bb.6:                                ;   in Loop: Header=BB93_4 Depth=2
	s_or_b64 exec, exec, s[26:27]
	s_sub_i32 s20, 60, s31
	v_lshlrev_b64 v[16:17], s20, v[1:2]
	v_lshrrev_b32_e32 v16, 21, v17
	v_lshrrev_b32_e32 v17, 30, v17
	v_and_or_b32 v16, v16, s29, v0
	v_and_b32_e32 v17, 2, v17
	v_lshl_or_b32 v17, v16, 2, v17
	ds_read_u16 v16, v17
	s_waitcnt lgkmcnt(0)
	v_add_u16_e32 v18, 1, v16
	ds_write_b16 v17, v18
	v_lshlrev_b64 v[18:19], s20, v[3:4]
	v_lshrrev_b32_e32 v18, 21, v19
	v_lshrrev_b32_e32 v19, 30, v19
	v_and_or_b32 v18, v18, s29, v0
	v_and_b32_e32 v19, 2, v19
	v_lshl_or_b32 v19, v18, 2, v19
	ds_read_u16 v18, v19
	s_waitcnt lgkmcnt(0)
	v_add_u16_e32 v20, 1, v18
	ds_write_b16 v19, v20
	v_lshlrev_b64 v[20:21], s20, v[5:6]
	v_lshrrev_b32_e32 v20, 21, v21
	v_lshrrev_b32_e32 v21, 30, v21
	v_and_or_b32 v20, v20, s29, v0
	v_and_b32_e32 v21, 2, v21
	v_lshl_or_b32 v21, v20, 2, v21
	ds_read_u16 v20, v21
	s_waitcnt lgkmcnt(0)
	v_add_u16_e32 v22, 1, v20
	ds_write_b16 v21, v22
	v_lshlrev_b64 v[22:23], s20, v[7:8]
	v_lshrrev_b32_e32 v22, 21, v23
	v_lshrrev_b32_e32 v23, 30, v23
	v_and_or_b32 v22, v22, s29, v0
	v_and_b32_e32 v23, 2, v23
	v_lshl_or_b32 v23, v22, 2, v23
	ds_read_u16 v22, v23
	s_waitcnt lgkmcnt(0)
	v_add_u16_e32 v24, 1, v22
	ds_write_b16 v23, v24
	s_waitcnt lgkmcnt(0)
	s_barrier
	ds_read2_b64 v[24:27], v9 offset1:1
	s_waitcnt lgkmcnt(0)
	v_add_u32_e32 v24, v25, v24
	v_add3_u32 v28, v24, v26, v27
	ds_read2_b64 v[24:27], v9 offset0:2 offset1:3
	s_waitcnt lgkmcnt(0)
	v_add3_u32 v24, v28, v24, v25
	v_add3_u32 v24, v24, v26, v27
	s_nop 1
	v_mov_b32_dpp v25, v24 row_shr:1 row_mask:0xf bank_mask:0xf
	v_cndmask_b32_e64 v25, v25, 0, s[8:9]
	v_add_u32_e32 v24, v25, v24
	s_nop 1
	v_mov_b32_dpp v25, v24 row_shr:2 row_mask:0xf bank_mask:0xf
	v_cndmask_b32_e64 v25, 0, v25, s[10:11]
	v_add_u32_e32 v24, v24, v25
	;; [unrolled: 4-line block ×4, first 2 shown]
	s_nop 1
	v_mov_b32_dpp v25, v24 row_bcast:15 row_mask:0xf bank_mask:0xf
	v_cndmask_b32_e64 v25, v25, 0, s[16:17]
	v_add_u32_e32 v24, v24, v25
	s_nop 1
	v_mov_b32_dpp v25, v24 row_bcast:31 row_mask:0xf bank_mask:0xf
	v_cndmask_b32_e64 v25, 0, v25, s[2:3]
	v_add_u32_e32 v24, v24, v25
	s_and_saveexec_b64 s[20:21], s[4:5]
; %bb.7:                                ;   in Loop: Header=BB93_4 Depth=2
	ds_write_b32 v13, v24 offset:4096
; %bb.8:                                ;   in Loop: Header=BB93_4 Depth=2
	s_or_b64 exec, exec, s[20:21]
	s_waitcnt lgkmcnt(0)
	s_barrier
	s_and_saveexec_b64 s[20:21], vcc
	s_cbranch_execz .LBB93_10
; %bb.9:                                ;   in Loop: Header=BB93_4 Depth=2
	ds_read_b32 v25, v14 offset:4096
	s_waitcnt lgkmcnt(0)
	s_nop 0
	v_mov_b32_dpp v26, v25 row_shr:1 row_mask:0xf bank_mask:0xf
	v_cndmask_b32_e64 v26, v26, 0, s[18:19]
	v_add_u32_e32 v25, v26, v25
	ds_write_b32 v14, v25 offset:4096
.LBB93_10:                              ;   in Loop: Header=BB93_4 Depth=2
	s_or_b64 exec, exec, s[20:21]
	v_mov_b32_e32 v25, 0
	s_waitcnt lgkmcnt(0)
	s_barrier
	s_and_saveexec_b64 s[20:21], s[0:1]
	s_cbranch_execz .LBB93_3
; %bb.11:                               ;   in Loop: Header=BB93_4 Depth=2
	ds_read_b32 v25, v13 offset:4092
	s_branch .LBB93_3
.LBB93_12:
	ds_read_u16 v0, v17
	ds_read_u16 v1, v19
	;; [unrolled: 1-line block ×4, first 2 shown]
	s_lshl_b64 s[0:1], s[24:25], 2
	s_add_u32 s0, s22, s0
	s_waitcnt lgkmcnt(3)
	v_add_u32_sdwa v0, v0, v16 dst_sel:DWORD dst_unused:UNUSED_PAD src0_sel:DWORD src1_sel:WORD_0
	s_waitcnt lgkmcnt(2)
	v_add_u32_sdwa v1, v1, v18 dst_sel:DWORD dst_unused:UNUSED_PAD src0_sel:DWORD src1_sel:WORD_0
	;; [unrolled: 2-line block ×4, first 2 shown]
	s_addc_u32 s1, s23, s1
	v_lshlrev_b32_e32 v4, 2, v11
	global_store_dwordx4 v4, v[0:3], s[0:1]
	s_endpgm
	.section	.rodata,"a",@progbits
	.p2align	6, 0x0
	.amdhsa_kernel _Z11rank_kernelIxLj4ELb0EL18RadixRankAlgorithm0ELj128ELj4ELj10EEvPKT_Pi
		.amdhsa_group_segment_fixed_size 4104
		.amdhsa_private_segment_fixed_size 0
		.amdhsa_kernarg_size 16
		.amdhsa_user_sgpr_count 6
		.amdhsa_user_sgpr_private_segment_buffer 1
		.amdhsa_user_sgpr_dispatch_ptr 0
		.amdhsa_user_sgpr_queue_ptr 0
		.amdhsa_user_sgpr_kernarg_segment_ptr 1
		.amdhsa_user_sgpr_dispatch_id 0
		.amdhsa_user_sgpr_flat_scratch_init 0
		.amdhsa_user_sgpr_private_segment_size 0
		.amdhsa_uses_dynamic_stack 0
		.amdhsa_system_sgpr_private_segment_wavefront_offset 0
		.amdhsa_system_sgpr_workgroup_id_x 1
		.amdhsa_system_sgpr_workgroup_id_y 0
		.amdhsa_system_sgpr_workgroup_id_z 0
		.amdhsa_system_sgpr_workgroup_info 0
		.amdhsa_system_vgpr_workitem_id 0
		.amdhsa_next_free_vgpr 30
		.amdhsa_next_free_sgpr 61
		.amdhsa_reserve_vcc 1
		.amdhsa_reserve_flat_scratch 0
		.amdhsa_float_round_mode_32 0
		.amdhsa_float_round_mode_16_64 0
		.amdhsa_float_denorm_mode_32 3
		.amdhsa_float_denorm_mode_16_64 3
		.amdhsa_dx10_clamp 1
		.amdhsa_ieee_mode 1
		.amdhsa_fp16_overflow 0
		.amdhsa_exception_fp_ieee_invalid_op 0
		.amdhsa_exception_fp_denorm_src 0
		.amdhsa_exception_fp_ieee_div_zero 0
		.amdhsa_exception_fp_ieee_overflow 0
		.amdhsa_exception_fp_ieee_underflow 0
		.amdhsa_exception_fp_ieee_inexact 0
		.amdhsa_exception_int_div_zero 0
	.end_amdhsa_kernel
	.section	.text._Z11rank_kernelIxLj4ELb0EL18RadixRankAlgorithm0ELj128ELj4ELj10EEvPKT_Pi,"axG",@progbits,_Z11rank_kernelIxLj4ELb0EL18RadixRankAlgorithm0ELj128ELj4ELj10EEvPKT_Pi,comdat
.Lfunc_end93:
	.size	_Z11rank_kernelIxLj4ELb0EL18RadixRankAlgorithm0ELj128ELj4ELj10EEvPKT_Pi, .Lfunc_end93-_Z11rank_kernelIxLj4ELb0EL18RadixRankAlgorithm0ELj128ELj4ELj10EEvPKT_Pi
                                        ; -- End function
	.set _Z11rank_kernelIxLj4ELb0EL18RadixRankAlgorithm0ELj128ELj4ELj10EEvPKT_Pi.num_vgpr, 30
	.set _Z11rank_kernelIxLj4ELb0EL18RadixRankAlgorithm0ELj128ELj4ELj10EEvPKT_Pi.num_agpr, 0
	.set _Z11rank_kernelIxLj4ELb0EL18RadixRankAlgorithm0ELj128ELj4ELj10EEvPKT_Pi.numbered_sgpr, 32
	.set _Z11rank_kernelIxLj4ELb0EL18RadixRankAlgorithm0ELj128ELj4ELj10EEvPKT_Pi.num_named_barrier, 0
	.set _Z11rank_kernelIxLj4ELb0EL18RadixRankAlgorithm0ELj128ELj4ELj10EEvPKT_Pi.private_seg_size, 0
	.set _Z11rank_kernelIxLj4ELb0EL18RadixRankAlgorithm0ELj128ELj4ELj10EEvPKT_Pi.uses_vcc, 1
	.set _Z11rank_kernelIxLj4ELb0EL18RadixRankAlgorithm0ELj128ELj4ELj10EEvPKT_Pi.uses_flat_scratch, 0
	.set _Z11rank_kernelIxLj4ELb0EL18RadixRankAlgorithm0ELj128ELj4ELj10EEvPKT_Pi.has_dyn_sized_stack, 0
	.set _Z11rank_kernelIxLj4ELb0EL18RadixRankAlgorithm0ELj128ELj4ELj10EEvPKT_Pi.has_recursion, 0
	.set _Z11rank_kernelIxLj4ELb0EL18RadixRankAlgorithm0ELj128ELj4ELj10EEvPKT_Pi.has_indirect_call, 0
	.section	.AMDGPU.csdata,"",@progbits
; Kernel info:
; codeLenInByte = 1188
; TotalNumSgprs: 36
; NumVgprs: 30
; ScratchSize: 0
; MemoryBound: 0
; FloatMode: 240
; IeeeMode: 1
; LDSByteSize: 4104 bytes/workgroup (compile time only)
; SGPRBlocks: 8
; VGPRBlocks: 7
; NumSGPRsForWavesPerEU: 65
; NumVGPRsForWavesPerEU: 30
; Occupancy: 8
; WaveLimiterHint : 0
; COMPUTE_PGM_RSRC2:SCRATCH_EN: 0
; COMPUTE_PGM_RSRC2:USER_SGPR: 6
; COMPUTE_PGM_RSRC2:TRAP_HANDLER: 0
; COMPUTE_PGM_RSRC2:TGID_X_EN: 1
; COMPUTE_PGM_RSRC2:TGID_Y_EN: 0
; COMPUTE_PGM_RSRC2:TGID_Z_EN: 0
; COMPUTE_PGM_RSRC2:TIDIG_COMP_CNT: 0
	.section	.text._Z11rank_kernelIxLj4ELb0EL18RadixRankAlgorithm1ELj128ELj4ELj10EEvPKT_Pi,"axG",@progbits,_Z11rank_kernelIxLj4ELb0EL18RadixRankAlgorithm1ELj128ELj4ELj10EEvPKT_Pi,comdat
	.protected	_Z11rank_kernelIxLj4ELb0EL18RadixRankAlgorithm1ELj128ELj4ELj10EEvPKT_Pi ; -- Begin function _Z11rank_kernelIxLj4ELb0EL18RadixRankAlgorithm1ELj128ELj4ELj10EEvPKT_Pi
	.globl	_Z11rank_kernelIxLj4ELb0EL18RadixRankAlgorithm1ELj128ELj4ELj10EEvPKT_Pi
	.p2align	8
	.type	_Z11rank_kernelIxLj4ELb0EL18RadixRankAlgorithm1ELj128ELj4ELj10EEvPKT_Pi,@function
_Z11rank_kernelIxLj4ELb0EL18RadixRankAlgorithm1ELj128ELj4ELj10EEvPKT_Pi: ; @_Z11rank_kernelIxLj4ELb0EL18RadixRankAlgorithm1ELj128ELj4ELj10EEvPKT_Pi
; %bb.0:
	s_load_dwordx4 s[20:23], s[4:5], 0x0
	s_lshl_b32 s24, s6, 9
	s_mov_b32 s25, 0
	s_lshl_b64 s[0:1], s[24:25], 3
	v_lshlrev_b32_e32 v17, 5, v0
	s_waitcnt lgkmcnt(0)
	s_add_u32 s0, s20, s0
	s_addc_u32 s1, s21, s1
	global_load_dwordx4 v[1:4], v17, s[0:1]
	global_load_dwordx4 v[5:8], v17, s[0:1] offset:16
	v_mbcnt_lo_u32_b32 v9, -1, 0
	v_mbcnt_hi_u32_b32 v9, -1, v9
	v_or_b32_e32 v10, 63, v0
	v_cmp_eq_u32_e64 s[4:5], v0, v10
	v_subrev_co_u32_e64 v10, s[6:7], 1, v9
	v_and_b32_e32 v15, 64, v9
	v_lshrrev_b32_e32 v11, 4, v0
	v_cmp_lt_i32_e64 s[18:19], v10, v15
	v_mul_i32_i24_e32 v12, 0xffffffe4, v0
	v_and_b32_e32 v13, 15, v9
	v_and_b32_e32 v14, 16, v9
	v_cmp_lt_u32_e64 s[2:3], 31, v9
	v_and_b32_e32 v21, 4, v11
	v_and_b32_e32 v11, 1, v9
	v_cndmask_b32_e64 v9, v10, v9, s[18:19]
	v_mov_b32_e32 v18, 0
	s_movk_i32 s28, 0x37f
	s_movk_i32 s29, 0x380
	v_lshlrev_b32_e32 v19, 2, v0
	v_cmp_gt_u32_e32 vcc, 2, v0
	v_cmp_lt_u32_e64 s[0:1], 63, v0
	v_or_b32_e32 v20, 0xffffff80, v0
	v_add_u32_e32 v22, v17, v12
	v_cmp_eq_u32_e64 s[8:9], 0, v13
	v_cmp_lt_u32_e64 s[10:11], 1, v13
	v_cmp_lt_u32_e64 s[12:13], 3, v13
	;; [unrolled: 1-line block ×3, first 2 shown]
	v_cmp_eq_u32_e64 s[16:17], 0, v14
	v_cmp_eq_u32_e64 s[18:19], 0, v11
	v_lshlrev_b32_e32 v23, 2, v9
	s_mov_b32 s30, s25
	s_waitcnt vmcnt(1)
	v_xor_b32_e32 v2, 0x80000000, v2
	v_xor_b32_e32 v4, 0x80000000, v4
	s_waitcnt vmcnt(0)
	v_xor_b32_e32 v6, 0x80000000, v6
	v_xor_b32_e32 v8, 0x80000000, v8
	s_branch .LBB94_2
.LBB94_1:                               ;   in Loop: Header=BB94_2 Depth=1
	s_add_i32 s30, s30, 1
	s_cmp_eq_u32 s30, 10
	s_cbranch_scc1 .LBB94_12
.LBB94_2:                               ; =>This Loop Header: Depth=1
                                        ;     Child Loop BB94_4 Depth 2
                                        ;       Child Loop BB94_5 Depth 3
	s_mov_b32 s31, 0
	s_branch .LBB94_4
.LBB94_3:                               ;   in Loop: Header=BB94_4 Depth=2
	s_or_b64 exec, exec, s[20:21]
	s_waitcnt lgkmcnt(0)
	v_add_u32_e32 v12, v32, v12
	ds_bpermute_b32 v12, v23, v12
	ds_read_b32 v33, v18 offset:4100
	s_add_i32 s20, s31, 4
	s_cmp_lt_u32 s31, 60
	s_mov_b32 s31, s20
	s_waitcnt lgkmcnt(1)
	v_cndmask_b32_e64 v12, v12, v32, s[6:7]
	s_waitcnt lgkmcnt(0)
	v_lshl_add_u32 v12, v33, 16, v12
	v_add_u32_e32 v13, v12, v13
	v_add_u32_e32 v14, v13, v14
	;; [unrolled: 1-line block ×7, first 2 shown]
	ds_write2_b64 v17, v[12:13], v[14:15] offset1:1
	ds_write2_b64 v17, v[32:33], v[9:10] offset0:2 offset1:3
	s_waitcnt lgkmcnt(0)
	s_barrier
	s_cbranch_scc0 .LBB94_1
.LBB94_4:                               ;   Parent Loop BB94_2 Depth=1
                                        ; =>  This Loop Header: Depth=2
                                        ;       Child Loop BB94_5 Depth 3
	s_mov_b64 s[26:27], 0
	v_mov_b32_e32 v9, v20
	v_mov_b32_e32 v10, v19
.LBB94_5:                               ;   Parent Loop BB94_2 Depth=1
                                        ;     Parent Loop BB94_4 Depth=2
                                        ; =>    This Inner Loop Header: Depth=3
	v_add_u32_e32 v9, 0x80, v9
	v_cmp_lt_u32_e64 s[20:21], s28, v9
	ds_write_b32 v10, v18
	s_or_b64 s[26:27], s[20:21], s[26:27]
	v_add_u32_e32 v10, 0x200, v10
	s_andn2_b64 exec, exec, s[26:27]
	s_cbranch_execnz .LBB94_5
; %bb.6:                                ;   in Loop: Header=BB94_4 Depth=2
	s_or_b64 exec, exec, s[26:27]
	s_sub_i32 s20, 60, s31
	v_lshlrev_b64 v[9:10], s20, v[1:2]
	v_lshrrev_b32_e32 v9, 21, v10
	v_lshrrev_b32_e32 v10, 30, v10
	v_and_or_b32 v9, v9, s29, v0
	v_and_b32_e32 v10, 2, v10
	v_lshl_or_b32 v25, v9, 2, v10
	ds_read_u16 v24, v25
	v_lshlrev_b64 v[9:10], s20, v[3:4]
	v_lshrrev_b32_e32 v9, 21, v10
	v_lshrrev_b32_e32 v10, 30, v10
	v_and_or_b32 v9, v9, s29, v0
	s_waitcnt lgkmcnt(0)
	v_add_u16_e32 v11, 1, v24
	v_and_b32_e32 v10, 2, v10
	ds_write_b16 v25, v11
	v_lshl_or_b32 v27, v9, 2, v10
	ds_read_u16 v26, v27
	v_lshlrev_b64 v[9:10], s20, v[5:6]
	s_waitcnt lgkmcnt(0)
	v_add_u16_e32 v9, 1, v26
	ds_write_b16 v27, v9
	v_lshrrev_b32_e32 v9, 21, v10
	v_lshrrev_b32_e32 v10, 30, v10
	v_and_or_b32 v9, v9, s29, v0
	v_and_b32_e32 v10, 2, v10
	v_lshl_or_b32 v29, v9, 2, v10
	ds_read_u16 v28, v29
	v_lshlrev_b64 v[9:10], s20, v[7:8]
	v_lshrrev_b32_e32 v9, 21, v10
	v_lshrrev_b32_e32 v10, 30, v10
	s_waitcnt lgkmcnt(0)
	v_add_u16_e32 v11, 1, v28
	v_and_or_b32 v9, v9, s29, v0
	v_and_b32_e32 v10, 2, v10
	ds_write_b16 v29, v11
	v_lshl_or_b32 v31, v9, 2, v10
	ds_read_u16 v30, v31
	s_waitcnt lgkmcnt(0)
	v_add_u16_e32 v9, 1, v30
	ds_write_b16 v31, v9
	s_waitcnt lgkmcnt(0)
	s_barrier
	ds_read2_b64 v[13:16], v17 offset1:1
	ds_read2_b64 v[9:12], v17 offset0:2 offset1:3
	s_waitcnt lgkmcnt(1)
	v_add_u32_e32 v32, v14, v13
	v_add3_u32 v32, v32, v15, v16
	s_waitcnt lgkmcnt(0)
	v_add3_u32 v32, v32, v9, v10
	v_add3_u32 v12, v32, v11, v12
	s_nop 1
	v_mov_b32_dpp v32, v12 row_shr:1 row_mask:0xf bank_mask:0xf
	v_cndmask_b32_e64 v32, v32, 0, s[8:9]
	v_add_u32_e32 v12, v32, v12
	s_nop 1
	v_mov_b32_dpp v32, v12 row_shr:2 row_mask:0xf bank_mask:0xf
	v_cndmask_b32_e64 v32, 0, v32, s[10:11]
	v_add_u32_e32 v12, v12, v32
	s_nop 1
	v_mov_b32_dpp v32, v12 row_shr:4 row_mask:0xf bank_mask:0xf
	v_cndmask_b32_e64 v32, 0, v32, s[12:13]
	v_add_u32_e32 v12, v12, v32
	s_nop 1
	v_mov_b32_dpp v32, v12 row_shr:8 row_mask:0xf bank_mask:0xf
	v_cndmask_b32_e64 v32, 0, v32, s[14:15]
	v_add_u32_e32 v12, v12, v32
	s_nop 1
	v_mov_b32_dpp v32, v12 row_bcast:15 row_mask:0xf bank_mask:0xf
	v_cndmask_b32_e64 v32, v32, 0, s[16:17]
	v_add_u32_e32 v12, v12, v32
	s_nop 1
	v_mov_b32_dpp v32, v12 row_bcast:31 row_mask:0xf bank_mask:0xf
	v_cndmask_b32_e64 v32, 0, v32, s[2:3]
	v_add_u32_e32 v12, v12, v32
	s_and_saveexec_b64 s[20:21], s[4:5]
; %bb.7:                                ;   in Loop: Header=BB94_4 Depth=2
	ds_write_b32 v21, v12 offset:4096
; %bb.8:                                ;   in Loop: Header=BB94_4 Depth=2
	s_or_b64 exec, exec, s[20:21]
	s_waitcnt lgkmcnt(0)
	s_barrier
	s_and_saveexec_b64 s[20:21], vcc
	s_cbranch_execz .LBB94_10
; %bb.9:                                ;   in Loop: Header=BB94_4 Depth=2
	ds_read_b32 v32, v22 offset:4096
	s_waitcnt lgkmcnt(0)
	s_nop 0
	v_mov_b32_dpp v33, v32 row_shr:1 row_mask:0xf bank_mask:0xf
	v_cndmask_b32_e64 v33, v33, 0, s[18:19]
	v_add_u32_e32 v32, v33, v32
	ds_write_b32 v22, v32 offset:4096
.LBB94_10:                              ;   in Loop: Header=BB94_4 Depth=2
	s_or_b64 exec, exec, s[20:21]
	v_mov_b32_e32 v32, 0
	s_waitcnt lgkmcnt(0)
	s_barrier
	s_and_saveexec_b64 s[20:21], s[0:1]
	s_cbranch_execz .LBB94_3
; %bb.11:                               ;   in Loop: Header=BB94_4 Depth=2
	ds_read_b32 v32, v21 offset:4092
	s_branch .LBB94_3
.LBB94_12:
	ds_read_u16 v0, v25
	ds_read_u16 v1, v27
	;; [unrolled: 1-line block ×4, first 2 shown]
	s_lshl_b64 s[0:1], s[24:25], 2
	s_add_u32 s0, s22, s0
	s_waitcnt lgkmcnt(3)
	v_add_u32_sdwa v0, v0, v24 dst_sel:DWORD dst_unused:UNUSED_PAD src0_sel:DWORD src1_sel:WORD_0
	s_waitcnt lgkmcnt(2)
	v_add_u32_sdwa v1, v1, v26 dst_sel:DWORD dst_unused:UNUSED_PAD src0_sel:DWORD src1_sel:WORD_0
	;; [unrolled: 2-line block ×4, first 2 shown]
	s_addc_u32 s1, s23, s1
	v_lshlrev_b32_e32 v4, 2, v19
	global_store_dwordx4 v4, v[0:3], s[0:1]
	s_endpgm
	.section	.rodata,"a",@progbits
	.p2align	6, 0x0
	.amdhsa_kernel _Z11rank_kernelIxLj4ELb0EL18RadixRankAlgorithm1ELj128ELj4ELj10EEvPKT_Pi
		.amdhsa_group_segment_fixed_size 4104
		.amdhsa_private_segment_fixed_size 0
		.amdhsa_kernarg_size 16
		.amdhsa_user_sgpr_count 6
		.amdhsa_user_sgpr_private_segment_buffer 1
		.amdhsa_user_sgpr_dispatch_ptr 0
		.amdhsa_user_sgpr_queue_ptr 0
		.amdhsa_user_sgpr_kernarg_segment_ptr 1
		.amdhsa_user_sgpr_dispatch_id 0
		.amdhsa_user_sgpr_flat_scratch_init 0
		.amdhsa_user_sgpr_private_segment_size 0
		.amdhsa_uses_dynamic_stack 0
		.amdhsa_system_sgpr_private_segment_wavefront_offset 0
		.amdhsa_system_sgpr_workgroup_id_x 1
		.amdhsa_system_sgpr_workgroup_id_y 0
		.amdhsa_system_sgpr_workgroup_id_z 0
		.amdhsa_system_sgpr_workgroup_info 0
		.amdhsa_system_vgpr_workitem_id 0
		.amdhsa_next_free_vgpr 34
		.amdhsa_next_free_sgpr 61
		.amdhsa_reserve_vcc 1
		.amdhsa_reserve_flat_scratch 0
		.amdhsa_float_round_mode_32 0
		.amdhsa_float_round_mode_16_64 0
		.amdhsa_float_denorm_mode_32 3
		.amdhsa_float_denorm_mode_16_64 3
		.amdhsa_dx10_clamp 1
		.amdhsa_ieee_mode 1
		.amdhsa_fp16_overflow 0
		.amdhsa_exception_fp_ieee_invalid_op 0
		.amdhsa_exception_fp_denorm_src 0
		.amdhsa_exception_fp_ieee_div_zero 0
		.amdhsa_exception_fp_ieee_overflow 0
		.amdhsa_exception_fp_ieee_underflow 0
		.amdhsa_exception_fp_ieee_inexact 0
		.amdhsa_exception_int_div_zero 0
	.end_amdhsa_kernel
	.section	.text._Z11rank_kernelIxLj4ELb0EL18RadixRankAlgorithm1ELj128ELj4ELj10EEvPKT_Pi,"axG",@progbits,_Z11rank_kernelIxLj4ELb0EL18RadixRankAlgorithm1ELj128ELj4ELj10EEvPKT_Pi,comdat
.Lfunc_end94:
	.size	_Z11rank_kernelIxLj4ELb0EL18RadixRankAlgorithm1ELj128ELj4ELj10EEvPKT_Pi, .Lfunc_end94-_Z11rank_kernelIxLj4ELb0EL18RadixRankAlgorithm1ELj128ELj4ELj10EEvPKT_Pi
                                        ; -- End function
	.set _Z11rank_kernelIxLj4ELb0EL18RadixRankAlgorithm1ELj128ELj4ELj10EEvPKT_Pi.num_vgpr, 34
	.set _Z11rank_kernelIxLj4ELb0EL18RadixRankAlgorithm1ELj128ELj4ELj10EEvPKT_Pi.num_agpr, 0
	.set _Z11rank_kernelIxLj4ELb0EL18RadixRankAlgorithm1ELj128ELj4ELj10EEvPKT_Pi.numbered_sgpr, 32
	.set _Z11rank_kernelIxLj4ELb0EL18RadixRankAlgorithm1ELj128ELj4ELj10EEvPKT_Pi.num_named_barrier, 0
	.set _Z11rank_kernelIxLj4ELb0EL18RadixRankAlgorithm1ELj128ELj4ELj10EEvPKT_Pi.private_seg_size, 0
	.set _Z11rank_kernelIxLj4ELb0EL18RadixRankAlgorithm1ELj128ELj4ELj10EEvPKT_Pi.uses_vcc, 1
	.set _Z11rank_kernelIxLj4ELb0EL18RadixRankAlgorithm1ELj128ELj4ELj10EEvPKT_Pi.uses_flat_scratch, 0
	.set _Z11rank_kernelIxLj4ELb0EL18RadixRankAlgorithm1ELj128ELj4ELj10EEvPKT_Pi.has_dyn_sized_stack, 0
	.set _Z11rank_kernelIxLj4ELb0EL18RadixRankAlgorithm1ELj128ELj4ELj10EEvPKT_Pi.has_recursion, 0
	.set _Z11rank_kernelIxLj4ELb0EL18RadixRankAlgorithm1ELj128ELj4ELj10EEvPKT_Pi.has_indirect_call, 0
	.section	.AMDGPU.csdata,"",@progbits
; Kernel info:
; codeLenInByte = 1152
; TotalNumSgprs: 36
; NumVgprs: 34
; ScratchSize: 0
; MemoryBound: 0
; FloatMode: 240
; IeeeMode: 1
; LDSByteSize: 4104 bytes/workgroup (compile time only)
; SGPRBlocks: 8
; VGPRBlocks: 8
; NumSGPRsForWavesPerEU: 65
; NumVGPRsForWavesPerEU: 34
; Occupancy: 7
; WaveLimiterHint : 0
; COMPUTE_PGM_RSRC2:SCRATCH_EN: 0
; COMPUTE_PGM_RSRC2:USER_SGPR: 6
; COMPUTE_PGM_RSRC2:TRAP_HANDLER: 0
; COMPUTE_PGM_RSRC2:TGID_X_EN: 1
; COMPUTE_PGM_RSRC2:TGID_Y_EN: 0
; COMPUTE_PGM_RSRC2:TGID_Z_EN: 0
; COMPUTE_PGM_RSRC2:TIDIG_COMP_CNT: 0
	.section	.text._Z11rank_kernelIxLj4ELb0EL18RadixRankAlgorithm2ELj128ELj4ELj10EEvPKT_Pi,"axG",@progbits,_Z11rank_kernelIxLj4ELb0EL18RadixRankAlgorithm2ELj128ELj4ELj10EEvPKT_Pi,comdat
	.protected	_Z11rank_kernelIxLj4ELb0EL18RadixRankAlgorithm2ELj128ELj4ELj10EEvPKT_Pi ; -- Begin function _Z11rank_kernelIxLj4ELb0EL18RadixRankAlgorithm2ELj128ELj4ELj10EEvPKT_Pi
	.globl	_Z11rank_kernelIxLj4ELb0EL18RadixRankAlgorithm2ELj128ELj4ELj10EEvPKT_Pi
	.p2align	8
	.type	_Z11rank_kernelIxLj4ELb0EL18RadixRankAlgorithm2ELj128ELj4ELj10EEvPKT_Pi,@function
_Z11rank_kernelIxLj4ELb0EL18RadixRankAlgorithm2ELj128ELj4ELj10EEvPKT_Pi: ; @_Z11rank_kernelIxLj4ELb0EL18RadixRankAlgorithm2ELj128ELj4ELj10EEvPKT_Pi
; %bb.0:
	s_load_dwordx4 s[24:27], s[4:5], 0x0
	s_load_dword s20, s[4:5], 0x1c
	s_lshl_b32 s28, s6, 9
	s_mov_b32 s29, 0
	s_lshl_b64 s[0:1], s[28:29], 3
	s_waitcnt lgkmcnt(0)
	s_add_u32 s0, s24, s0
	s_addc_u32 s1, s25, s1
	v_lshlrev_b32_e32 v11, 5, v0
	global_load_dwordx4 v[3:6], v11, s[0:1]
	global_load_dwordx4 v[7:10], v11, s[0:1] offset:16
	v_mbcnt_lo_u32_b32 v12, -1, 0
	v_mbcnt_hi_u32_b32 v12, -1, v12
	s_lshr_b32 s21, s20, 16
	v_or_b32_e32 v14, 63, v0
	v_subrev_co_u32_e64 v18, s[6:7], 1, v12
	v_and_b32_e32 v19, 64, v12
	s_and_b32 s20, s20, 0xffff
	v_mad_u32_u24 v1, v2, s21, v1
	v_lshlrev_b32_e32 v13, 2, v0
	v_cmp_gt_u32_e32 vcc, 2, v0
	v_cmp_lt_u32_e64 s[0:1], 63, v0
	v_lshrrev_b32_e32 v15, 4, v0
	v_cmp_eq_u32_e64 s[4:5], v0, v14
	v_cmp_lt_i32_e64 s[18:19], v18, v19
	v_mad_u32_u24 v0, v1, s20, v0
	v_and_b32_e32 v16, 15, v12
	v_and_b32_e32 v17, 16, v12
	v_cmp_lt_u32_e64 s[2:3], 31, v12
	v_and_b32_e32 v14, 4, v15
	v_and_b32_e32 v15, 1, v12
	v_cndmask_b32_e64 v12, v18, v12, s[18:19]
	v_lshrrev_b32_e32 v0, 4, v0
	v_mov_b32_e32 v11, 0
	v_cmp_eq_u32_e64 s[8:9], 0, v16
	v_cmp_lt_u32_e64 s[10:11], 1, v16
	v_cmp_lt_u32_e64 s[12:13], 3, v16
	;; [unrolled: 1-line block ×3, first 2 shown]
	v_cmp_eq_u32_e64 s[16:17], 0, v17
	v_cmp_eq_u32_e64 s[18:19], 0, v15
	v_add_u32_e32 v15, -4, v14
	v_lshlrev_b32_e32 v16, 2, v12
	v_and_b32_e32 v2, 0xffffffc, v0
	s_mov_b32 s30, s29
	s_waitcnt vmcnt(1)
	v_xor_b32_e32 v4, 0x80000000, v4
	v_xor_b32_e32 v6, 0x80000000, v6
	s_waitcnt vmcnt(0)
	v_xor_b32_e32 v8, 0x80000000, v8
	v_xor_b32_e32 v10, 0x80000000, v10
	s_branch .LBB95_2
.LBB95_1:                               ;   in Loop: Header=BB95_2 Depth=1
	s_add_i32 s30, s30, 1
	s_cmp_eq_u32 s30, 10
	s_cbranch_scc1 .LBB95_18
.LBB95_2:                               ; =>This Loop Header: Depth=1
                                        ;     Child Loop BB95_4 Depth 2
	s_mov_b64 s[24:25], 60
	s_mov_b32 s31, -4
	s_branch .LBB95_4
.LBB95_3:                               ;   in Loop: Header=BB95_4 Depth=2
	s_or_b64 exec, exec, s[20:21]
	s_waitcnt lgkmcnt(0)
	v_add_u32_e32 v0, v1, v0
	ds_bpermute_b32 v0, v16, v0
	s_add_i32 s31, s31, 4
	s_add_u32 s24, s24, -4
	s_addc_u32 s25, s25, -1
	s_cmp_lt_u32 s31, 60
	s_waitcnt lgkmcnt(0)
	v_cndmask_b32_e64 v0, v0, v1, s[6:7]
	ds_write_b32 v13, v0 offset:8
	s_waitcnt lgkmcnt(0)
	s_barrier
	s_cbranch_scc0 .LBB95_1
.LBB95_4:                               ;   Parent Loop BB95_2 Depth=1
                                        ; =>  This Inner Loop Header: Depth=2
	v_lshlrev_b64 v[0:1], s24, v[3:4]
	ds_write_b32 v13, v11 offset:8
	v_bfe_u32 v12, v1, 28, 1
	v_add_co_u32_e64 v19, s[20:21], -1, v12
	v_addc_co_u32_e64 v20, s[20:21], 0, -1, s[20:21]
	v_cmp_ne_u32_e64 s[20:21], 0, v12
	v_lshrrev_b32_e32 v18, 28, v1
	v_xor_b32_e32 v12, s21, v20
	v_and_b32_e32 v20, exec_hi, v12
	v_lshlrev_b32_e32 v12, 30, v18
	v_xor_b32_e32 v19, s20, v19
	v_cmp_gt_i64_e64 s[20:21], 0, v[11:12]
	v_not_b32_e32 v12, v12
	v_ashrrev_i32_e32 v12, 31, v12
	v_and_b32_e32 v19, exec_lo, v19
	v_xor_b32_e32 v21, s21, v12
	v_xor_b32_e32 v12, s20, v12
	v_and_b32_e32 v19, v19, v12
	v_lshlrev_b32_e32 v12, 29, v18
	v_cmp_gt_i64_e64 s[20:21], 0, v[11:12]
	v_not_b32_e32 v12, v12
	v_ashrrev_i32_e32 v12, 31, v12
	v_mul_u32_u24_e32 v17, 12, v18
	v_xor_b32_e32 v18, s21, v12
	v_xor_b32_e32 v12, s20, v12
	v_cmp_gt_i64_e64 s[20:21], 0, v[0:1]
	v_not_b32_e32 v0, v1
	v_ashrrev_i32_e32 v0, 31, v0
	v_and_b32_e32 v20, v20, v21
	v_and_b32_e32 v12, v19, v12
	v_xor_b32_e32 v1, s21, v0
	v_xor_b32_e32 v0, s20, v0
	v_and_b32_e32 v18, v20, v18
	v_and_b32_e32 v0, v12, v0
	;; [unrolled: 1-line block ×3, first 2 shown]
	v_mbcnt_lo_u32_b32 v12, v0, 0
	v_mbcnt_hi_u32_b32 v18, v1, v12
	v_cmp_ne_u64_e64 s[20:21], 0, v[0:1]
	v_cmp_eq_u32_e64 s[22:23], 0, v18
	s_and_b64 s[22:23], s[20:21], s[22:23]
	s_waitcnt lgkmcnt(0)
	s_barrier
	; wave barrier
	s_and_saveexec_b64 s[20:21], s[22:23]
; %bb.5:                                ;   in Loop: Header=BB95_4 Depth=2
	v_bcnt_u32_b32 v0, v0, 0
	v_bcnt_u32_b32 v0, v1, v0
	v_add_u32_e32 v1, v2, v17
	ds_write_b32 v1, v0 offset:8
; %bb.6:                                ;   in Loop: Header=BB95_4 Depth=2
	s_or_b64 exec, exec, s[20:21]
	v_lshlrev_b64 v[0:1], s24, v[5:6]
	v_lshrrev_b32_e32 v21, 28, v1
	v_mad_u32_u24 v12, v21, 12, v2
	; wave barrier
	ds_read_b32 v19, v12 offset:8
	v_bfe_u32 v12, v1, 28, 1
	v_add_co_u32_e64 v22, s[20:21], -1, v12
	v_addc_co_u32_e64 v23, s[20:21], 0, -1, s[20:21]
	v_cmp_ne_u32_e64 s[20:21], 0, v12
	v_xor_b32_e32 v12, s21, v23
	v_and_b32_e32 v23, exec_hi, v12
	v_lshlrev_b32_e32 v12, 30, v21
	v_xor_b32_e32 v22, s20, v22
	v_cmp_gt_i64_e64 s[20:21], 0, v[11:12]
	v_not_b32_e32 v12, v12
	v_ashrrev_i32_e32 v12, 31, v12
	v_and_b32_e32 v22, exec_lo, v22
	v_xor_b32_e32 v24, s21, v12
	v_xor_b32_e32 v12, s20, v12
	v_and_b32_e32 v22, v22, v12
	v_lshlrev_b32_e32 v12, 29, v21
	v_cmp_gt_i64_e64 s[20:21], 0, v[11:12]
	v_not_b32_e32 v12, v12
	v_ashrrev_i32_e32 v12, 31, v12
	v_mul_u32_u24_e32 v20, 12, v21
	v_xor_b32_e32 v21, s21, v12
	v_xor_b32_e32 v12, s20, v12
	v_cmp_gt_i64_e64 s[20:21], 0, v[0:1]
	v_not_b32_e32 v0, v1
	v_ashrrev_i32_e32 v0, 31, v0
	v_and_b32_e32 v23, v23, v24
	v_and_b32_e32 v12, v22, v12
	v_xor_b32_e32 v1, s21, v0
	v_xor_b32_e32 v0, s20, v0
	v_and_b32_e32 v21, v23, v21
	v_and_b32_e32 v0, v12, v0
	;; [unrolled: 1-line block ×3, first 2 shown]
	v_mbcnt_lo_u32_b32 v12, v0, 0
	v_mbcnt_hi_u32_b32 v21, v1, v12
	v_cmp_ne_u64_e64 s[20:21], 0, v[0:1]
	v_cmp_eq_u32_e64 s[22:23], 0, v21
	s_and_b64 s[22:23], s[20:21], s[22:23]
	; wave barrier
	s_and_saveexec_b64 s[20:21], s[22:23]
	s_cbranch_execz .LBB95_8
; %bb.7:                                ;   in Loop: Header=BB95_4 Depth=2
	v_bcnt_u32_b32 v0, v0, 0
	v_bcnt_u32_b32 v0, v1, v0
	s_waitcnt lgkmcnt(0)
	v_add_u32_e32 v0, v19, v0
	v_add_u32_e32 v1, v2, v20
	ds_write_b32 v1, v0 offset:8
.LBB95_8:                               ;   in Loop: Header=BB95_4 Depth=2
	s_or_b64 exec, exec, s[20:21]
	v_lshlrev_b64 v[0:1], s24, v[7:8]
	v_lshrrev_b32_e32 v24, 28, v1
	v_mad_u32_u24 v12, v24, 12, v2
	; wave barrier
	ds_read_b32 v22, v12 offset:8
	v_bfe_u32 v12, v1, 28, 1
	v_add_co_u32_e64 v25, s[20:21], -1, v12
	v_addc_co_u32_e64 v26, s[20:21], 0, -1, s[20:21]
	v_cmp_ne_u32_e64 s[20:21], 0, v12
	v_xor_b32_e32 v12, s21, v26
	v_and_b32_e32 v26, exec_hi, v12
	v_lshlrev_b32_e32 v12, 30, v24
	v_xor_b32_e32 v25, s20, v25
	v_cmp_gt_i64_e64 s[20:21], 0, v[11:12]
	v_not_b32_e32 v12, v12
	v_ashrrev_i32_e32 v12, 31, v12
	v_and_b32_e32 v25, exec_lo, v25
	v_xor_b32_e32 v27, s21, v12
	v_xor_b32_e32 v12, s20, v12
	v_and_b32_e32 v25, v25, v12
	v_lshlrev_b32_e32 v12, 29, v24
	v_cmp_gt_i64_e64 s[20:21], 0, v[11:12]
	v_not_b32_e32 v12, v12
	v_ashrrev_i32_e32 v12, 31, v12
	v_mul_u32_u24_e32 v23, 12, v24
	v_xor_b32_e32 v24, s21, v12
	v_xor_b32_e32 v12, s20, v12
	v_cmp_gt_i64_e64 s[20:21], 0, v[0:1]
	v_not_b32_e32 v0, v1
	v_ashrrev_i32_e32 v0, 31, v0
	v_and_b32_e32 v26, v26, v27
	v_and_b32_e32 v12, v25, v12
	v_xor_b32_e32 v1, s21, v0
	v_xor_b32_e32 v0, s20, v0
	v_and_b32_e32 v24, v26, v24
	v_and_b32_e32 v0, v12, v0
	;; [unrolled: 1-line block ×3, first 2 shown]
	v_mbcnt_lo_u32_b32 v12, v0, 0
	v_mbcnt_hi_u32_b32 v24, v1, v12
	v_cmp_ne_u64_e64 s[20:21], 0, v[0:1]
	v_cmp_eq_u32_e64 s[22:23], 0, v24
	s_and_b64 s[22:23], s[20:21], s[22:23]
	; wave barrier
	s_and_saveexec_b64 s[20:21], s[22:23]
	s_cbranch_execz .LBB95_10
; %bb.9:                                ;   in Loop: Header=BB95_4 Depth=2
	v_bcnt_u32_b32 v0, v0, 0
	v_bcnt_u32_b32 v0, v1, v0
	s_waitcnt lgkmcnt(0)
	v_add_u32_e32 v0, v22, v0
	v_add_u32_e32 v1, v2, v23
	ds_write_b32 v1, v0 offset:8
.LBB95_10:                              ;   in Loop: Header=BB95_4 Depth=2
	s_or_b64 exec, exec, s[20:21]
	v_lshlrev_b64 v[0:1], s24, v[9:10]
	v_lshrrev_b32_e32 v27, 28, v1
	v_mad_u32_u24 v12, v27, 12, v2
	; wave barrier
	ds_read_b32 v25, v12 offset:8
	v_bfe_u32 v12, v1, 28, 1
	v_add_co_u32_e64 v28, s[20:21], -1, v12
	v_addc_co_u32_e64 v29, s[20:21], 0, -1, s[20:21]
	v_cmp_ne_u32_e64 s[20:21], 0, v12
	v_xor_b32_e32 v12, s21, v29
	v_and_b32_e32 v29, exec_hi, v12
	v_lshlrev_b32_e32 v12, 30, v27
	v_xor_b32_e32 v28, s20, v28
	v_cmp_gt_i64_e64 s[20:21], 0, v[11:12]
	v_not_b32_e32 v12, v12
	v_ashrrev_i32_e32 v12, 31, v12
	v_and_b32_e32 v28, exec_lo, v28
	v_xor_b32_e32 v30, s21, v12
	v_xor_b32_e32 v12, s20, v12
	v_and_b32_e32 v28, v28, v12
	v_lshlrev_b32_e32 v12, 29, v27
	v_cmp_gt_i64_e64 s[20:21], 0, v[11:12]
	v_not_b32_e32 v12, v12
	v_ashrrev_i32_e32 v12, 31, v12
	v_mul_u32_u24_e32 v26, 12, v27
	v_xor_b32_e32 v27, s21, v12
	v_xor_b32_e32 v12, s20, v12
	v_cmp_gt_i64_e64 s[20:21], 0, v[0:1]
	v_not_b32_e32 v0, v1
	v_ashrrev_i32_e32 v0, 31, v0
	v_and_b32_e32 v29, v29, v30
	v_and_b32_e32 v12, v28, v12
	v_xor_b32_e32 v1, s21, v0
	v_xor_b32_e32 v0, s20, v0
	v_and_b32_e32 v27, v29, v27
	v_and_b32_e32 v0, v12, v0
	;; [unrolled: 1-line block ×3, first 2 shown]
	v_mbcnt_lo_u32_b32 v12, v0, 0
	v_mbcnt_hi_u32_b32 v12, v1, v12
	v_cmp_ne_u64_e64 s[20:21], 0, v[0:1]
	v_cmp_eq_u32_e64 s[22:23], 0, v12
	s_and_b64 s[22:23], s[20:21], s[22:23]
	; wave barrier
	s_and_saveexec_b64 s[20:21], s[22:23]
	s_cbranch_execz .LBB95_12
; %bb.11:                               ;   in Loop: Header=BB95_4 Depth=2
	v_bcnt_u32_b32 v0, v0, 0
	v_bcnt_u32_b32 v0, v1, v0
	s_waitcnt lgkmcnt(0)
	v_add_u32_e32 v0, v25, v0
	v_add_u32_e32 v1, v2, v26
	ds_write_b32 v1, v0 offset:8
.LBB95_12:                              ;   in Loop: Header=BB95_4 Depth=2
	s_or_b64 exec, exec, s[20:21]
	; wave barrier
	s_waitcnt lgkmcnt(0)
	s_barrier
	ds_read_b32 v0, v13 offset:8
	s_waitcnt lgkmcnt(0)
	s_nop 0
	v_mov_b32_dpp v1, v0 row_shr:1 row_mask:0xf bank_mask:0xf
	v_cndmask_b32_e64 v1, v1, 0, s[8:9]
	v_add_u32_e32 v0, v1, v0
	s_nop 1
	v_mov_b32_dpp v1, v0 row_shr:2 row_mask:0xf bank_mask:0xf
	v_cndmask_b32_e64 v1, 0, v1, s[10:11]
	v_add_u32_e32 v0, v0, v1
	;; [unrolled: 4-line block ×4, first 2 shown]
	s_nop 1
	v_mov_b32_dpp v1, v0 row_bcast:15 row_mask:0xf bank_mask:0xf
	v_cndmask_b32_e64 v1, v1, 0, s[16:17]
	v_add_u32_e32 v0, v0, v1
	s_nop 1
	v_mov_b32_dpp v1, v0 row_bcast:31 row_mask:0xf bank_mask:0xf
	v_cndmask_b32_e64 v1, 0, v1, s[2:3]
	v_add_u32_e32 v0, v0, v1
	s_and_saveexec_b64 s[20:21], s[4:5]
; %bb.13:                               ;   in Loop: Header=BB95_4 Depth=2
	ds_write_b32 v14, v0
; %bb.14:                               ;   in Loop: Header=BB95_4 Depth=2
	s_or_b64 exec, exec, s[20:21]
	s_waitcnt lgkmcnt(0)
	s_barrier
	s_and_saveexec_b64 s[20:21], vcc
	s_cbranch_execz .LBB95_16
; %bb.15:                               ;   in Loop: Header=BB95_4 Depth=2
	ds_read_b32 v1, v13
	s_waitcnt lgkmcnt(0)
	s_nop 0
	v_mov_b32_dpp v27, v1 row_shr:1 row_mask:0xf bank_mask:0xf
	v_cndmask_b32_e64 v27, v27, 0, s[18:19]
	v_add_u32_e32 v1, v27, v1
	ds_write_b32 v13, v1
.LBB95_16:                              ;   in Loop: Header=BB95_4 Depth=2
	s_or_b64 exec, exec, s[20:21]
	v_mov_b32_e32 v1, 0
	s_waitcnt lgkmcnt(0)
	s_barrier
	s_and_saveexec_b64 s[20:21], s[0:1]
	s_cbranch_execz .LBB95_3
; %bb.17:                               ;   in Loop: Header=BB95_4 Depth=2
	ds_read_b32 v1, v15
	s_branch .LBB95_3
.LBB95_18:
	v_add_u32_e32 v0, v2, v26
	v_add_u32_e32 v1, v2, v23
	;; [unrolled: 1-line block ×4, first 2 shown]
	ds_read_b32 v2, v2 offset:8
	ds_read_b32 v3, v3 offset:8
	;; [unrolled: 1-line block ×4, first 2 shown]
	s_lshl_b64 s[0:1], s[28:29], 2
	s_add_u32 s0, s26, s0
	s_waitcnt lgkmcnt(3)
	v_add_u32_e32 v0, v2, v18
	s_waitcnt lgkmcnt(2)
	v_add3_u32 v1, v21, v19, v3
	s_waitcnt lgkmcnt(1)
	v_add3_u32 v2, v24, v22, v4
	;; [unrolled: 2-line block ×3, first 2 shown]
	s_addc_u32 s1, s27, s1
	v_lshlrev_b32_e32 v4, 2, v13
	global_store_dwordx4 v4, v[0:3], s[0:1]
	s_endpgm
	.section	.rodata,"a",@progbits
	.p2align	6, 0x0
	.amdhsa_kernel _Z11rank_kernelIxLj4ELb0EL18RadixRankAlgorithm2ELj128ELj4ELj10EEvPKT_Pi
		.amdhsa_group_segment_fixed_size 520
		.amdhsa_private_segment_fixed_size 0
		.amdhsa_kernarg_size 272
		.amdhsa_user_sgpr_count 6
		.amdhsa_user_sgpr_private_segment_buffer 1
		.amdhsa_user_sgpr_dispatch_ptr 0
		.amdhsa_user_sgpr_queue_ptr 0
		.amdhsa_user_sgpr_kernarg_segment_ptr 1
		.amdhsa_user_sgpr_dispatch_id 0
		.amdhsa_user_sgpr_flat_scratch_init 0
		.amdhsa_user_sgpr_private_segment_size 0
		.amdhsa_uses_dynamic_stack 0
		.amdhsa_system_sgpr_private_segment_wavefront_offset 0
		.amdhsa_system_sgpr_workgroup_id_x 1
		.amdhsa_system_sgpr_workgroup_id_y 0
		.amdhsa_system_sgpr_workgroup_id_z 0
		.amdhsa_system_sgpr_workgroup_info 0
		.amdhsa_system_vgpr_workitem_id 2
		.amdhsa_next_free_vgpr 31
		.amdhsa_next_free_sgpr 32
		.amdhsa_reserve_vcc 1
		.amdhsa_reserve_flat_scratch 0
		.amdhsa_float_round_mode_32 0
		.amdhsa_float_round_mode_16_64 0
		.amdhsa_float_denorm_mode_32 3
		.amdhsa_float_denorm_mode_16_64 3
		.amdhsa_dx10_clamp 1
		.amdhsa_ieee_mode 1
		.amdhsa_fp16_overflow 0
		.amdhsa_exception_fp_ieee_invalid_op 0
		.amdhsa_exception_fp_denorm_src 0
		.amdhsa_exception_fp_ieee_div_zero 0
		.amdhsa_exception_fp_ieee_overflow 0
		.amdhsa_exception_fp_ieee_underflow 0
		.amdhsa_exception_fp_ieee_inexact 0
		.amdhsa_exception_int_div_zero 0
	.end_amdhsa_kernel
	.section	.text._Z11rank_kernelIxLj4ELb0EL18RadixRankAlgorithm2ELj128ELj4ELj10EEvPKT_Pi,"axG",@progbits,_Z11rank_kernelIxLj4ELb0EL18RadixRankAlgorithm2ELj128ELj4ELj10EEvPKT_Pi,comdat
.Lfunc_end95:
	.size	_Z11rank_kernelIxLj4ELb0EL18RadixRankAlgorithm2ELj128ELj4ELj10EEvPKT_Pi, .Lfunc_end95-_Z11rank_kernelIxLj4ELb0EL18RadixRankAlgorithm2ELj128ELj4ELj10EEvPKT_Pi
                                        ; -- End function
	.set _Z11rank_kernelIxLj4ELb0EL18RadixRankAlgorithm2ELj128ELj4ELj10EEvPKT_Pi.num_vgpr, 31
	.set _Z11rank_kernelIxLj4ELb0EL18RadixRankAlgorithm2ELj128ELj4ELj10EEvPKT_Pi.num_agpr, 0
	.set _Z11rank_kernelIxLj4ELb0EL18RadixRankAlgorithm2ELj128ELj4ELj10EEvPKT_Pi.numbered_sgpr, 32
	.set _Z11rank_kernelIxLj4ELb0EL18RadixRankAlgorithm2ELj128ELj4ELj10EEvPKT_Pi.num_named_barrier, 0
	.set _Z11rank_kernelIxLj4ELb0EL18RadixRankAlgorithm2ELj128ELj4ELj10EEvPKT_Pi.private_seg_size, 0
	.set _Z11rank_kernelIxLj4ELb0EL18RadixRankAlgorithm2ELj128ELj4ELj10EEvPKT_Pi.uses_vcc, 1
	.set _Z11rank_kernelIxLj4ELb0EL18RadixRankAlgorithm2ELj128ELj4ELj10EEvPKT_Pi.uses_flat_scratch, 0
	.set _Z11rank_kernelIxLj4ELb0EL18RadixRankAlgorithm2ELj128ELj4ELj10EEvPKT_Pi.has_dyn_sized_stack, 0
	.set _Z11rank_kernelIxLj4ELb0EL18RadixRankAlgorithm2ELj128ELj4ELj10EEvPKT_Pi.has_recursion, 0
	.set _Z11rank_kernelIxLj4ELb0EL18RadixRankAlgorithm2ELj128ELj4ELj10EEvPKT_Pi.has_indirect_call, 0
	.section	.AMDGPU.csdata,"",@progbits
; Kernel info:
; codeLenInByte = 1856
; TotalNumSgprs: 36
; NumVgprs: 31
; ScratchSize: 0
; MemoryBound: 0
; FloatMode: 240
; IeeeMode: 1
; LDSByteSize: 520 bytes/workgroup (compile time only)
; SGPRBlocks: 4
; VGPRBlocks: 7
; NumSGPRsForWavesPerEU: 36
; NumVGPRsForWavesPerEU: 31
; Occupancy: 8
; WaveLimiterHint : 0
; COMPUTE_PGM_RSRC2:SCRATCH_EN: 0
; COMPUTE_PGM_RSRC2:USER_SGPR: 6
; COMPUTE_PGM_RSRC2:TRAP_HANDLER: 0
; COMPUTE_PGM_RSRC2:TGID_X_EN: 1
; COMPUTE_PGM_RSRC2:TGID_Y_EN: 0
; COMPUTE_PGM_RSRC2:TGID_Z_EN: 0
; COMPUTE_PGM_RSRC2:TIDIG_COMP_CNT: 2
	.section	.text._Z11rank_kernelIxLj4ELb0EL18RadixRankAlgorithm0ELj128ELj8ELj10EEvPKT_Pi,"axG",@progbits,_Z11rank_kernelIxLj4ELb0EL18RadixRankAlgorithm0ELj128ELj8ELj10EEvPKT_Pi,comdat
	.protected	_Z11rank_kernelIxLj4ELb0EL18RadixRankAlgorithm0ELj128ELj8ELj10EEvPKT_Pi ; -- Begin function _Z11rank_kernelIxLj4ELb0EL18RadixRankAlgorithm0ELj128ELj8ELj10EEvPKT_Pi
	.globl	_Z11rank_kernelIxLj4ELb0EL18RadixRankAlgorithm0ELj128ELj8ELj10EEvPKT_Pi
	.p2align	8
	.type	_Z11rank_kernelIxLj4ELb0EL18RadixRankAlgorithm0ELj128ELj8ELj10EEvPKT_Pi,@function
_Z11rank_kernelIxLj4ELb0EL18RadixRankAlgorithm0ELj128ELj8ELj10EEvPKT_Pi: ; @_Z11rank_kernelIxLj4ELb0EL18RadixRankAlgorithm0ELj128ELj8ELj10EEvPKT_Pi
; %bb.0:
	s_load_dwordx4 s[20:23], s[4:5], 0x0
	s_lshl_b32 s24, s6, 10
	s_mov_b32 s25, 0
	s_lshl_b64 s[0:1], s[24:25], 3
	v_lshlrev_b32_e32 v17, 6, v0
	s_waitcnt lgkmcnt(0)
	s_add_u32 s0, s20, s0
	s_addc_u32 s1, s21, s1
	global_load_dwordx4 v[1:4], v17, s[0:1]
	global_load_dwordx4 v[5:8], v17, s[0:1] offset:16
	global_load_dwordx4 v[9:12], v17, s[0:1] offset:32
	;; [unrolled: 1-line block ×3, first 2 shown]
	v_mbcnt_lo_u32_b32 v20, -1, 0
	v_mbcnt_hi_u32_b32 v24, -1, v20
	v_subrev_co_u32_e64 v28, s[6:7], 1, v24
	v_and_b32_e32 v29, 64, v24
	v_cmp_lt_i32_e64 s[18:19], v28, v29
	v_lshlrev_b32_e32 v19, 5, v0
	v_or_b32_e32 v22, 63, v0
	v_lshrrev_b32_e32 v23, 4, v0
	v_mul_i32_i24_e32 v25, 0xffffffe4, v0
	v_and_b32_e32 v26, 15, v24
	v_and_b32_e32 v27, 16, v24
	v_cmp_lt_u32_e64 s[2:3], 31, v24
	v_and_b32_e32 v30, 1, v24
	v_cndmask_b32_e64 v24, v28, v24, s[18:19]
	v_mov_b32_e32 v17, 0
	s_movk_i32 s28, 0x37f
	s_movk_i32 s29, 0x380
	v_lshlrev_b32_e32 v18, 3, v0
	v_cmp_gt_u32_e32 vcc, 2, v0
	v_cmp_lt_u32_e64 s[0:1], 63, v0
	v_lshlrev_b32_e32 v20, 2, v0
	v_or_b32_e32 v21, 0xffffff80, v0
	v_cmp_eq_u32_e64 s[4:5], v0, v22
	v_and_b32_e32 v22, 4, v23
	v_add_u32_e32 v23, v19, v25
	v_cmp_eq_u32_e64 s[8:9], 0, v26
	v_cmp_lt_u32_e64 s[10:11], 1, v26
	v_cmp_lt_u32_e64 s[12:13], 3, v26
	;; [unrolled: 1-line block ×3, first 2 shown]
	v_cmp_eq_u32_e64 s[16:17], 0, v27
	v_cmp_eq_u32_e64 s[18:19], 0, v30
	v_lshlrev_b32_e32 v24, 2, v24
	s_mov_b32 s30, s25
	s_waitcnt vmcnt(3)
	v_xor_b32_e32 v2, 0x80000000, v2
	v_xor_b32_e32 v4, 0x80000000, v4
	s_waitcnt vmcnt(2)
	v_xor_b32_e32 v6, 0x80000000, v6
	v_xor_b32_e32 v8, 0x80000000, v8
	;; [unrolled: 3-line block ×4, first 2 shown]
	s_branch .LBB96_2
.LBB96_1:                               ;   in Loop: Header=BB96_2 Depth=1
	s_add_i32 s30, s30, 1
	s_cmp_eq_u32 s30, 10
	s_cbranch_scc1 .LBB96_12
.LBB96_2:                               ; =>This Loop Header: Depth=1
                                        ;     Child Loop BB96_4 Depth 2
                                        ;       Child Loop BB96_5 Depth 3
	s_mov_b32 s31, 0
	s_branch .LBB96_4
.LBB96_3:                               ;   in Loop: Header=BB96_4 Depth=2
	s_or_b64 exec, exec, s[20:21]
	s_waitcnt lgkmcnt(0)
	v_add_u32_e32 v41, v42, v41
	ds_bpermute_b32 v41, v24, v41
	s_add_i32 s20, s31, 4
	s_cmp_lt_u32 s31, 60
	s_mov_b32 s31, s20
	s_waitcnt lgkmcnt(0)
	v_cndmask_b32_e64 v41, v41, v42, s[6:7]
	ds_read_b32 v42, v17 offset:4100
	s_waitcnt lgkmcnt(0)
	v_lshl_add_u32 v45, v42, 16, v41
	ds_read2_b64 v[41:44], v19 offset1:1
	s_waitcnt lgkmcnt(0)
	v_add_u32_e32 v46, v45, v41
	v_add_u32_e32 v41, v42, v46
	;; [unrolled: 1-line block ×3, first 2 shown]
	ds_write2_b64 v19, v[45:46], v[41:42] offset1:1
	v_add_u32_e32 v41, v44, v42
	ds_read_b64 v[42:43], v19 offset:16
	ds_read_b32 v44, v19 offset:24
	s_waitcnt lgkmcnt(1)
	v_add_u32_e32 v42, v42, v41
	v_add_u32_e32 v43, v43, v42
	s_waitcnt lgkmcnt(0)
	v_add_u32_e32 v44, v44, v43
	ds_write2_b64 v19, v[41:42], v[43:44] offset0:2 offset1:3
	s_waitcnt lgkmcnt(0)
	s_barrier
	s_cbranch_scc0 .LBB96_1
.LBB96_4:                               ;   Parent Loop BB96_2 Depth=1
                                        ; =>  This Loop Header: Depth=2
                                        ;       Child Loop BB96_5 Depth 3
	s_mov_b64 s[26:27], 0
	v_mov_b32_e32 v25, v21
	v_mov_b32_e32 v26, v20
.LBB96_5:                               ;   Parent Loop BB96_2 Depth=1
                                        ;     Parent Loop BB96_4 Depth=2
                                        ; =>    This Inner Loop Header: Depth=3
	v_add_u32_e32 v25, 0x80, v25
	v_cmp_lt_u32_e64 s[20:21], s28, v25
	ds_write_b32 v26, v17
	s_or_b64 s[26:27], s[20:21], s[26:27]
	v_add_u32_e32 v26, 0x200, v26
	s_andn2_b64 exec, exec, s[26:27]
	s_cbranch_execnz .LBB96_5
; %bb.6:                                ;   in Loop: Header=BB96_4 Depth=2
	s_or_b64 exec, exec, s[26:27]
	s_sub_i32 s20, 60, s31
	v_lshlrev_b64 v[25:26], s20, v[1:2]
	v_lshlrev_b64 v[27:28], s20, v[3:4]
	v_lshrrev_b32_e32 v25, 21, v26
	v_lshrrev_b32_e32 v26, 30, v26
	v_and_or_b32 v25, v25, s29, v0
	v_and_b32_e32 v26, 2, v26
	v_lshl_or_b32 v26, v25, 2, v26
	ds_read_u16 v25, v26
	v_lshrrev_b32_e32 v27, 21, v28
	v_lshrrev_b32_e32 v28, 30, v28
	v_and_or_b32 v27, v27, s29, v0
	v_and_b32_e32 v28, 2, v28
	s_waitcnt lgkmcnt(0)
	v_add_u16_e32 v29, 1, v25
	ds_write_b16 v26, v29
	v_lshl_or_b32 v28, v27, 2, v28
	ds_read_u16 v27, v28
	v_lshlrev_b64 v[29:30], s20, v[5:6]
	v_lshlrev_b64 v[31:32], s20, v[7:8]
	v_lshrrev_b32_e32 v31, 21, v32
	s_waitcnt lgkmcnt(0)
	v_add_u16_e32 v29, 1, v27
	ds_write_b16 v28, v29
	v_lshrrev_b32_e32 v29, 21, v30
	v_lshrrev_b32_e32 v30, 30, v30
	v_and_or_b32 v29, v29, s29, v0
	v_and_b32_e32 v30, 2, v30
	v_lshl_or_b32 v30, v29, 2, v30
	ds_read_u16 v29, v30
	v_lshrrev_b32_e32 v32, 30, v32
	v_and_or_b32 v31, v31, s29, v0
	v_and_b32_e32 v32, 2, v32
	v_lshl_or_b32 v32, v31, 2, v32
	s_waitcnt lgkmcnt(0)
	v_add_u16_e32 v33, 1, v29
	ds_write_b16 v30, v33
	ds_read_u16 v31, v32
	v_lshlrev_b64 v[33:34], s20, v[9:10]
	v_lshrrev_b32_e32 v33, 21, v34
	v_lshrrev_b32_e32 v34, 30, v34
	s_waitcnt lgkmcnt(0)
	v_add_u16_e32 v35, 1, v31
	v_and_or_b32 v33, v33, s29, v0
	v_and_b32_e32 v34, 2, v34
	ds_write_b16 v32, v35
	v_lshl_or_b32 v34, v33, 2, v34
	ds_read_u16 v33, v34
	s_waitcnt lgkmcnt(0)
	v_add_u16_e32 v35, 1, v33
	ds_write_b16 v34, v35
	v_lshlrev_b64 v[35:36], s20, v[11:12]
	v_lshrrev_b32_e32 v35, 21, v36
	v_lshrrev_b32_e32 v36, 30, v36
	v_and_or_b32 v35, v35, s29, v0
	v_and_b32_e32 v36, 2, v36
	v_lshl_or_b32 v36, v35, 2, v36
	ds_read_u16 v35, v36
	s_waitcnt lgkmcnt(0)
	v_add_u16_e32 v37, 1, v35
	ds_write_b16 v36, v37
	v_lshlrev_b64 v[37:38], s20, v[13:14]
	v_lshrrev_b32_e32 v37, 21, v38
	v_lshrrev_b32_e32 v38, 30, v38
	v_and_or_b32 v37, v37, s29, v0
	v_and_b32_e32 v38, 2, v38
	;; [unrolled: 10-line block ×3, first 2 shown]
	v_lshl_or_b32 v40, v39, 2, v40
	ds_read_u16 v39, v40
	s_waitcnt lgkmcnt(0)
	v_add_u16_e32 v41, 1, v39
	ds_write_b16 v40, v41
	s_waitcnt lgkmcnt(0)
	s_barrier
	ds_read2_b64 v[41:44], v19 offset1:1
	s_waitcnt lgkmcnt(0)
	v_add_u32_e32 v41, v42, v41
	v_add3_u32 v45, v41, v43, v44
	ds_read2_b64 v[41:44], v19 offset0:2 offset1:3
	s_waitcnt lgkmcnt(0)
	v_add3_u32 v41, v45, v41, v42
	v_add3_u32 v41, v41, v43, v44
	s_nop 1
	v_mov_b32_dpp v42, v41 row_shr:1 row_mask:0xf bank_mask:0xf
	v_cndmask_b32_e64 v42, v42, 0, s[8:9]
	v_add_u32_e32 v41, v42, v41
	s_nop 1
	v_mov_b32_dpp v42, v41 row_shr:2 row_mask:0xf bank_mask:0xf
	v_cndmask_b32_e64 v42, 0, v42, s[10:11]
	v_add_u32_e32 v41, v41, v42
	;; [unrolled: 4-line block ×4, first 2 shown]
	s_nop 1
	v_mov_b32_dpp v42, v41 row_bcast:15 row_mask:0xf bank_mask:0xf
	v_cndmask_b32_e64 v42, v42, 0, s[16:17]
	v_add_u32_e32 v41, v41, v42
	s_nop 1
	v_mov_b32_dpp v42, v41 row_bcast:31 row_mask:0xf bank_mask:0xf
	v_cndmask_b32_e64 v42, 0, v42, s[2:3]
	v_add_u32_e32 v41, v41, v42
	s_and_saveexec_b64 s[20:21], s[4:5]
; %bb.7:                                ;   in Loop: Header=BB96_4 Depth=2
	ds_write_b32 v22, v41 offset:4096
; %bb.8:                                ;   in Loop: Header=BB96_4 Depth=2
	s_or_b64 exec, exec, s[20:21]
	s_waitcnt lgkmcnt(0)
	s_barrier
	s_and_saveexec_b64 s[20:21], vcc
	s_cbranch_execz .LBB96_10
; %bb.9:                                ;   in Loop: Header=BB96_4 Depth=2
	ds_read_b32 v42, v23 offset:4096
	s_waitcnt lgkmcnt(0)
	s_nop 0
	v_mov_b32_dpp v43, v42 row_shr:1 row_mask:0xf bank_mask:0xf
	v_cndmask_b32_e64 v43, v43, 0, s[18:19]
	v_add_u32_e32 v42, v43, v42
	ds_write_b32 v23, v42 offset:4096
.LBB96_10:                              ;   in Loop: Header=BB96_4 Depth=2
	s_or_b64 exec, exec, s[20:21]
	v_mov_b32_e32 v42, 0
	s_waitcnt lgkmcnt(0)
	s_barrier
	s_and_saveexec_b64 s[20:21], s[0:1]
	s_cbranch_execz .LBB96_3
; %bb.11:                               ;   in Loop: Header=BB96_4 Depth=2
	ds_read_b32 v42, v22 offset:4092
	s_branch .LBB96_3
.LBB96_12:
	ds_read_u16 v3, v32
	ds_read_u16 v2, v30
	;; [unrolled: 1-line block ×8, first 2 shown]
	s_lshl_b64 s[0:1], s[24:25], 2
	s_add_u32 s0, s22, s0
	s_waitcnt lgkmcnt(4)
	v_add_u32_sdwa v0, v0, v25 dst_sel:DWORD dst_unused:UNUSED_PAD src0_sel:DWORD src1_sel:WORD_0
	v_add_u32_sdwa v1, v1, v27 dst_sel:DWORD dst_unused:UNUSED_PAD src0_sel:DWORD src1_sel:WORD_0
	v_add_u32_sdwa v2, v2, v29 dst_sel:DWORD dst_unused:UNUSED_PAD src0_sel:DWORD src1_sel:WORD_0
	v_add_u32_sdwa v3, v3, v31 dst_sel:DWORD dst_unused:UNUSED_PAD src0_sel:DWORD src1_sel:WORD_0
	s_addc_u32 s1, s23, s1
	v_lshlrev_b32_e32 v8, 2, v18
	s_waitcnt lgkmcnt(0)
	v_add_u32_sdwa v4, v4, v33 dst_sel:DWORD dst_unused:UNUSED_PAD src0_sel:DWORD src1_sel:WORD_0
	v_add_u32_sdwa v5, v5, v35 dst_sel:DWORD dst_unused:UNUSED_PAD src0_sel:DWORD src1_sel:WORD_0
	;; [unrolled: 1-line block ×4, first 2 shown]
	global_store_dwordx4 v8, v[0:3], s[0:1]
	global_store_dwordx4 v8, v[4:7], s[0:1] offset:16
	s_endpgm
	.section	.rodata,"a",@progbits
	.p2align	6, 0x0
	.amdhsa_kernel _Z11rank_kernelIxLj4ELb0EL18RadixRankAlgorithm0ELj128ELj8ELj10EEvPKT_Pi
		.amdhsa_group_segment_fixed_size 4104
		.amdhsa_private_segment_fixed_size 0
		.amdhsa_kernarg_size 16
		.amdhsa_user_sgpr_count 6
		.amdhsa_user_sgpr_private_segment_buffer 1
		.amdhsa_user_sgpr_dispatch_ptr 0
		.amdhsa_user_sgpr_queue_ptr 0
		.amdhsa_user_sgpr_kernarg_segment_ptr 1
		.amdhsa_user_sgpr_dispatch_id 0
		.amdhsa_user_sgpr_flat_scratch_init 0
		.amdhsa_user_sgpr_private_segment_size 0
		.amdhsa_uses_dynamic_stack 0
		.amdhsa_system_sgpr_private_segment_wavefront_offset 0
		.amdhsa_system_sgpr_workgroup_id_x 1
		.amdhsa_system_sgpr_workgroup_id_y 0
		.amdhsa_system_sgpr_workgroup_id_z 0
		.amdhsa_system_sgpr_workgroup_info 0
		.amdhsa_system_vgpr_workitem_id 0
		.amdhsa_next_free_vgpr 47
		.amdhsa_next_free_sgpr 61
		.amdhsa_reserve_vcc 1
		.amdhsa_reserve_flat_scratch 0
		.amdhsa_float_round_mode_32 0
		.amdhsa_float_round_mode_16_64 0
		.amdhsa_float_denorm_mode_32 3
		.amdhsa_float_denorm_mode_16_64 3
		.amdhsa_dx10_clamp 1
		.amdhsa_ieee_mode 1
		.amdhsa_fp16_overflow 0
		.amdhsa_exception_fp_ieee_invalid_op 0
		.amdhsa_exception_fp_denorm_src 0
		.amdhsa_exception_fp_ieee_div_zero 0
		.amdhsa_exception_fp_ieee_overflow 0
		.amdhsa_exception_fp_ieee_underflow 0
		.amdhsa_exception_fp_ieee_inexact 0
		.amdhsa_exception_int_div_zero 0
	.end_amdhsa_kernel
	.section	.text._Z11rank_kernelIxLj4ELb0EL18RadixRankAlgorithm0ELj128ELj8ELj10EEvPKT_Pi,"axG",@progbits,_Z11rank_kernelIxLj4ELb0EL18RadixRankAlgorithm0ELj128ELj8ELj10EEvPKT_Pi,comdat
.Lfunc_end96:
	.size	_Z11rank_kernelIxLj4ELb0EL18RadixRankAlgorithm0ELj128ELj8ELj10EEvPKT_Pi, .Lfunc_end96-_Z11rank_kernelIxLj4ELb0EL18RadixRankAlgorithm0ELj128ELj8ELj10EEvPKT_Pi
                                        ; -- End function
	.set _Z11rank_kernelIxLj4ELb0EL18RadixRankAlgorithm0ELj128ELj8ELj10EEvPKT_Pi.num_vgpr, 47
	.set _Z11rank_kernelIxLj4ELb0EL18RadixRankAlgorithm0ELj128ELj8ELj10EEvPKT_Pi.num_agpr, 0
	.set _Z11rank_kernelIxLj4ELb0EL18RadixRankAlgorithm0ELj128ELj8ELj10EEvPKT_Pi.numbered_sgpr, 32
	.set _Z11rank_kernelIxLj4ELb0EL18RadixRankAlgorithm0ELj128ELj8ELj10EEvPKT_Pi.num_named_barrier, 0
	.set _Z11rank_kernelIxLj4ELb0EL18RadixRankAlgorithm0ELj128ELj8ELj10EEvPKT_Pi.private_seg_size, 0
	.set _Z11rank_kernelIxLj4ELb0EL18RadixRankAlgorithm0ELj128ELj8ELj10EEvPKT_Pi.uses_vcc, 1
	.set _Z11rank_kernelIxLj4ELb0EL18RadixRankAlgorithm0ELj128ELj8ELj10EEvPKT_Pi.uses_flat_scratch, 0
	.set _Z11rank_kernelIxLj4ELb0EL18RadixRankAlgorithm0ELj128ELj8ELj10EEvPKT_Pi.has_dyn_sized_stack, 0
	.set _Z11rank_kernelIxLj4ELb0EL18RadixRankAlgorithm0ELj128ELj8ELj10EEvPKT_Pi.has_recursion, 0
	.set _Z11rank_kernelIxLj4ELb0EL18RadixRankAlgorithm0ELj128ELj8ELj10EEvPKT_Pi.has_indirect_call, 0
	.section	.AMDGPU.csdata,"",@progbits
; Kernel info:
; codeLenInByte = 1556
; TotalNumSgprs: 36
; NumVgprs: 47
; ScratchSize: 0
; MemoryBound: 0
; FloatMode: 240
; IeeeMode: 1
; LDSByteSize: 4104 bytes/workgroup (compile time only)
; SGPRBlocks: 8
; VGPRBlocks: 11
; NumSGPRsForWavesPerEU: 65
; NumVGPRsForWavesPerEU: 47
; Occupancy: 5
; WaveLimiterHint : 0
; COMPUTE_PGM_RSRC2:SCRATCH_EN: 0
; COMPUTE_PGM_RSRC2:USER_SGPR: 6
; COMPUTE_PGM_RSRC2:TRAP_HANDLER: 0
; COMPUTE_PGM_RSRC2:TGID_X_EN: 1
; COMPUTE_PGM_RSRC2:TGID_Y_EN: 0
; COMPUTE_PGM_RSRC2:TGID_Z_EN: 0
; COMPUTE_PGM_RSRC2:TIDIG_COMP_CNT: 0
	.section	.text._Z11rank_kernelIxLj4ELb0EL18RadixRankAlgorithm1ELj128ELj8ELj10EEvPKT_Pi,"axG",@progbits,_Z11rank_kernelIxLj4ELb0EL18RadixRankAlgorithm1ELj128ELj8ELj10EEvPKT_Pi,comdat
	.protected	_Z11rank_kernelIxLj4ELb0EL18RadixRankAlgorithm1ELj128ELj8ELj10EEvPKT_Pi ; -- Begin function _Z11rank_kernelIxLj4ELb0EL18RadixRankAlgorithm1ELj128ELj8ELj10EEvPKT_Pi
	.globl	_Z11rank_kernelIxLj4ELb0EL18RadixRankAlgorithm1ELj128ELj8ELj10EEvPKT_Pi
	.p2align	8
	.type	_Z11rank_kernelIxLj4ELb0EL18RadixRankAlgorithm1ELj128ELj8ELj10EEvPKT_Pi,@function
_Z11rank_kernelIxLj4ELb0EL18RadixRankAlgorithm1ELj128ELj8ELj10EEvPKT_Pi: ; @_Z11rank_kernelIxLj4ELb0EL18RadixRankAlgorithm1ELj128ELj8ELj10EEvPKT_Pi
; %bb.0:
	s_load_dwordx4 s[20:23], s[4:5], 0x0
	s_lshl_b32 s24, s6, 10
	s_mov_b32 s25, 0
	s_lshl_b64 s[0:1], s[24:25], 3
	v_lshlrev_b32_e32 v17, 6, v0
	s_waitcnt lgkmcnt(0)
	s_add_u32 s0, s20, s0
	s_addc_u32 s1, s21, s1
	global_load_dwordx4 v[1:4], v17, s[0:1]
	global_load_dwordx4 v[5:8], v17, s[0:1] offset:16
	global_load_dwordx4 v[9:12], v17, s[0:1] offset:32
	;; [unrolled: 1-line block ×3, first 2 shown]
	v_mbcnt_lo_u32_b32 v17, -1, 0
	v_mbcnt_hi_u32_b32 v17, -1, v17
	v_or_b32_e32 v18, 63, v0
	v_cmp_eq_u32_e64 s[4:5], v0, v18
	v_subrev_co_u32_e64 v18, s[6:7], 1, v17
	v_and_b32_e32 v23, 64, v17
	v_lshrrev_b32_e32 v19, 4, v0
	v_cmp_lt_i32_e64 s[18:19], v18, v23
	v_lshlrev_b32_e32 v27, 5, v0
	v_mul_i32_i24_e32 v20, 0xffffffe4, v0
	v_and_b32_e32 v21, 15, v17
	v_and_b32_e32 v22, 16, v17
	v_cmp_lt_u32_e64 s[2:3], 31, v17
	v_and_b32_e32 v30, 4, v19
	v_and_b32_e32 v19, 1, v17
	v_cndmask_b32_e64 v17, v18, v17, s[18:19]
	v_mov_b32_e32 v25, 0
	s_movk_i32 s28, 0x37f
	s_movk_i32 s29, 0x380
	v_lshlrev_b32_e32 v26, 3, v0
	v_cmp_gt_u32_e32 vcc, 2, v0
	v_cmp_lt_u32_e64 s[0:1], 63, v0
	v_lshlrev_b32_e32 v28, 2, v0
	v_or_b32_e32 v29, 0xffffff80, v0
	v_add_u32_e32 v31, v27, v20
	v_cmp_eq_u32_e64 s[8:9], 0, v21
	v_cmp_lt_u32_e64 s[10:11], 1, v21
	v_cmp_lt_u32_e64 s[12:13], 3, v21
	v_cmp_lt_u32_e64 s[14:15], 7, v21
	v_cmp_eq_u32_e64 s[16:17], 0, v22
	v_cmp_eq_u32_e64 s[18:19], 0, v19
	v_lshlrev_b32_e32 v32, 2, v17
	s_mov_b32 s30, s25
	s_waitcnt vmcnt(3)
	v_xor_b32_e32 v2, 0x80000000, v2
	v_xor_b32_e32 v4, 0x80000000, v4
	s_waitcnt vmcnt(2)
	v_xor_b32_e32 v6, 0x80000000, v6
	v_xor_b32_e32 v8, 0x80000000, v8
	;; [unrolled: 3-line block ×4, first 2 shown]
	s_branch .LBB97_2
.LBB97_1:                               ;   in Loop: Header=BB97_2 Depth=1
	s_add_i32 s30, s30, 1
	s_cmp_eq_u32 s30, 10
	s_cbranch_scc1 .LBB97_12
.LBB97_2:                               ; =>This Loop Header: Depth=1
                                        ;     Child Loop BB97_4 Depth 2
                                        ;       Child Loop BB97_5 Depth 3
	s_mov_b32 s31, 0
	s_branch .LBB97_4
.LBB97_3:                               ;   in Loop: Header=BB97_4 Depth=2
	s_or_b64 exec, exec, s[20:21]
	s_waitcnt lgkmcnt(0)
	v_add_u32_e32 v20, v49, v20
	ds_bpermute_b32 v20, v32, v20
	ds_read_b32 v50, v25 offset:4100
	s_add_i32 s20, s31, 4
	s_cmp_lt_u32 s31, 60
	s_mov_b32 s31, s20
	s_waitcnt lgkmcnt(1)
	v_cndmask_b32_e64 v20, v20, v49, s[6:7]
	s_waitcnt lgkmcnt(0)
	v_lshl_add_u32 v20, v50, 16, v20
	v_add_u32_e32 v21, v20, v21
	v_add_u32_e32 v22, v21, v22
	;; [unrolled: 1-line block ×7, first 2 shown]
	ds_write2_b64 v27, v[20:21], v[22:23] offset1:1
	ds_write2_b64 v27, v[49:50], v[17:18] offset0:2 offset1:3
	s_waitcnt lgkmcnt(0)
	s_barrier
	s_cbranch_scc0 .LBB97_1
.LBB97_4:                               ;   Parent Loop BB97_2 Depth=1
                                        ; =>  This Loop Header: Depth=2
                                        ;       Child Loop BB97_5 Depth 3
	s_mov_b64 s[26:27], 0
	v_mov_b32_e32 v17, v29
	v_mov_b32_e32 v18, v28
.LBB97_5:                               ;   Parent Loop BB97_2 Depth=1
                                        ;     Parent Loop BB97_4 Depth=2
                                        ; =>    This Inner Loop Header: Depth=3
	v_add_u32_e32 v17, 0x80, v17
	v_cmp_lt_u32_e64 s[20:21], s28, v17
	ds_write_b32 v18, v25
	s_or_b64 s[26:27], s[20:21], s[26:27]
	v_add_u32_e32 v18, 0x200, v18
	s_andn2_b64 exec, exec, s[26:27]
	s_cbranch_execnz .LBB97_5
; %bb.6:                                ;   in Loop: Header=BB97_4 Depth=2
	s_or_b64 exec, exec, s[26:27]
	s_sub_i32 s20, 60, s31
	v_lshlrev_b64 v[17:18], s20, v[1:2]
	v_lshrrev_b32_e32 v17, 21, v18
	v_lshrrev_b32_e32 v18, 30, v18
	v_and_or_b32 v17, v17, s29, v0
	v_and_b32_e32 v18, 2, v18
	v_lshl_or_b32 v34, v17, 2, v18
	ds_read_u16 v33, v34
	v_lshlrev_b64 v[17:18], s20, v[3:4]
	v_lshrrev_b32_e32 v17, 21, v18
	v_lshrrev_b32_e32 v18, 30, v18
	v_and_or_b32 v17, v17, s29, v0
	s_waitcnt lgkmcnt(0)
	v_add_u16_e32 v19, 1, v33
	v_and_b32_e32 v18, 2, v18
	ds_write_b16 v34, v19
	v_lshl_or_b32 v36, v17, 2, v18
	ds_read_u16 v35, v36
	v_lshlrev_b64 v[17:18], s20, v[5:6]
	s_waitcnt lgkmcnt(0)
	v_add_u16_e32 v17, 1, v35
	ds_write_b16 v36, v17
	v_lshrrev_b32_e32 v17, 21, v18
	v_lshrrev_b32_e32 v18, 30, v18
	v_and_or_b32 v17, v17, s29, v0
	v_and_b32_e32 v18, 2, v18
	v_lshl_or_b32 v38, v17, 2, v18
	ds_read_u16 v37, v38
	v_lshlrev_b64 v[17:18], s20, v[7:8]
	v_lshrrev_b32_e32 v17, 21, v18
	v_lshrrev_b32_e32 v18, 30, v18
	s_waitcnt lgkmcnt(0)
	v_add_u16_e32 v19, 1, v37
	v_and_or_b32 v17, v17, s29, v0
	v_and_b32_e32 v18, 2, v18
	ds_write_b16 v38, v19
	v_lshl_or_b32 v40, v17, 2, v18
	ds_read_u16 v39, v40
	v_lshlrev_b64 v[17:18], s20, v[9:10]
	v_lshrrev_b32_e32 v17, 21, v18
	v_lshrrev_b32_e32 v18, 30, v18
	s_waitcnt lgkmcnt(0)
	v_add_u16_e32 v19, 1, v39
	v_and_or_b32 v17, v17, s29, v0
	v_and_b32_e32 v18, 2, v18
	ds_write_b16 v40, v19
	;; [unrolled: 10-line block ×5, first 2 shown]
	v_lshl_or_b32 v48, v17, 2, v18
	ds_read_u16 v47, v48
	s_waitcnt lgkmcnt(0)
	v_add_u16_e32 v17, 1, v47
	ds_write_b16 v48, v17
	s_waitcnt lgkmcnt(0)
	s_barrier
	ds_read2_b64 v[21:24], v27 offset1:1
	ds_read2_b64 v[17:20], v27 offset0:2 offset1:3
	s_waitcnt lgkmcnt(1)
	v_add_u32_e32 v49, v22, v21
	v_add3_u32 v49, v49, v23, v24
	s_waitcnt lgkmcnt(0)
	v_add3_u32 v49, v49, v17, v18
	v_add3_u32 v20, v49, v19, v20
	s_nop 1
	v_mov_b32_dpp v49, v20 row_shr:1 row_mask:0xf bank_mask:0xf
	v_cndmask_b32_e64 v49, v49, 0, s[8:9]
	v_add_u32_e32 v20, v49, v20
	s_nop 1
	v_mov_b32_dpp v49, v20 row_shr:2 row_mask:0xf bank_mask:0xf
	v_cndmask_b32_e64 v49, 0, v49, s[10:11]
	v_add_u32_e32 v20, v20, v49
	;; [unrolled: 4-line block ×4, first 2 shown]
	s_nop 1
	v_mov_b32_dpp v49, v20 row_bcast:15 row_mask:0xf bank_mask:0xf
	v_cndmask_b32_e64 v49, v49, 0, s[16:17]
	v_add_u32_e32 v20, v20, v49
	s_nop 1
	v_mov_b32_dpp v49, v20 row_bcast:31 row_mask:0xf bank_mask:0xf
	v_cndmask_b32_e64 v49, 0, v49, s[2:3]
	v_add_u32_e32 v20, v20, v49
	s_and_saveexec_b64 s[20:21], s[4:5]
; %bb.7:                                ;   in Loop: Header=BB97_4 Depth=2
	ds_write_b32 v30, v20 offset:4096
; %bb.8:                                ;   in Loop: Header=BB97_4 Depth=2
	s_or_b64 exec, exec, s[20:21]
	s_waitcnt lgkmcnt(0)
	s_barrier
	s_and_saveexec_b64 s[20:21], vcc
	s_cbranch_execz .LBB97_10
; %bb.9:                                ;   in Loop: Header=BB97_4 Depth=2
	ds_read_b32 v49, v31 offset:4096
	s_waitcnt lgkmcnt(0)
	s_nop 0
	v_mov_b32_dpp v50, v49 row_shr:1 row_mask:0xf bank_mask:0xf
	v_cndmask_b32_e64 v50, v50, 0, s[18:19]
	v_add_u32_e32 v49, v50, v49
	ds_write_b32 v31, v49 offset:4096
.LBB97_10:                              ;   in Loop: Header=BB97_4 Depth=2
	s_or_b64 exec, exec, s[20:21]
	v_mov_b32_e32 v49, 0
	s_waitcnt lgkmcnt(0)
	s_barrier
	s_and_saveexec_b64 s[20:21], s[0:1]
	s_cbranch_execz .LBB97_3
; %bb.11:                               ;   in Loop: Header=BB97_4 Depth=2
	ds_read_b32 v49, v30 offset:4092
	s_branch .LBB97_3
.LBB97_12:
	ds_read_u16 v3, v40
	ds_read_u16 v2, v38
	;; [unrolled: 1-line block ×8, first 2 shown]
	s_lshl_b64 s[0:1], s[24:25], 2
	s_add_u32 s0, s22, s0
	s_waitcnt lgkmcnt(4)
	v_add_u32_sdwa v0, v0, v33 dst_sel:DWORD dst_unused:UNUSED_PAD src0_sel:DWORD src1_sel:WORD_0
	v_add_u32_sdwa v1, v1, v35 dst_sel:DWORD dst_unused:UNUSED_PAD src0_sel:DWORD src1_sel:WORD_0
	v_add_u32_sdwa v2, v2, v37 dst_sel:DWORD dst_unused:UNUSED_PAD src0_sel:DWORD src1_sel:WORD_0
	v_add_u32_sdwa v3, v3, v39 dst_sel:DWORD dst_unused:UNUSED_PAD src0_sel:DWORD src1_sel:WORD_0
	s_addc_u32 s1, s23, s1
	v_lshlrev_b32_e32 v8, 2, v26
	s_waitcnt lgkmcnt(0)
	v_add_u32_sdwa v4, v4, v41 dst_sel:DWORD dst_unused:UNUSED_PAD src0_sel:DWORD src1_sel:WORD_0
	v_add_u32_sdwa v5, v5, v43 dst_sel:DWORD dst_unused:UNUSED_PAD src0_sel:DWORD src1_sel:WORD_0
	;; [unrolled: 1-line block ×4, first 2 shown]
	global_store_dwordx4 v8, v[0:3], s[0:1]
	global_store_dwordx4 v8, v[4:7], s[0:1] offset:16
	s_endpgm
	.section	.rodata,"a",@progbits
	.p2align	6, 0x0
	.amdhsa_kernel _Z11rank_kernelIxLj4ELb0EL18RadixRankAlgorithm1ELj128ELj8ELj10EEvPKT_Pi
		.amdhsa_group_segment_fixed_size 4104
		.amdhsa_private_segment_fixed_size 0
		.amdhsa_kernarg_size 16
		.amdhsa_user_sgpr_count 6
		.amdhsa_user_sgpr_private_segment_buffer 1
		.amdhsa_user_sgpr_dispatch_ptr 0
		.amdhsa_user_sgpr_queue_ptr 0
		.amdhsa_user_sgpr_kernarg_segment_ptr 1
		.amdhsa_user_sgpr_dispatch_id 0
		.amdhsa_user_sgpr_flat_scratch_init 0
		.amdhsa_user_sgpr_private_segment_size 0
		.amdhsa_uses_dynamic_stack 0
		.amdhsa_system_sgpr_private_segment_wavefront_offset 0
		.amdhsa_system_sgpr_workgroup_id_x 1
		.amdhsa_system_sgpr_workgroup_id_y 0
		.amdhsa_system_sgpr_workgroup_id_z 0
		.amdhsa_system_sgpr_workgroup_info 0
		.amdhsa_system_vgpr_workitem_id 0
		.amdhsa_next_free_vgpr 51
		.amdhsa_next_free_sgpr 61
		.amdhsa_reserve_vcc 1
		.amdhsa_reserve_flat_scratch 0
		.amdhsa_float_round_mode_32 0
		.amdhsa_float_round_mode_16_64 0
		.amdhsa_float_denorm_mode_32 3
		.amdhsa_float_denorm_mode_16_64 3
		.amdhsa_dx10_clamp 1
		.amdhsa_ieee_mode 1
		.amdhsa_fp16_overflow 0
		.amdhsa_exception_fp_ieee_invalid_op 0
		.amdhsa_exception_fp_denorm_src 0
		.amdhsa_exception_fp_ieee_div_zero 0
		.amdhsa_exception_fp_ieee_overflow 0
		.amdhsa_exception_fp_ieee_underflow 0
		.amdhsa_exception_fp_ieee_inexact 0
		.amdhsa_exception_int_div_zero 0
	.end_amdhsa_kernel
	.section	.text._Z11rank_kernelIxLj4ELb0EL18RadixRankAlgorithm1ELj128ELj8ELj10EEvPKT_Pi,"axG",@progbits,_Z11rank_kernelIxLj4ELb0EL18RadixRankAlgorithm1ELj128ELj8ELj10EEvPKT_Pi,comdat
.Lfunc_end97:
	.size	_Z11rank_kernelIxLj4ELb0EL18RadixRankAlgorithm1ELj128ELj8ELj10EEvPKT_Pi, .Lfunc_end97-_Z11rank_kernelIxLj4ELb0EL18RadixRankAlgorithm1ELj128ELj8ELj10EEvPKT_Pi
                                        ; -- End function
	.set _Z11rank_kernelIxLj4ELb0EL18RadixRankAlgorithm1ELj128ELj8ELj10EEvPKT_Pi.num_vgpr, 51
	.set _Z11rank_kernelIxLj4ELb0EL18RadixRankAlgorithm1ELj128ELj8ELj10EEvPKT_Pi.num_agpr, 0
	.set _Z11rank_kernelIxLj4ELb0EL18RadixRankAlgorithm1ELj128ELj8ELj10EEvPKT_Pi.numbered_sgpr, 32
	.set _Z11rank_kernelIxLj4ELb0EL18RadixRankAlgorithm1ELj128ELj8ELj10EEvPKT_Pi.num_named_barrier, 0
	.set _Z11rank_kernelIxLj4ELb0EL18RadixRankAlgorithm1ELj128ELj8ELj10EEvPKT_Pi.private_seg_size, 0
	.set _Z11rank_kernelIxLj4ELb0EL18RadixRankAlgorithm1ELj128ELj8ELj10EEvPKT_Pi.uses_vcc, 1
	.set _Z11rank_kernelIxLj4ELb0EL18RadixRankAlgorithm1ELj128ELj8ELj10EEvPKT_Pi.uses_flat_scratch, 0
	.set _Z11rank_kernelIxLj4ELb0EL18RadixRankAlgorithm1ELj128ELj8ELj10EEvPKT_Pi.has_dyn_sized_stack, 0
	.set _Z11rank_kernelIxLj4ELb0EL18RadixRankAlgorithm1ELj128ELj8ELj10EEvPKT_Pi.has_recursion, 0
	.set _Z11rank_kernelIxLj4ELb0EL18RadixRankAlgorithm1ELj128ELj8ELj10EEvPKT_Pi.has_indirect_call, 0
	.section	.AMDGPU.csdata,"",@progbits
; Kernel info:
; codeLenInByte = 1520
; TotalNumSgprs: 36
; NumVgprs: 51
; ScratchSize: 0
; MemoryBound: 0
; FloatMode: 240
; IeeeMode: 1
; LDSByteSize: 4104 bytes/workgroup (compile time only)
; SGPRBlocks: 8
; VGPRBlocks: 12
; NumSGPRsForWavesPerEU: 65
; NumVGPRsForWavesPerEU: 51
; Occupancy: 4
; WaveLimiterHint : 0
; COMPUTE_PGM_RSRC2:SCRATCH_EN: 0
; COMPUTE_PGM_RSRC2:USER_SGPR: 6
; COMPUTE_PGM_RSRC2:TRAP_HANDLER: 0
; COMPUTE_PGM_RSRC2:TGID_X_EN: 1
; COMPUTE_PGM_RSRC2:TGID_Y_EN: 0
; COMPUTE_PGM_RSRC2:TGID_Z_EN: 0
; COMPUTE_PGM_RSRC2:TIDIG_COMP_CNT: 0
	.section	.text._Z11rank_kernelIxLj4ELb0EL18RadixRankAlgorithm2ELj128ELj8ELj10EEvPKT_Pi,"axG",@progbits,_Z11rank_kernelIxLj4ELb0EL18RadixRankAlgorithm2ELj128ELj8ELj10EEvPKT_Pi,comdat
	.protected	_Z11rank_kernelIxLj4ELb0EL18RadixRankAlgorithm2ELj128ELj8ELj10EEvPKT_Pi ; -- Begin function _Z11rank_kernelIxLj4ELb0EL18RadixRankAlgorithm2ELj128ELj8ELj10EEvPKT_Pi
	.globl	_Z11rank_kernelIxLj4ELb0EL18RadixRankAlgorithm2ELj128ELj8ELj10EEvPKT_Pi
	.p2align	8
	.type	_Z11rank_kernelIxLj4ELb0EL18RadixRankAlgorithm2ELj128ELj8ELj10EEvPKT_Pi,@function
_Z11rank_kernelIxLj4ELb0EL18RadixRankAlgorithm2ELj128ELj8ELj10EEvPKT_Pi: ; @_Z11rank_kernelIxLj4ELb0EL18RadixRankAlgorithm2ELj128ELj8ELj10EEvPKT_Pi
; %bb.0:
	s_load_dwordx4 s[24:27], s[4:5], 0x0
	s_load_dword s20, s[4:5], 0x1c
	s_lshl_b32 s28, s6, 10
	s_mov_b32 s29, 0
	s_lshl_b64 s[0:1], s[28:29], 3
	s_waitcnt lgkmcnt(0)
	s_add_u32 s0, s24, s0
	s_addc_u32 s1, s25, s1
	v_lshlrev_b32_e32 v19, 6, v0
	global_load_dwordx4 v[3:6], v19, s[0:1]
	global_load_dwordx4 v[7:10], v19, s[0:1] offset:16
	global_load_dwordx4 v[11:14], v19, s[0:1] offset:32
	;; [unrolled: 1-line block ×3, first 2 shown]
	v_mbcnt_lo_u32_b32 v20, -1, 0
	v_mbcnt_hi_u32_b32 v20, -1, v20
	s_lshr_b32 s21, s20, 16
	v_or_b32_e32 v22, 63, v0
	v_subrev_co_u32_e64 v26, s[4:5], 1, v20
	v_and_b32_e32 v27, 64, v20
	s_and_b32 s20, s20, 0xffff
	v_mad_u32_u24 v1, v2, s21, v1
	v_lshlrev_b32_e32 v19, 3, v0
	v_lshlrev_b32_e32 v21, 2, v0
	v_cmp_gt_u32_e32 vcc, 2, v0
	v_cmp_lt_u32_e64 s[0:1], 63, v0
	v_lshrrev_b32_e32 v23, 4, v0
	v_cmp_eq_u32_e64 s[2:3], v0, v22
	v_cmp_lt_i32_e64 s[18:19], v26, v27
	v_mad_u32_u24 v0, v1, s20, v0
	v_and_b32_e32 v24, 15, v20
	v_and_b32_e32 v25, 16, v20
	v_cmp_lt_u32_e64 s[6:7], 31, v20
	v_and_b32_e32 v28, 1, v20
	v_and_b32_e32 v22, 4, v23
	v_cndmask_b32_e64 v20, v26, v20, s[18:19]
	v_lshrrev_b32_e32 v0, 4, v0
	s_mov_b32 s30, s29
	v_cmp_eq_u32_e64 s[8:9], 0, v24
	v_cmp_lt_u32_e64 s[10:11], 1, v24
	v_cmp_lt_u32_e64 s[12:13], 3, v24
	;; [unrolled: 1-line block ×3, first 2 shown]
	v_cmp_eq_u32_e64 s[16:17], 0, v25
	v_cmp_eq_u32_e64 s[18:19], 0, v28
	v_add_u32_e32 v23, -4, v22
	v_lshlrev_b32_e32 v24, 2, v20
	v_and_b32_e32 v20, 0xffffffc, v0
	v_mov_b32_e32 v0, 0
	s_waitcnt vmcnt(3)
	v_xor_b32_e32 v4, 0x80000000, v4
	v_xor_b32_e32 v6, 0x80000000, v6
	s_waitcnt vmcnt(2)
	v_xor_b32_e32 v8, 0x80000000, v8
	v_xor_b32_e32 v10, 0x80000000, v10
	;; [unrolled: 3-line block ×4, first 2 shown]
	s_branch .LBB98_2
.LBB98_1:                               ;   in Loop: Header=BB98_2 Depth=1
	s_add_i32 s30, s30, 1
	s_cmp_eq_u32 s30, 10
	s_cbranch_scc1 .LBB98_26
.LBB98_2:                               ; =>This Loop Header: Depth=1
                                        ;     Child Loop BB98_4 Depth 2
	s_mov_b64 s[24:25], 60
	s_mov_b32 s31, -4
	s_branch .LBB98_4
.LBB98_3:                               ;   in Loop: Header=BB98_4 Depth=2
	s_or_b64 exec, exec, s[20:21]
	s_waitcnt lgkmcnt(0)
	v_add_u32_e32 v1, v2, v1
	ds_bpermute_b32 v1, v24, v1
	s_add_i32 s31, s31, 4
	s_add_u32 s24, s24, -4
	s_addc_u32 s25, s25, -1
	s_cmp_lt_u32 s31, 60
	s_waitcnt lgkmcnt(0)
	v_cndmask_b32_e64 v1, v1, v2, s[4:5]
	ds_write_b32 v21, v1 offset:8
	s_waitcnt lgkmcnt(0)
	s_barrier
	s_cbranch_scc0 .LBB98_1
.LBB98_4:                               ;   Parent Loop BB98_2 Depth=1
                                        ; =>  This Inner Loop Header: Depth=2
	v_lshlrev_b64 v[26:27], s24, v[3:4]
	ds_write_b32 v21, v0 offset:8
	v_bfe_u32 v1, v27, 28, 1
	v_add_co_u32_e64 v28, s[20:21], -1, v1
	v_addc_co_u32_e64 v29, s[20:21], 0, -1, s[20:21]
	v_cmp_ne_u32_e64 s[20:21], 0, v1
	v_lshrrev_b32_e32 v2, 28, v27
	v_xor_b32_e32 v1, s21, v29
	v_and_b32_e32 v29, exec_hi, v1
	v_lshlrev_b32_e32 v1, 30, v2
	v_xor_b32_e32 v28, s20, v28
	v_cmp_gt_i64_e64 s[20:21], 0, v[0:1]
	v_not_b32_e32 v1, v1
	v_ashrrev_i32_e32 v1, 31, v1
	v_and_b32_e32 v28, exec_lo, v28
	v_xor_b32_e32 v30, s21, v1
	v_xor_b32_e32 v1, s20, v1
	v_and_b32_e32 v28, v28, v1
	v_lshlrev_b32_e32 v1, 29, v2
	v_cmp_gt_i64_e64 s[20:21], 0, v[0:1]
	v_not_b32_e32 v1, v1
	v_ashrrev_i32_e32 v1, 31, v1
	v_mul_u32_u24_e32 v25, 12, v2
	v_xor_b32_e32 v2, s21, v1
	v_xor_b32_e32 v1, s20, v1
	v_cmp_gt_i64_e64 s[20:21], 0, v[26:27]
	v_not_b32_e32 v26, v27
	v_ashrrev_i32_e32 v26, 31, v26
	v_and_b32_e32 v29, v29, v30
	v_and_b32_e32 v1, v28, v1
	v_xor_b32_e32 v27, s21, v26
	v_xor_b32_e32 v26, s20, v26
	v_and_b32_e32 v2, v29, v2
	v_and_b32_e32 v1, v1, v26
	;; [unrolled: 1-line block ×3, first 2 shown]
	v_mbcnt_lo_u32_b32 v26, v1, 0
	v_mbcnt_hi_u32_b32 v26, v2, v26
	v_cmp_ne_u64_e64 s[20:21], 0, v[1:2]
	v_cmp_eq_u32_e64 s[22:23], 0, v26
	s_and_b64 s[22:23], s[20:21], s[22:23]
	s_waitcnt lgkmcnt(0)
	s_barrier
	; wave barrier
	s_and_saveexec_b64 s[20:21], s[22:23]
; %bb.5:                                ;   in Loop: Header=BB98_4 Depth=2
	v_bcnt_u32_b32 v1, v1, 0
	v_bcnt_u32_b32 v1, v2, v1
	v_add_u32_e32 v2, v20, v25
	ds_write_b32 v2, v1 offset:8
; %bb.6:                                ;   in Loop: Header=BB98_4 Depth=2
	s_or_b64 exec, exec, s[20:21]
	v_lshlrev_b64 v[29:30], s24, v[5:6]
	v_lshrrev_b32_e32 v2, 28, v30
	v_mad_u32_u24 v1, v2, 12, v20
	; wave barrier
	ds_read_b32 v27, v1 offset:8
	v_bfe_u32 v1, v30, 28, 1
	v_add_co_u32_e64 v31, s[20:21], -1, v1
	v_addc_co_u32_e64 v32, s[20:21], 0, -1, s[20:21]
	v_cmp_ne_u32_e64 s[20:21], 0, v1
	v_xor_b32_e32 v1, s21, v32
	v_and_b32_e32 v32, exec_hi, v1
	v_lshlrev_b32_e32 v1, 30, v2
	v_xor_b32_e32 v31, s20, v31
	v_cmp_gt_i64_e64 s[20:21], 0, v[0:1]
	v_not_b32_e32 v1, v1
	v_ashrrev_i32_e32 v1, 31, v1
	v_and_b32_e32 v31, exec_lo, v31
	v_xor_b32_e32 v33, s21, v1
	v_xor_b32_e32 v1, s20, v1
	v_and_b32_e32 v31, v31, v1
	v_lshlrev_b32_e32 v1, 29, v2
	v_cmp_gt_i64_e64 s[20:21], 0, v[0:1]
	v_not_b32_e32 v1, v1
	v_ashrrev_i32_e32 v1, 31, v1
	v_mul_u32_u24_e32 v28, 12, v2
	v_xor_b32_e32 v2, s21, v1
	v_xor_b32_e32 v1, s20, v1
	v_cmp_gt_i64_e64 s[20:21], 0, v[29:30]
	v_not_b32_e32 v29, v30
	v_ashrrev_i32_e32 v29, 31, v29
	v_and_b32_e32 v32, v32, v33
	v_and_b32_e32 v1, v31, v1
	v_xor_b32_e32 v30, s21, v29
	v_xor_b32_e32 v29, s20, v29
	v_and_b32_e32 v2, v32, v2
	v_and_b32_e32 v1, v1, v29
	;; [unrolled: 1-line block ×3, first 2 shown]
	v_mbcnt_lo_u32_b32 v29, v1, 0
	v_mbcnt_hi_u32_b32 v29, v2, v29
	v_cmp_ne_u64_e64 s[20:21], 0, v[1:2]
	v_cmp_eq_u32_e64 s[22:23], 0, v29
	s_and_b64 s[22:23], s[20:21], s[22:23]
	; wave barrier
	s_and_saveexec_b64 s[20:21], s[22:23]
	s_cbranch_execz .LBB98_8
; %bb.7:                                ;   in Loop: Header=BB98_4 Depth=2
	v_bcnt_u32_b32 v1, v1, 0
	v_bcnt_u32_b32 v1, v2, v1
	s_waitcnt lgkmcnt(0)
	v_add_u32_e32 v1, v27, v1
	v_add_u32_e32 v2, v20, v28
	ds_write_b32 v2, v1 offset:8
.LBB98_8:                               ;   in Loop: Header=BB98_4 Depth=2
	s_or_b64 exec, exec, s[20:21]
	v_lshlrev_b64 v[32:33], s24, v[7:8]
	v_lshrrev_b32_e32 v2, 28, v33
	v_mad_u32_u24 v1, v2, 12, v20
	; wave barrier
	ds_read_b32 v30, v1 offset:8
	v_bfe_u32 v1, v33, 28, 1
	v_add_co_u32_e64 v34, s[20:21], -1, v1
	v_addc_co_u32_e64 v35, s[20:21], 0, -1, s[20:21]
	v_cmp_ne_u32_e64 s[20:21], 0, v1
	v_xor_b32_e32 v1, s21, v35
	v_and_b32_e32 v35, exec_hi, v1
	v_lshlrev_b32_e32 v1, 30, v2
	v_xor_b32_e32 v34, s20, v34
	v_cmp_gt_i64_e64 s[20:21], 0, v[0:1]
	v_not_b32_e32 v1, v1
	v_ashrrev_i32_e32 v1, 31, v1
	v_and_b32_e32 v34, exec_lo, v34
	v_xor_b32_e32 v36, s21, v1
	v_xor_b32_e32 v1, s20, v1
	v_and_b32_e32 v34, v34, v1
	v_lshlrev_b32_e32 v1, 29, v2
	v_cmp_gt_i64_e64 s[20:21], 0, v[0:1]
	v_not_b32_e32 v1, v1
	v_ashrrev_i32_e32 v1, 31, v1
	v_mul_u32_u24_e32 v31, 12, v2
	v_xor_b32_e32 v2, s21, v1
	v_xor_b32_e32 v1, s20, v1
	v_cmp_gt_i64_e64 s[20:21], 0, v[32:33]
	v_not_b32_e32 v32, v33
	v_ashrrev_i32_e32 v32, 31, v32
	v_and_b32_e32 v35, v35, v36
	v_and_b32_e32 v1, v34, v1
	v_xor_b32_e32 v33, s21, v32
	v_xor_b32_e32 v32, s20, v32
	v_and_b32_e32 v2, v35, v2
	v_and_b32_e32 v1, v1, v32
	;; [unrolled: 1-line block ×3, first 2 shown]
	v_mbcnt_lo_u32_b32 v32, v1, 0
	v_mbcnt_hi_u32_b32 v32, v2, v32
	v_cmp_ne_u64_e64 s[20:21], 0, v[1:2]
	v_cmp_eq_u32_e64 s[22:23], 0, v32
	s_and_b64 s[22:23], s[20:21], s[22:23]
	; wave barrier
	s_and_saveexec_b64 s[20:21], s[22:23]
	s_cbranch_execz .LBB98_10
; %bb.9:                                ;   in Loop: Header=BB98_4 Depth=2
	v_bcnt_u32_b32 v1, v1, 0
	v_bcnt_u32_b32 v1, v2, v1
	s_waitcnt lgkmcnt(0)
	v_add_u32_e32 v1, v30, v1
	v_add_u32_e32 v2, v20, v31
	ds_write_b32 v2, v1 offset:8
.LBB98_10:                              ;   in Loop: Header=BB98_4 Depth=2
	s_or_b64 exec, exec, s[20:21]
	v_lshlrev_b64 v[35:36], s24, v[9:10]
	v_lshrrev_b32_e32 v2, 28, v36
	v_mad_u32_u24 v1, v2, 12, v20
	; wave barrier
	ds_read_b32 v33, v1 offset:8
	v_bfe_u32 v1, v36, 28, 1
	v_add_co_u32_e64 v37, s[20:21], -1, v1
	v_addc_co_u32_e64 v38, s[20:21], 0, -1, s[20:21]
	v_cmp_ne_u32_e64 s[20:21], 0, v1
	v_xor_b32_e32 v1, s21, v38
	v_and_b32_e32 v38, exec_hi, v1
	v_lshlrev_b32_e32 v1, 30, v2
	v_xor_b32_e32 v37, s20, v37
	v_cmp_gt_i64_e64 s[20:21], 0, v[0:1]
	v_not_b32_e32 v1, v1
	v_ashrrev_i32_e32 v1, 31, v1
	v_and_b32_e32 v37, exec_lo, v37
	v_xor_b32_e32 v39, s21, v1
	v_xor_b32_e32 v1, s20, v1
	v_and_b32_e32 v37, v37, v1
	v_lshlrev_b32_e32 v1, 29, v2
	v_cmp_gt_i64_e64 s[20:21], 0, v[0:1]
	v_not_b32_e32 v1, v1
	v_ashrrev_i32_e32 v1, 31, v1
	v_mul_u32_u24_e32 v34, 12, v2
	v_xor_b32_e32 v2, s21, v1
	v_xor_b32_e32 v1, s20, v1
	v_cmp_gt_i64_e64 s[20:21], 0, v[35:36]
	v_not_b32_e32 v35, v36
	v_ashrrev_i32_e32 v35, 31, v35
	v_and_b32_e32 v38, v38, v39
	v_and_b32_e32 v1, v37, v1
	v_xor_b32_e32 v36, s21, v35
	v_xor_b32_e32 v35, s20, v35
	v_and_b32_e32 v2, v38, v2
	v_and_b32_e32 v1, v1, v35
	v_and_b32_e32 v2, v2, v36
	v_mbcnt_lo_u32_b32 v35, v1, 0
	v_mbcnt_hi_u32_b32 v35, v2, v35
	v_cmp_ne_u64_e64 s[20:21], 0, v[1:2]
	v_cmp_eq_u32_e64 s[22:23], 0, v35
	s_and_b64 s[22:23], s[20:21], s[22:23]
	; wave barrier
	s_and_saveexec_b64 s[20:21], s[22:23]
	s_cbranch_execz .LBB98_12
; %bb.11:                               ;   in Loop: Header=BB98_4 Depth=2
	v_bcnt_u32_b32 v1, v1, 0
	v_bcnt_u32_b32 v1, v2, v1
	s_waitcnt lgkmcnt(0)
	v_add_u32_e32 v1, v33, v1
	v_add_u32_e32 v2, v20, v34
	ds_write_b32 v2, v1 offset:8
.LBB98_12:                              ;   in Loop: Header=BB98_4 Depth=2
	s_or_b64 exec, exec, s[20:21]
	v_lshlrev_b64 v[38:39], s24, v[11:12]
	v_lshrrev_b32_e32 v2, 28, v39
	v_mad_u32_u24 v1, v2, 12, v20
	; wave barrier
	ds_read_b32 v36, v1 offset:8
	v_bfe_u32 v1, v39, 28, 1
	v_add_co_u32_e64 v40, s[20:21], -1, v1
	v_addc_co_u32_e64 v41, s[20:21], 0, -1, s[20:21]
	v_cmp_ne_u32_e64 s[20:21], 0, v1
	v_xor_b32_e32 v1, s21, v41
	v_and_b32_e32 v41, exec_hi, v1
	v_lshlrev_b32_e32 v1, 30, v2
	v_xor_b32_e32 v40, s20, v40
	v_cmp_gt_i64_e64 s[20:21], 0, v[0:1]
	v_not_b32_e32 v1, v1
	v_ashrrev_i32_e32 v1, 31, v1
	v_and_b32_e32 v40, exec_lo, v40
	v_xor_b32_e32 v42, s21, v1
	v_xor_b32_e32 v1, s20, v1
	v_and_b32_e32 v40, v40, v1
	v_lshlrev_b32_e32 v1, 29, v2
	v_cmp_gt_i64_e64 s[20:21], 0, v[0:1]
	v_not_b32_e32 v1, v1
	v_ashrrev_i32_e32 v1, 31, v1
	v_mul_u32_u24_e32 v37, 12, v2
	v_xor_b32_e32 v2, s21, v1
	v_xor_b32_e32 v1, s20, v1
	v_cmp_gt_i64_e64 s[20:21], 0, v[38:39]
	v_not_b32_e32 v38, v39
	v_ashrrev_i32_e32 v38, 31, v38
	v_and_b32_e32 v41, v41, v42
	v_and_b32_e32 v1, v40, v1
	v_xor_b32_e32 v39, s21, v38
	v_xor_b32_e32 v38, s20, v38
	v_and_b32_e32 v2, v41, v2
	v_and_b32_e32 v1, v1, v38
	v_and_b32_e32 v2, v2, v39
	v_mbcnt_lo_u32_b32 v38, v1, 0
	v_mbcnt_hi_u32_b32 v38, v2, v38
	v_cmp_ne_u64_e64 s[20:21], 0, v[1:2]
	v_cmp_eq_u32_e64 s[22:23], 0, v38
	s_and_b64 s[22:23], s[20:21], s[22:23]
	; wave barrier
	s_and_saveexec_b64 s[20:21], s[22:23]
	s_cbranch_execz .LBB98_14
; %bb.13:                               ;   in Loop: Header=BB98_4 Depth=2
	v_bcnt_u32_b32 v1, v1, 0
	v_bcnt_u32_b32 v1, v2, v1
	s_waitcnt lgkmcnt(0)
	v_add_u32_e32 v1, v36, v1
	v_add_u32_e32 v2, v20, v37
	ds_write_b32 v2, v1 offset:8
.LBB98_14:                              ;   in Loop: Header=BB98_4 Depth=2
	;; [unrolled: 54-line block ×5, first 2 shown]
	s_or_b64 exec, exec, s[20:21]
	; wave barrier
	s_waitcnt lgkmcnt(0)
	s_barrier
	ds_read_b32 v1, v21 offset:8
	s_waitcnt lgkmcnt(0)
	s_nop 0
	v_mov_b32_dpp v2, v1 row_shr:1 row_mask:0xf bank_mask:0xf
	v_cndmask_b32_e64 v2, v2, 0, s[8:9]
	v_add_u32_e32 v1, v2, v1
	s_nop 1
	v_mov_b32_dpp v2, v1 row_shr:2 row_mask:0xf bank_mask:0xf
	v_cndmask_b32_e64 v2, 0, v2, s[10:11]
	v_add_u32_e32 v1, v1, v2
	;; [unrolled: 4-line block ×4, first 2 shown]
	s_nop 1
	v_mov_b32_dpp v2, v1 row_bcast:15 row_mask:0xf bank_mask:0xf
	v_cndmask_b32_e64 v2, v2, 0, s[16:17]
	v_add_u32_e32 v1, v1, v2
	s_nop 1
	v_mov_b32_dpp v2, v1 row_bcast:31 row_mask:0xf bank_mask:0xf
	v_cndmask_b32_e64 v2, 0, v2, s[6:7]
	v_add_u32_e32 v1, v1, v2
	s_and_saveexec_b64 s[20:21], s[2:3]
; %bb.21:                               ;   in Loop: Header=BB98_4 Depth=2
	ds_write_b32 v22, v1
; %bb.22:                               ;   in Loop: Header=BB98_4 Depth=2
	s_or_b64 exec, exec, s[20:21]
	s_waitcnt lgkmcnt(0)
	s_barrier
	s_and_saveexec_b64 s[20:21], vcc
	s_cbranch_execz .LBB98_24
; %bb.23:                               ;   in Loop: Header=BB98_4 Depth=2
	ds_read_b32 v2, v21
	s_waitcnt lgkmcnt(0)
	s_nop 0
	v_mov_b32_dpp v48, v2 row_shr:1 row_mask:0xf bank_mask:0xf
	v_cndmask_b32_e64 v48, v48, 0, s[18:19]
	v_add_u32_e32 v2, v48, v2
	ds_write_b32 v21, v2
.LBB98_24:                              ;   in Loop: Header=BB98_4 Depth=2
	s_or_b64 exec, exec, s[20:21]
	v_mov_b32_e32 v2, 0
	s_waitcnt lgkmcnt(0)
	s_barrier
	s_and_saveexec_b64 s[20:21], s[0:1]
	s_cbranch_execz .LBB98_3
; %bb.25:                               ;   in Loop: Header=BB98_4 Depth=2
	ds_read_b32 v2, v23
	s_branch .LBB98_3
.LBB98_26:
	v_add_u32_e32 v0, v20, v31
	v_add_u32_e32 v1, v20, v28
	;; [unrolled: 1-line block ×3, first 2 shown]
	ds_read_b32 v1, v1 offset:8
	ds_read_b32 v3, v2 offset:8
	;; [unrolled: 1-line block ×3, first 2 shown]
	v_add_u32_e32 v2, v20, v34
	ds_read_b32 v4, v2 offset:8
	v_add_u32_e32 v6, v20, v40
	v_add_u32_e32 v7, v20, v37
	s_waitcnt lgkmcnt(1)
	v_add3_u32 v2, v32, v30, v0
	v_add_u32_e32 v0, v3, v26
	v_add_u32_e32 v3, v20, v46
	;; [unrolled: 1-line block ×3, first 2 shown]
	ds_read_b32 v7, v7 offset:8
	ds_read_b32 v6, v6 offset:8
	ds_read_b32 v8, v5 offset:8
	ds_read_b32 v9, v3 offset:8
	s_lshl_b64 s[0:1], s[28:29], 2
	s_add_u32 s0, s26, s0
	v_add3_u32 v1, v29, v27, v1
	s_waitcnt lgkmcnt(4)
	v_add3_u32 v3, v35, v33, v4
	s_waitcnt lgkmcnt(2)
	;; [unrolled: 2-line block ×3, first 2 shown]
	v_add3_u32 v6, v44, v42, v8
	s_addc_u32 s1, s27, s1
	v_lshlrev_b32_e32 v8, 2, v19
	v_add3_u32 v4, v38, v36, v7
	s_waitcnt lgkmcnt(0)
	v_add3_u32 v7, v47, v45, v9
	global_store_dwordx4 v8, v[0:3], s[0:1]
	global_store_dwordx4 v8, v[4:7], s[0:1] offset:16
	s_endpgm
	.section	.rodata,"a",@progbits
	.p2align	6, 0x0
	.amdhsa_kernel _Z11rank_kernelIxLj4ELb0EL18RadixRankAlgorithm2ELj128ELj8ELj10EEvPKT_Pi
		.amdhsa_group_segment_fixed_size 520
		.amdhsa_private_segment_fixed_size 0
		.amdhsa_kernarg_size 272
		.amdhsa_user_sgpr_count 6
		.amdhsa_user_sgpr_private_segment_buffer 1
		.amdhsa_user_sgpr_dispatch_ptr 0
		.amdhsa_user_sgpr_queue_ptr 0
		.amdhsa_user_sgpr_kernarg_segment_ptr 1
		.amdhsa_user_sgpr_dispatch_id 0
		.amdhsa_user_sgpr_flat_scratch_init 0
		.amdhsa_user_sgpr_private_segment_size 0
		.amdhsa_uses_dynamic_stack 0
		.amdhsa_system_sgpr_private_segment_wavefront_offset 0
		.amdhsa_system_sgpr_workgroup_id_x 1
		.amdhsa_system_sgpr_workgroup_id_y 0
		.amdhsa_system_sgpr_workgroup_id_z 0
		.amdhsa_system_sgpr_workgroup_info 0
		.amdhsa_system_vgpr_workitem_id 2
		.amdhsa_next_free_vgpr 52
		.amdhsa_next_free_sgpr 32
		.amdhsa_reserve_vcc 1
		.amdhsa_reserve_flat_scratch 0
		.amdhsa_float_round_mode_32 0
		.amdhsa_float_round_mode_16_64 0
		.amdhsa_float_denorm_mode_32 3
		.amdhsa_float_denorm_mode_16_64 3
		.amdhsa_dx10_clamp 1
		.amdhsa_ieee_mode 1
		.amdhsa_fp16_overflow 0
		.amdhsa_exception_fp_ieee_invalid_op 0
		.amdhsa_exception_fp_denorm_src 0
		.amdhsa_exception_fp_ieee_div_zero 0
		.amdhsa_exception_fp_ieee_overflow 0
		.amdhsa_exception_fp_ieee_underflow 0
		.amdhsa_exception_fp_ieee_inexact 0
		.amdhsa_exception_int_div_zero 0
	.end_amdhsa_kernel
	.section	.text._Z11rank_kernelIxLj4ELb0EL18RadixRankAlgorithm2ELj128ELj8ELj10EEvPKT_Pi,"axG",@progbits,_Z11rank_kernelIxLj4ELb0EL18RadixRankAlgorithm2ELj128ELj8ELj10EEvPKT_Pi,comdat
.Lfunc_end98:
	.size	_Z11rank_kernelIxLj4ELb0EL18RadixRankAlgorithm2ELj128ELj8ELj10EEvPKT_Pi, .Lfunc_end98-_Z11rank_kernelIxLj4ELb0EL18RadixRankAlgorithm2ELj128ELj8ELj10EEvPKT_Pi
                                        ; -- End function
	.set _Z11rank_kernelIxLj4ELb0EL18RadixRankAlgorithm2ELj128ELj8ELj10EEvPKT_Pi.num_vgpr, 52
	.set _Z11rank_kernelIxLj4ELb0EL18RadixRankAlgorithm2ELj128ELj8ELj10EEvPKT_Pi.num_agpr, 0
	.set _Z11rank_kernelIxLj4ELb0EL18RadixRankAlgorithm2ELj128ELj8ELj10EEvPKT_Pi.numbered_sgpr, 32
	.set _Z11rank_kernelIxLj4ELb0EL18RadixRankAlgorithm2ELj128ELj8ELj10EEvPKT_Pi.num_named_barrier, 0
	.set _Z11rank_kernelIxLj4ELb0EL18RadixRankAlgorithm2ELj128ELj8ELj10EEvPKT_Pi.private_seg_size, 0
	.set _Z11rank_kernelIxLj4ELb0EL18RadixRankAlgorithm2ELj128ELj8ELj10EEvPKT_Pi.uses_vcc, 1
	.set _Z11rank_kernelIxLj4ELb0EL18RadixRankAlgorithm2ELj128ELj8ELj10EEvPKT_Pi.uses_flat_scratch, 0
	.set _Z11rank_kernelIxLj4ELb0EL18RadixRankAlgorithm2ELj128ELj8ELj10EEvPKT_Pi.has_dyn_sized_stack, 0
	.set _Z11rank_kernelIxLj4ELb0EL18RadixRankAlgorithm2ELj128ELj8ELj10EEvPKT_Pi.has_recursion, 0
	.set _Z11rank_kernelIxLj4ELb0EL18RadixRankAlgorithm2ELj128ELj8ELj10EEvPKT_Pi.has_indirect_call, 0
	.section	.AMDGPU.csdata,"",@progbits
; Kernel info:
; codeLenInByte = 3080
; TotalNumSgprs: 36
; NumVgprs: 52
; ScratchSize: 0
; MemoryBound: 0
; FloatMode: 240
; IeeeMode: 1
; LDSByteSize: 520 bytes/workgroup (compile time only)
; SGPRBlocks: 4
; VGPRBlocks: 12
; NumSGPRsForWavesPerEU: 36
; NumVGPRsForWavesPerEU: 52
; Occupancy: 4
; WaveLimiterHint : 0
; COMPUTE_PGM_RSRC2:SCRATCH_EN: 0
; COMPUTE_PGM_RSRC2:USER_SGPR: 6
; COMPUTE_PGM_RSRC2:TRAP_HANDLER: 0
; COMPUTE_PGM_RSRC2:TGID_X_EN: 1
; COMPUTE_PGM_RSRC2:TGID_Y_EN: 0
; COMPUTE_PGM_RSRC2:TGID_Z_EN: 0
; COMPUTE_PGM_RSRC2:TIDIG_COMP_CNT: 2
	.section	.text._Z11rank_kernelIxLj4ELb0EL18RadixRankAlgorithm0ELj128ELj16ELj10EEvPKT_Pi,"axG",@progbits,_Z11rank_kernelIxLj4ELb0EL18RadixRankAlgorithm0ELj128ELj16ELj10EEvPKT_Pi,comdat
	.protected	_Z11rank_kernelIxLj4ELb0EL18RadixRankAlgorithm0ELj128ELj16ELj10EEvPKT_Pi ; -- Begin function _Z11rank_kernelIxLj4ELb0EL18RadixRankAlgorithm0ELj128ELj16ELj10EEvPKT_Pi
	.globl	_Z11rank_kernelIxLj4ELb0EL18RadixRankAlgorithm0ELj128ELj16ELj10EEvPKT_Pi
	.p2align	8
	.type	_Z11rank_kernelIxLj4ELb0EL18RadixRankAlgorithm0ELj128ELj16ELj10EEvPKT_Pi,@function
_Z11rank_kernelIxLj4ELb0EL18RadixRankAlgorithm0ELj128ELj16ELj10EEvPKT_Pi: ; @_Z11rank_kernelIxLj4ELb0EL18RadixRankAlgorithm0ELj128ELj16ELj10EEvPKT_Pi
; %bb.0:
	s_load_dwordx4 s[20:23], s[4:5], 0x0
	s_lshl_b32 s24, s6, 11
	s_mov_b32 s25, 0
	s_lshl_b64 s[0:1], s[24:25], 3
	v_lshlrev_b32_e32 v33, 7, v0
	s_waitcnt lgkmcnt(0)
	s_add_u32 s0, s20, s0
	s_addc_u32 s1, s21, s1
	global_load_dwordx4 v[1:4], v33, s[0:1]
	global_load_dwordx4 v[5:8], v33, s[0:1] offset:16
	global_load_dwordx4 v[9:12], v33, s[0:1] offset:32
	;; [unrolled: 1-line block ×7, first 2 shown]
	v_mbcnt_lo_u32_b32 v33, -1, 0
	v_mbcnt_hi_u32_b32 v39, -1, v33
	v_subrev_co_u32_e64 v43, s[6:7], 1, v39
	v_and_b32_e32 v44, 64, v39
	v_cmp_lt_i32_e64 s[18:19], v43, v44
	v_lshlrev_b32_e32 v35, 5, v0
	v_or_b32_e32 v37, 63, v0
	v_lshrrev_b32_e32 v38, 4, v0
	v_mul_i32_i24_e32 v40, 0xffffffe4, v0
	v_and_b32_e32 v41, 15, v39
	v_and_b32_e32 v42, 16, v39
	v_cmp_lt_u32_e64 s[4:5], 31, v39
	v_and_b32_e32 v45, 1, v39
	v_cndmask_b32_e64 v39, v43, v39, s[18:19]
	s_movk_i32 s28, 0x37f
	s_movk_i32 s29, 0x380
	v_mov_b32_e32 v34, 0
	v_cmp_gt_u32_e32 vcc, 2, v0
	v_cmp_lt_u32_e64 s[0:1], 63, v0
	s_mov_b32 s30, s25
	v_lshlrev_b32_e32 v33, 4, v0
	v_lshlrev_b32_e32 v36, 2, v0
	v_cmp_eq_u32_e64 s[2:3], v0, v37
	v_and_b32_e32 v37, 4, v38
	v_add_u32_e32 v38, v35, v40
	v_cmp_eq_u32_e64 s[8:9], 0, v41
	v_cmp_lt_u32_e64 s[10:11], 1, v41
	v_cmp_lt_u32_e64 s[12:13], 3, v41
	;; [unrolled: 1-line block ×3, first 2 shown]
	v_cmp_eq_u32_e64 s[16:17], 0, v42
	v_cmp_eq_u32_e64 s[18:19], 0, v45
	v_lshlrev_b32_e32 v39, 2, v39
	v_or_b32_e32 v40, 0xffffff80, v0
	s_waitcnt vmcnt(7)
	v_xor_b32_e32 v2, 0x80000000, v2
	v_xor_b32_e32 v4, 0x80000000, v4
	s_waitcnt vmcnt(6)
	v_xor_b32_e32 v6, 0x80000000, v6
	v_xor_b32_e32 v8, 0x80000000, v8
	;; [unrolled: 3-line block ×8, first 2 shown]
	s_branch .LBB99_2
.LBB99_1:                               ;   in Loop: Header=BB99_2 Depth=1
	s_add_i32 s30, s30, 1
	s_cmp_eq_u32 s30, 10
	s_cbranch_scc1 .LBB99_12
.LBB99_2:                               ; =>This Loop Header: Depth=1
                                        ;     Child Loop BB99_4 Depth 2
                                        ;       Child Loop BB99_5 Depth 3
	s_mov_b32 s31, 0
	s_branch .LBB99_4
.LBB99_3:                               ;   in Loop: Header=BB99_4 Depth=2
	s_or_b64 exec, exec, s[20:21]
	s_waitcnt lgkmcnt(0)
	v_add_u32_e32 v73, v74, v73
	ds_bpermute_b32 v73, v39, v73
	ds_read_b32 v81, v34 offset:4100
	ds_read2_b64 v[75:78], v35 offset1:1
	ds_read_b64 v[79:80], v35 offset:16
	ds_read_b32 v82, v35 offset:24
	s_add_i32 s20, s31, 4
	s_cmp_lt_u32 s31, 60
	s_mov_b32 s31, s20
	s_waitcnt lgkmcnt(4)
	v_cndmask_b32_e64 v73, v73, v74, s[6:7]
	s_waitcnt lgkmcnt(3)
	v_lshl_add_u32 v73, v81, 16, v73
	s_waitcnt lgkmcnt(2)
	v_add_u32_e32 v74, v73, v75
	v_add_u32_e32 v75, v76, v74
	;; [unrolled: 1-line block ×3, first 2 shown]
	ds_write2_b64 v35, v[73:74], v[75:76] offset1:1
	v_add_u32_e32 v73, v78, v76
	s_waitcnt lgkmcnt(2)
	v_add_u32_e32 v74, v79, v73
	v_add_u32_e32 v75, v80, v74
	s_waitcnt lgkmcnt(1)
	v_add_u32_e32 v76, v82, v75
	ds_write2_b64 v35, v[73:74], v[75:76] offset0:2 offset1:3
	s_waitcnt lgkmcnt(0)
	s_barrier
	s_cbranch_scc0 .LBB99_1
.LBB99_4:                               ;   Parent Loop BB99_2 Depth=1
                                        ; =>  This Loop Header: Depth=2
                                        ;       Child Loop BB99_5 Depth 3
	s_mov_b64 s[26:27], 0
	v_mov_b32_e32 v41, v40
	v_mov_b32_e32 v42, v36
.LBB99_5:                               ;   Parent Loop BB99_2 Depth=1
                                        ;     Parent Loop BB99_4 Depth=2
                                        ; =>    This Inner Loop Header: Depth=3
	v_add_u32_e32 v41, 0x80, v41
	v_cmp_lt_u32_e64 s[20:21], s28, v41
	ds_write_b32 v42, v34
	s_or_b64 s[26:27], s[20:21], s[26:27]
	v_add_u32_e32 v42, 0x200, v42
	s_andn2_b64 exec, exec, s[26:27]
	s_cbranch_execnz .LBB99_5
; %bb.6:                                ;   in Loop: Header=BB99_4 Depth=2
	s_or_b64 exec, exec, s[26:27]
	s_sub_i32 s20, 60, s31
	v_lshlrev_b64 v[41:42], s20, v[1:2]
	v_lshlrev_b64 v[44:45], s20, v[3:4]
	v_lshrrev_b32_e32 v41, 21, v42
	v_lshrrev_b32_e32 v42, 30, v42
	v_and_or_b32 v41, v41, s29, v0
	v_and_b32_e32 v42, 2, v42
	v_lshl_or_b32 v43, v41, 2, v42
	ds_read_u16 v41, v43
	v_lshrrev_b32_e32 v42, 21, v45
	v_and_or_b32 v42, v42, s29, v0
	v_lshlrev_b64 v[46:47], s20, v[5:6]
	v_lshlrev_b64 v[48:49], s20, v[7:8]
	s_waitcnt lgkmcnt(0)
	v_add_u16_e32 v44, 1, v41
	ds_write_b16 v43, v44
	v_lshrrev_b32_e32 v44, 30, v45
	v_and_b32_e32 v44, 2, v44
	v_lshl_or_b32 v45, v42, 2, v44
	ds_read_u16 v42, v45
	v_lshrrev_b32_e32 v46, 30, v47
	v_and_b32_e32 v46, 2, v46
	v_lshrrev_b32_e32 v48, 30, v49
	v_and_b32_e32 v48, 2, v48
	s_waitcnt lgkmcnt(0)
	v_add_u16_e32 v44, 1, v42
	ds_write_b16 v45, v44
	v_lshrrev_b32_e32 v44, 21, v47
	v_and_or_b32 v44, v44, s29, v0
	v_lshl_or_b32 v47, v44, 2, v46
	ds_read_u16 v44, v47
	v_lshlrev_b64 v[50:51], s20, v[9:10]
	v_lshlrev_b64 v[52:53], s20, v[11:12]
	v_lshrrev_b32_e32 v50, 30, v51
	v_and_b32_e32 v50, 2, v50
	s_waitcnt lgkmcnt(0)
	v_add_u16_e32 v46, 1, v44
	ds_write_b16 v47, v46
	v_lshrrev_b32_e32 v46, 21, v49
	v_and_or_b32 v46, v46, s29, v0
	v_lshl_or_b32 v49, v46, 2, v48
	ds_read_u16 v46, v49
	v_lshrrev_b32_e32 v52, 30, v53
	v_and_b32_e32 v52, 2, v52
	v_lshlrev_b64 v[54:55], s20, v[13:14]
	v_lshlrev_b64 v[56:57], s20, v[15:16]
	s_waitcnt lgkmcnt(0)
	v_add_u16_e32 v48, 1, v46
	ds_write_b16 v49, v48
	v_lshrrev_b32_e32 v48, 21, v51
	v_and_or_b32 v48, v48, s29, v0
	v_lshl_or_b32 v51, v48, 2, v50
	ds_read_u16 v48, v51
	v_lshrrev_b32_e32 v54, 30, v55
	v_and_b32_e32 v54, 2, v54
	v_lshrrev_b32_e32 v56, 30, v57
	v_and_b32_e32 v56, 2, v56
	s_waitcnt lgkmcnt(0)
	v_add_u16_e32 v50, 1, v48
	ds_write_b16 v51, v50
	v_lshrrev_b32_e32 v50, 21, v53
	v_and_or_b32 v50, v50, s29, v0
	v_lshl_or_b32 v53, v50, 2, v52
	ds_read_u16 v50, v53
	v_lshlrev_b64 v[58:59], s20, v[17:18]
	v_lshlrev_b64 v[60:61], s20, v[19:20]
	v_lshrrev_b32_e32 v58, 30, v59
	v_and_b32_e32 v58, 2, v58
	s_waitcnt lgkmcnt(0)
	v_add_u16_e32 v52, 1, v50
	ds_write_b16 v53, v52
	v_lshrrev_b32_e32 v52, 21, v55
	v_and_or_b32 v52, v52, s29, v0
	v_lshl_or_b32 v55, v52, 2, v54
	ds_read_u16 v52, v55
	v_lshrrev_b32_e32 v60, 30, v61
	v_and_b32_e32 v60, 2, v60
	v_lshlrev_b64 v[62:63], s20, v[21:22]
	v_lshlrev_b64 v[64:65], s20, v[23:24]
	s_waitcnt lgkmcnt(0)
	v_add_u16_e32 v54, 1, v52
	ds_write_b16 v55, v54
	v_lshrrev_b32_e32 v54, 21, v57
	v_and_or_b32 v54, v54, s29, v0
	;; [unrolled: 33-line block ×3, first 2 shown]
	v_lshl_or_b32 v63, v60, 2, v62
	ds_read_u16 v60, v63
	v_lshrrev_b32_e32 v70, 30, v71
	v_and_b32_e32 v70, 2, v70
	v_lshrrev_b32_e32 v72, 30, v73
	v_and_b32_e32 v72, 2, v72
	s_waitcnt lgkmcnt(0)
	v_add_u16_e32 v62, 1, v60
	ds_write_b16 v63, v62
	v_lshrrev_b32_e32 v62, 21, v65
	v_and_or_b32 v62, v62, s29, v0
	v_lshl_or_b32 v65, v62, 2, v64
	ds_read_u16 v62, v65
	s_waitcnt lgkmcnt(0)
	v_add_u16_e32 v64, 1, v62
	ds_write_b16 v65, v64
	v_lshrrev_b32_e32 v64, 21, v67
	v_and_or_b32 v64, v64, s29, v0
	v_lshl_or_b32 v67, v64, 2, v66
	ds_read_u16 v64, v67
	;; [unrolled: 7-line block ×5, first 2 shown]
	s_waitcnt lgkmcnt(0)
	v_add_u16_e32 v73, 1, v70
	ds_write_b16 v72, v73
	s_waitcnt lgkmcnt(0)
	s_barrier
	ds_read2_b64 v[73:76], v35 offset1:1
	ds_read2_b64 v[77:80], v35 offset0:2 offset1:3
	s_waitcnt lgkmcnt(1)
	v_add_u32_e32 v73, v74, v73
	v_add3_u32 v73, v73, v75, v76
	s_waitcnt lgkmcnt(0)
	v_add3_u32 v73, v73, v77, v78
	v_add3_u32 v73, v73, v79, v80
	s_nop 1
	v_mov_b32_dpp v74, v73 row_shr:1 row_mask:0xf bank_mask:0xf
	v_cndmask_b32_e64 v74, v74, 0, s[8:9]
	v_add_u32_e32 v73, v74, v73
	s_nop 1
	v_mov_b32_dpp v74, v73 row_shr:2 row_mask:0xf bank_mask:0xf
	v_cndmask_b32_e64 v74, 0, v74, s[10:11]
	v_add_u32_e32 v73, v73, v74
	;; [unrolled: 4-line block ×4, first 2 shown]
	s_nop 1
	v_mov_b32_dpp v74, v73 row_bcast:15 row_mask:0xf bank_mask:0xf
	v_cndmask_b32_e64 v74, v74, 0, s[16:17]
	v_add_u32_e32 v73, v73, v74
	s_nop 1
	v_mov_b32_dpp v74, v73 row_bcast:31 row_mask:0xf bank_mask:0xf
	v_cndmask_b32_e64 v74, 0, v74, s[4:5]
	v_add_u32_e32 v73, v73, v74
	s_and_saveexec_b64 s[20:21], s[2:3]
; %bb.7:                                ;   in Loop: Header=BB99_4 Depth=2
	ds_write_b32 v37, v73 offset:4096
; %bb.8:                                ;   in Loop: Header=BB99_4 Depth=2
	s_or_b64 exec, exec, s[20:21]
	s_waitcnt lgkmcnt(0)
	s_barrier
	s_and_saveexec_b64 s[20:21], vcc
	s_cbranch_execz .LBB99_10
; %bb.9:                                ;   in Loop: Header=BB99_4 Depth=2
	ds_read_b32 v74, v38 offset:4096
	s_waitcnt lgkmcnt(0)
	s_nop 0
	v_mov_b32_dpp v75, v74 row_shr:1 row_mask:0xf bank_mask:0xf
	v_cndmask_b32_e64 v75, v75, 0, s[18:19]
	v_add_u32_e32 v74, v75, v74
	ds_write_b32 v38, v74 offset:4096
.LBB99_10:                              ;   in Loop: Header=BB99_4 Depth=2
	s_or_b64 exec, exec, s[20:21]
	v_mov_b32_e32 v74, 0
	s_waitcnt lgkmcnt(0)
	s_barrier
	s_and_saveexec_b64 s[20:21], s[0:1]
	s_cbranch_execz .LBB99_3
; %bb.11:                               ;   in Loop: Header=BB99_4 Depth=2
	ds_read_b32 v74, v37 offset:4092
	s_branch .LBB99_3
.LBB99_12:
	ds_read_u16 v0, v72
	ds_read_u16 v1, v71
	;; [unrolled: 1-line block ×16, first 2 shown]
	s_lshl_b64 s[0:1], s[24:25], 2
	s_add_u32 s0, s22, s0
	s_waitcnt lgkmcnt(14)
	v_add_u32_sdwa v3, v0, v70 dst_sel:DWORD dst_unused:UNUSED_PAD src0_sel:DWORD src1_sel:WORD_0
	v_add_u32_sdwa v2, v1, v68 dst_sel:DWORD dst_unused:UNUSED_PAD src0_sel:DWORD src1_sel:WORD_0
	s_waitcnt lgkmcnt(13)
	v_add_u32_sdwa v1, v4, v66 dst_sel:DWORD dst_unused:UNUSED_PAD src0_sel:DWORD src1_sel:WORD_0
	s_waitcnt lgkmcnt(12)
	;; [unrolled: 2-line block ×13, first 2 shown]
	v_add_u32_sdwa v12, v18, v41 dst_sel:DWORD dst_unused:UNUSED_PAD src0_sel:DWORD src1_sel:WORD_0
	s_addc_u32 s1, s23, s1
	v_lshlrev_b32_e32 v16, 2, v33
	v_add_u32_sdwa v11, v11, v54 dst_sel:DWORD dst_unused:UNUSED_PAD src0_sel:DWORD src1_sel:WORD_0
	global_store_dwordx4 v16, v[12:15], s[0:1]
	global_store_dwordx4 v16, v[8:11], s[0:1] offset:16
	global_store_dwordx4 v16, v[4:7], s[0:1] offset:32
	;; [unrolled: 1-line block ×3, first 2 shown]
	s_endpgm
	.section	.rodata,"a",@progbits
	.p2align	6, 0x0
	.amdhsa_kernel _Z11rank_kernelIxLj4ELb0EL18RadixRankAlgorithm0ELj128ELj16ELj10EEvPKT_Pi
		.amdhsa_group_segment_fixed_size 4104
		.amdhsa_private_segment_fixed_size 0
		.amdhsa_kernarg_size 16
		.amdhsa_user_sgpr_count 6
		.amdhsa_user_sgpr_private_segment_buffer 1
		.amdhsa_user_sgpr_dispatch_ptr 0
		.amdhsa_user_sgpr_queue_ptr 0
		.amdhsa_user_sgpr_kernarg_segment_ptr 1
		.amdhsa_user_sgpr_dispatch_id 0
		.amdhsa_user_sgpr_flat_scratch_init 0
		.amdhsa_user_sgpr_private_segment_size 0
		.amdhsa_uses_dynamic_stack 0
		.amdhsa_system_sgpr_private_segment_wavefront_offset 0
		.amdhsa_system_sgpr_workgroup_id_x 1
		.amdhsa_system_sgpr_workgroup_id_y 0
		.amdhsa_system_sgpr_workgroup_id_z 0
		.amdhsa_system_sgpr_workgroup_info 0
		.amdhsa_system_vgpr_workitem_id 0
		.amdhsa_next_free_vgpr 83
		.amdhsa_next_free_sgpr 61
		.amdhsa_reserve_vcc 1
		.amdhsa_reserve_flat_scratch 0
		.amdhsa_float_round_mode_32 0
		.amdhsa_float_round_mode_16_64 0
		.amdhsa_float_denorm_mode_32 3
		.amdhsa_float_denorm_mode_16_64 3
		.amdhsa_dx10_clamp 1
		.amdhsa_ieee_mode 1
		.amdhsa_fp16_overflow 0
		.amdhsa_exception_fp_ieee_invalid_op 0
		.amdhsa_exception_fp_denorm_src 0
		.amdhsa_exception_fp_ieee_div_zero 0
		.amdhsa_exception_fp_ieee_overflow 0
		.amdhsa_exception_fp_ieee_underflow 0
		.amdhsa_exception_fp_ieee_inexact 0
		.amdhsa_exception_int_div_zero 0
	.end_amdhsa_kernel
	.section	.text._Z11rank_kernelIxLj4ELb0EL18RadixRankAlgorithm0ELj128ELj16ELj10EEvPKT_Pi,"axG",@progbits,_Z11rank_kernelIxLj4ELb0EL18RadixRankAlgorithm0ELj128ELj16ELj10EEvPKT_Pi,comdat
.Lfunc_end99:
	.size	_Z11rank_kernelIxLj4ELb0EL18RadixRankAlgorithm0ELj128ELj16ELj10EEvPKT_Pi, .Lfunc_end99-_Z11rank_kernelIxLj4ELb0EL18RadixRankAlgorithm0ELj128ELj16ELj10EEvPKT_Pi
                                        ; -- End function
	.set _Z11rank_kernelIxLj4ELb0EL18RadixRankAlgorithm0ELj128ELj16ELj10EEvPKT_Pi.num_vgpr, 83
	.set _Z11rank_kernelIxLj4ELb0EL18RadixRankAlgorithm0ELj128ELj16ELj10EEvPKT_Pi.num_agpr, 0
	.set _Z11rank_kernelIxLj4ELb0EL18RadixRankAlgorithm0ELj128ELj16ELj10EEvPKT_Pi.numbered_sgpr, 32
	.set _Z11rank_kernelIxLj4ELb0EL18RadixRankAlgorithm0ELj128ELj16ELj10EEvPKT_Pi.num_named_barrier, 0
	.set _Z11rank_kernelIxLj4ELb0EL18RadixRankAlgorithm0ELj128ELj16ELj10EEvPKT_Pi.private_seg_size, 0
	.set _Z11rank_kernelIxLj4ELb0EL18RadixRankAlgorithm0ELj128ELj16ELj10EEvPKT_Pi.uses_vcc, 1
	.set _Z11rank_kernelIxLj4ELb0EL18RadixRankAlgorithm0ELj128ELj16ELj10EEvPKT_Pi.uses_flat_scratch, 0
	.set _Z11rank_kernelIxLj4ELb0EL18RadixRankAlgorithm0ELj128ELj16ELj10EEvPKT_Pi.has_dyn_sized_stack, 0
	.set _Z11rank_kernelIxLj4ELb0EL18RadixRankAlgorithm0ELj128ELj16ELj10EEvPKT_Pi.has_recursion, 0
	.set _Z11rank_kernelIxLj4ELb0EL18RadixRankAlgorithm0ELj128ELj16ELj10EEvPKT_Pi.has_indirect_call, 0
	.section	.AMDGPU.csdata,"",@progbits
; Kernel info:
; codeLenInByte = 2340
; TotalNumSgprs: 36
; NumVgprs: 83
; ScratchSize: 0
; MemoryBound: 0
; FloatMode: 240
; IeeeMode: 1
; LDSByteSize: 4104 bytes/workgroup (compile time only)
; SGPRBlocks: 8
; VGPRBlocks: 20
; NumSGPRsForWavesPerEU: 65
; NumVGPRsForWavesPerEU: 83
; Occupancy: 3
; WaveLimiterHint : 0
; COMPUTE_PGM_RSRC2:SCRATCH_EN: 0
; COMPUTE_PGM_RSRC2:USER_SGPR: 6
; COMPUTE_PGM_RSRC2:TRAP_HANDLER: 0
; COMPUTE_PGM_RSRC2:TGID_X_EN: 1
; COMPUTE_PGM_RSRC2:TGID_Y_EN: 0
; COMPUTE_PGM_RSRC2:TGID_Z_EN: 0
; COMPUTE_PGM_RSRC2:TIDIG_COMP_CNT: 0
	.section	.text._Z11rank_kernelIxLj4ELb0EL18RadixRankAlgorithm1ELj128ELj16ELj10EEvPKT_Pi,"axG",@progbits,_Z11rank_kernelIxLj4ELb0EL18RadixRankAlgorithm1ELj128ELj16ELj10EEvPKT_Pi,comdat
	.protected	_Z11rank_kernelIxLj4ELb0EL18RadixRankAlgorithm1ELj128ELj16ELj10EEvPKT_Pi ; -- Begin function _Z11rank_kernelIxLj4ELb0EL18RadixRankAlgorithm1ELj128ELj16ELj10EEvPKT_Pi
	.globl	_Z11rank_kernelIxLj4ELb0EL18RadixRankAlgorithm1ELj128ELj16ELj10EEvPKT_Pi
	.p2align	8
	.type	_Z11rank_kernelIxLj4ELb0EL18RadixRankAlgorithm1ELj128ELj16ELj10EEvPKT_Pi,@function
_Z11rank_kernelIxLj4ELb0EL18RadixRankAlgorithm1ELj128ELj16ELj10EEvPKT_Pi: ; @_Z11rank_kernelIxLj4ELb0EL18RadixRankAlgorithm1ELj128ELj16ELj10EEvPKT_Pi
; %bb.0:
	s_load_dwordx4 s[20:23], s[4:5], 0x0
	s_lshl_b32 s24, s6, 11
	s_mov_b32 s25, 0
	s_lshl_b64 s[0:1], s[24:25], 3
	v_lshlrev_b32_e32 v33, 7, v0
	s_waitcnt lgkmcnt(0)
	s_add_u32 s0, s20, s0
	s_addc_u32 s1, s21, s1
	global_load_dwordx4 v[1:4], v33, s[0:1]
	global_load_dwordx4 v[5:8], v33, s[0:1] offset:16
	global_load_dwordx4 v[9:12], v33, s[0:1] offset:32
	;; [unrolled: 1-line block ×7, first 2 shown]
	v_mbcnt_lo_u32_b32 v33, -1, 0
	v_mbcnt_hi_u32_b32 v33, -1, v33
	v_subrev_co_u32_e64 v38, s[6:7], 1, v33
	v_and_b32_e32 v39, 64, v33
	v_or_b32_e32 v34, 63, v0
	v_lshrrev_b32_e32 v35, 4, v0
	v_cmp_lt_i32_e64 s[18:19], v38, v39
	v_lshlrev_b32_e32 v43, 5, v0
	v_mul_i32_i24_e32 v36, 0xffffffe4, v0
	v_and_b32_e32 v37, 15, v33
	v_cmp_eq_u32_e64 s[2:3], v0, v34
	v_and_b32_e32 v34, 16, v33
	v_cmp_lt_u32_e64 s[4:5], 31, v33
	v_and_b32_e32 v45, 4, v35
	v_and_b32_e32 v35, 1, v33
	v_cndmask_b32_e64 v33, v38, v33, s[18:19]
	s_movk_i32 s28, 0x37f
	s_movk_i32 s29, 0x380
	v_mov_b32_e32 v42, 0
	v_cmp_gt_u32_e32 vcc, 2, v0
	v_cmp_lt_u32_e64 s[0:1], 63, v0
	s_mov_b32 s30, s25
	v_lshlrev_b32_e32 v41, 4, v0
	v_lshlrev_b32_e32 v44, 2, v0
	v_add_u32_e32 v46, v43, v36
	v_cmp_eq_u32_e64 s[8:9], 0, v37
	v_cmp_lt_u32_e64 s[10:11], 1, v37
	v_cmp_lt_u32_e64 s[12:13], 3, v37
	;; [unrolled: 1-line block ×3, first 2 shown]
	v_cmp_eq_u32_e64 s[16:17], 0, v34
	v_cmp_eq_u32_e64 s[18:19], 0, v35
	v_lshlrev_b32_e32 v47, 2, v33
	v_or_b32_e32 v48, 0xffffff80, v0
	s_waitcnt vmcnt(7)
	v_xor_b32_e32 v2, 0x80000000, v2
	v_xor_b32_e32 v4, 0x80000000, v4
	s_waitcnt vmcnt(6)
	v_xor_b32_e32 v6, 0x80000000, v6
	v_xor_b32_e32 v8, 0x80000000, v8
	;; [unrolled: 3-line block ×8, first 2 shown]
	s_branch .LBB100_2
.LBB100_1:                              ;   in Loop: Header=BB100_2 Depth=1
	s_add_i32 s30, s30, 1
	s_cmp_eq_u32 s30, 10
	s_cbranch_scc1 .LBB100_12
.LBB100_2:                              ; =>This Loop Header: Depth=1
                                        ;     Child Loop BB100_4 Depth 2
                                        ;       Child Loop BB100_5 Depth 3
	s_mov_b32 s31, 0
	s_branch .LBB100_4
.LBB100_3:                              ;   in Loop: Header=BB100_4 Depth=2
	s_or_b64 exec, exec, s[20:21]
	s_waitcnt lgkmcnt(0)
	v_add_u32_e32 v36, v81, v36
	ds_bpermute_b32 v36, v47, v36
	ds_read_b32 v82, v42 offset:4100
	s_add_i32 s20, s31, 4
	s_cmp_lt_u32 s31, 60
	s_mov_b32 s31, s20
	s_waitcnt lgkmcnt(1)
	v_cndmask_b32_e64 v36, v36, v81, s[6:7]
	s_waitcnt lgkmcnt(0)
	v_lshl_add_u32 v36, v82, 16, v36
	v_add_u32_e32 v37, v36, v37
	v_add_u32_e32 v38, v37, v38
	;; [unrolled: 1-line block ×7, first 2 shown]
	ds_write2_b64 v43, v[36:37], v[38:39] offset1:1
	ds_write2_b64 v43, v[81:82], v[33:34] offset0:2 offset1:3
	s_waitcnt lgkmcnt(0)
	s_barrier
	s_cbranch_scc0 .LBB100_1
.LBB100_4:                              ;   Parent Loop BB100_2 Depth=1
                                        ; =>  This Loop Header: Depth=2
                                        ;       Child Loop BB100_5 Depth 3
	s_mov_b64 s[26:27], 0
	v_mov_b32_e32 v33, v48
	v_mov_b32_e32 v34, v44
.LBB100_5:                              ;   Parent Loop BB100_2 Depth=1
                                        ;     Parent Loop BB100_4 Depth=2
                                        ; =>    This Inner Loop Header: Depth=3
	v_add_u32_e32 v33, 0x80, v33
	v_cmp_lt_u32_e64 s[20:21], s28, v33
	ds_write_b32 v34, v42
	s_or_b64 s[26:27], s[20:21], s[26:27]
	v_add_u32_e32 v34, 0x200, v34
	s_andn2_b64 exec, exec, s[26:27]
	s_cbranch_execnz .LBB100_5
; %bb.6:                                ;   in Loop: Header=BB100_4 Depth=2
	s_or_b64 exec, exec, s[26:27]
	s_sub_i32 s20, 60, s31
	v_lshlrev_b64 v[33:34], s20, v[1:2]
	v_lshrrev_b32_e32 v33, 21, v34
	v_lshrrev_b32_e32 v34, 30, v34
	v_and_or_b32 v33, v33, s29, v0
	v_and_b32_e32 v34, 2, v34
	v_lshl_or_b32 v51, v33, 2, v34
	ds_read_u16 v49, v51
	v_lshlrev_b64 v[33:34], s20, v[3:4]
	v_lshrrev_b32_e32 v33, 21, v34
	v_lshrrev_b32_e32 v34, 30, v34
	v_and_or_b32 v33, v33, s29, v0
	s_waitcnt lgkmcnt(0)
	v_add_u16_e32 v35, 1, v49
	v_and_b32_e32 v34, 2, v34
	ds_write_b16 v51, v35
	v_lshl_or_b32 v53, v33, 2, v34
	ds_read_u16 v50, v53
	v_lshlrev_b64 v[33:34], s20, v[5:6]
	s_waitcnt lgkmcnt(0)
	v_add_u16_e32 v33, 1, v50
	ds_write_b16 v53, v33
	v_lshrrev_b32_e32 v33, 21, v34
	v_lshrrev_b32_e32 v34, 30, v34
	v_and_or_b32 v33, v33, s29, v0
	v_and_b32_e32 v34, 2, v34
	v_lshl_or_b32 v55, v33, 2, v34
	ds_read_u16 v52, v55
	v_lshlrev_b64 v[33:34], s20, v[7:8]
	v_lshrrev_b32_e32 v33, 21, v34
	v_lshrrev_b32_e32 v34, 30, v34
	s_waitcnt lgkmcnt(0)
	v_add_u16_e32 v35, 1, v52
	v_and_or_b32 v33, v33, s29, v0
	v_and_b32_e32 v34, 2, v34
	ds_write_b16 v55, v35
	v_lshl_or_b32 v57, v33, 2, v34
	ds_read_u16 v54, v57
	v_lshlrev_b64 v[33:34], s20, v[9:10]
	v_lshrrev_b32_e32 v33, 21, v34
	v_lshrrev_b32_e32 v34, 30, v34
	s_waitcnt lgkmcnt(0)
	v_add_u16_e32 v35, 1, v54
	v_and_or_b32 v33, v33, s29, v0
	v_and_b32_e32 v34, 2, v34
	ds_write_b16 v57, v35
	;; [unrolled: 10-line block ×13, first 2 shown]
	v_lshl_or_b32 v80, v33, 2, v34
	ds_read_u16 v78, v80
	s_waitcnt lgkmcnt(0)
	v_add_u16_e32 v33, 1, v78
	ds_write_b16 v80, v33
	s_waitcnt lgkmcnt(0)
	s_barrier
	ds_read2_b64 v[37:40], v43 offset1:1
	ds_read2_b64 v[33:36], v43 offset0:2 offset1:3
	s_waitcnt lgkmcnt(1)
	v_add_u32_e32 v81, v38, v37
	v_add3_u32 v81, v81, v39, v40
	s_waitcnt lgkmcnt(0)
	v_add3_u32 v81, v81, v33, v34
	v_add3_u32 v36, v81, v35, v36
	s_nop 1
	v_mov_b32_dpp v81, v36 row_shr:1 row_mask:0xf bank_mask:0xf
	v_cndmask_b32_e64 v81, v81, 0, s[8:9]
	v_add_u32_e32 v36, v81, v36
	s_nop 1
	v_mov_b32_dpp v81, v36 row_shr:2 row_mask:0xf bank_mask:0xf
	v_cndmask_b32_e64 v81, 0, v81, s[10:11]
	v_add_u32_e32 v36, v36, v81
	;; [unrolled: 4-line block ×4, first 2 shown]
	s_nop 1
	v_mov_b32_dpp v81, v36 row_bcast:15 row_mask:0xf bank_mask:0xf
	v_cndmask_b32_e64 v81, v81, 0, s[16:17]
	v_add_u32_e32 v36, v36, v81
	s_nop 1
	v_mov_b32_dpp v81, v36 row_bcast:31 row_mask:0xf bank_mask:0xf
	v_cndmask_b32_e64 v81, 0, v81, s[4:5]
	v_add_u32_e32 v36, v36, v81
	s_and_saveexec_b64 s[20:21], s[2:3]
; %bb.7:                                ;   in Loop: Header=BB100_4 Depth=2
	ds_write_b32 v45, v36 offset:4096
; %bb.8:                                ;   in Loop: Header=BB100_4 Depth=2
	s_or_b64 exec, exec, s[20:21]
	s_waitcnt lgkmcnt(0)
	s_barrier
	s_and_saveexec_b64 s[20:21], vcc
	s_cbranch_execz .LBB100_10
; %bb.9:                                ;   in Loop: Header=BB100_4 Depth=2
	ds_read_b32 v81, v46 offset:4096
	s_waitcnt lgkmcnt(0)
	s_nop 0
	v_mov_b32_dpp v82, v81 row_shr:1 row_mask:0xf bank_mask:0xf
	v_cndmask_b32_e64 v82, v82, 0, s[18:19]
	v_add_u32_e32 v81, v82, v81
	ds_write_b32 v46, v81 offset:4096
.LBB100_10:                             ;   in Loop: Header=BB100_4 Depth=2
	s_or_b64 exec, exec, s[20:21]
	v_mov_b32_e32 v81, 0
	s_waitcnt lgkmcnt(0)
	s_barrier
	s_and_saveexec_b64 s[20:21], s[0:1]
	s_cbranch_execz .LBB100_3
; %bb.11:                               ;   in Loop: Header=BB100_4 Depth=2
	ds_read_b32 v81, v45 offset:4092
	s_branch .LBB100_3
.LBB100_12:
	ds_read_u16 v0, v80
	ds_read_u16 v1, v79
	ds_read_u16 v4, v77
	ds_read_u16 v5, v75
	ds_read_u16 v6, v73
	ds_read_u16 v8, v71
	ds_read_u16 v9, v69
	ds_read_u16 v10, v67
	ds_read_u16 v11, v65
	ds_read_u16 v12, v63
	ds_read_u16 v13, v61
	ds_read_u16 v14, v59
	ds_read_u16 v15, v57
	ds_read_u16 v16, v55
	ds_read_u16 v17, v53
	ds_read_u16 v18, v51
	s_lshl_b64 s[0:1], s[24:25], 2
	s_add_u32 s0, s22, s0
	s_waitcnt lgkmcnt(14)
	v_add_u32_sdwa v3, v0, v78 dst_sel:DWORD dst_unused:UNUSED_PAD src0_sel:DWORD src1_sel:WORD_0
	v_add_u32_sdwa v2, v1, v76 dst_sel:DWORD dst_unused:UNUSED_PAD src0_sel:DWORD src1_sel:WORD_0
	s_waitcnt lgkmcnt(13)
	v_add_u32_sdwa v1, v4, v74 dst_sel:DWORD dst_unused:UNUSED_PAD src0_sel:DWORD src1_sel:WORD_0
	s_waitcnt lgkmcnt(12)
	;; [unrolled: 2-line block ×13, first 2 shown]
	v_add_u32_sdwa v12, v18, v49 dst_sel:DWORD dst_unused:UNUSED_PAD src0_sel:DWORD src1_sel:WORD_0
	s_addc_u32 s1, s23, s1
	v_lshlrev_b32_e32 v16, 2, v41
	v_add_u32_sdwa v11, v11, v62 dst_sel:DWORD dst_unused:UNUSED_PAD src0_sel:DWORD src1_sel:WORD_0
	global_store_dwordx4 v16, v[12:15], s[0:1]
	global_store_dwordx4 v16, v[8:11], s[0:1] offset:16
	global_store_dwordx4 v16, v[4:7], s[0:1] offset:32
	global_store_dwordx4 v16, v[0:3], s[0:1] offset:48
	s_endpgm
	.section	.rodata,"a",@progbits
	.p2align	6, 0x0
	.amdhsa_kernel _Z11rank_kernelIxLj4ELb0EL18RadixRankAlgorithm1ELj128ELj16ELj10EEvPKT_Pi
		.amdhsa_group_segment_fixed_size 4104
		.amdhsa_private_segment_fixed_size 0
		.amdhsa_kernarg_size 16
		.amdhsa_user_sgpr_count 6
		.amdhsa_user_sgpr_private_segment_buffer 1
		.amdhsa_user_sgpr_dispatch_ptr 0
		.amdhsa_user_sgpr_queue_ptr 0
		.amdhsa_user_sgpr_kernarg_segment_ptr 1
		.amdhsa_user_sgpr_dispatch_id 0
		.amdhsa_user_sgpr_flat_scratch_init 0
		.amdhsa_user_sgpr_private_segment_size 0
		.amdhsa_uses_dynamic_stack 0
		.amdhsa_system_sgpr_private_segment_wavefront_offset 0
		.amdhsa_system_sgpr_workgroup_id_x 1
		.amdhsa_system_sgpr_workgroup_id_y 0
		.amdhsa_system_sgpr_workgroup_id_z 0
		.amdhsa_system_sgpr_workgroup_info 0
		.amdhsa_system_vgpr_workitem_id 0
		.amdhsa_next_free_vgpr 83
		.amdhsa_next_free_sgpr 61
		.amdhsa_reserve_vcc 1
		.amdhsa_reserve_flat_scratch 0
		.amdhsa_float_round_mode_32 0
		.amdhsa_float_round_mode_16_64 0
		.amdhsa_float_denorm_mode_32 3
		.amdhsa_float_denorm_mode_16_64 3
		.amdhsa_dx10_clamp 1
		.amdhsa_ieee_mode 1
		.amdhsa_fp16_overflow 0
		.amdhsa_exception_fp_ieee_invalid_op 0
		.amdhsa_exception_fp_denorm_src 0
		.amdhsa_exception_fp_ieee_div_zero 0
		.amdhsa_exception_fp_ieee_overflow 0
		.amdhsa_exception_fp_ieee_underflow 0
		.amdhsa_exception_fp_ieee_inexact 0
		.amdhsa_exception_int_div_zero 0
	.end_amdhsa_kernel
	.section	.text._Z11rank_kernelIxLj4ELb0EL18RadixRankAlgorithm1ELj128ELj16ELj10EEvPKT_Pi,"axG",@progbits,_Z11rank_kernelIxLj4ELb0EL18RadixRankAlgorithm1ELj128ELj16ELj10EEvPKT_Pi,comdat
.Lfunc_end100:
	.size	_Z11rank_kernelIxLj4ELb0EL18RadixRankAlgorithm1ELj128ELj16ELj10EEvPKT_Pi, .Lfunc_end100-_Z11rank_kernelIxLj4ELb0EL18RadixRankAlgorithm1ELj128ELj16ELj10EEvPKT_Pi
                                        ; -- End function
	.set _Z11rank_kernelIxLj4ELb0EL18RadixRankAlgorithm1ELj128ELj16ELj10EEvPKT_Pi.num_vgpr, 83
	.set _Z11rank_kernelIxLj4ELb0EL18RadixRankAlgorithm1ELj128ELj16ELj10EEvPKT_Pi.num_agpr, 0
	.set _Z11rank_kernelIxLj4ELb0EL18RadixRankAlgorithm1ELj128ELj16ELj10EEvPKT_Pi.numbered_sgpr, 32
	.set _Z11rank_kernelIxLj4ELb0EL18RadixRankAlgorithm1ELj128ELj16ELj10EEvPKT_Pi.num_named_barrier, 0
	.set _Z11rank_kernelIxLj4ELb0EL18RadixRankAlgorithm1ELj128ELj16ELj10EEvPKT_Pi.private_seg_size, 0
	.set _Z11rank_kernelIxLj4ELb0EL18RadixRankAlgorithm1ELj128ELj16ELj10EEvPKT_Pi.uses_vcc, 1
	.set _Z11rank_kernelIxLj4ELb0EL18RadixRankAlgorithm1ELj128ELj16ELj10EEvPKT_Pi.uses_flat_scratch, 0
	.set _Z11rank_kernelIxLj4ELb0EL18RadixRankAlgorithm1ELj128ELj16ELj10EEvPKT_Pi.has_dyn_sized_stack, 0
	.set _Z11rank_kernelIxLj4ELb0EL18RadixRankAlgorithm1ELj128ELj16ELj10EEvPKT_Pi.has_recursion, 0
	.set _Z11rank_kernelIxLj4ELb0EL18RadixRankAlgorithm1ELj128ELj16ELj10EEvPKT_Pi.has_indirect_call, 0
	.section	.AMDGPU.csdata,"",@progbits
; Kernel info:
; codeLenInByte = 2304
; TotalNumSgprs: 36
; NumVgprs: 83
; ScratchSize: 0
; MemoryBound: 0
; FloatMode: 240
; IeeeMode: 1
; LDSByteSize: 4104 bytes/workgroup (compile time only)
; SGPRBlocks: 8
; VGPRBlocks: 20
; NumSGPRsForWavesPerEU: 65
; NumVGPRsForWavesPerEU: 83
; Occupancy: 3
; WaveLimiterHint : 0
; COMPUTE_PGM_RSRC2:SCRATCH_EN: 0
; COMPUTE_PGM_RSRC2:USER_SGPR: 6
; COMPUTE_PGM_RSRC2:TRAP_HANDLER: 0
; COMPUTE_PGM_RSRC2:TGID_X_EN: 1
; COMPUTE_PGM_RSRC2:TGID_Y_EN: 0
; COMPUTE_PGM_RSRC2:TGID_Z_EN: 0
; COMPUTE_PGM_RSRC2:TIDIG_COMP_CNT: 0
	.section	.text._Z11rank_kernelIxLj4ELb0EL18RadixRankAlgorithm2ELj128ELj16ELj10EEvPKT_Pi,"axG",@progbits,_Z11rank_kernelIxLj4ELb0EL18RadixRankAlgorithm2ELj128ELj16ELj10EEvPKT_Pi,comdat
	.protected	_Z11rank_kernelIxLj4ELb0EL18RadixRankAlgorithm2ELj128ELj16ELj10EEvPKT_Pi ; -- Begin function _Z11rank_kernelIxLj4ELb0EL18RadixRankAlgorithm2ELj128ELj16ELj10EEvPKT_Pi
	.globl	_Z11rank_kernelIxLj4ELb0EL18RadixRankAlgorithm2ELj128ELj16ELj10EEvPKT_Pi
	.p2align	8
	.type	_Z11rank_kernelIxLj4ELb0EL18RadixRankAlgorithm2ELj128ELj16ELj10EEvPKT_Pi,@function
_Z11rank_kernelIxLj4ELb0EL18RadixRankAlgorithm2ELj128ELj16ELj10EEvPKT_Pi: ; @_Z11rank_kernelIxLj4ELb0EL18RadixRankAlgorithm2ELj128ELj16ELj10EEvPKT_Pi
; %bb.0:
	s_load_dwordx4 s[24:27], s[4:5], 0x0
	s_load_dword s20, s[4:5], 0x1c
	s_lshl_b32 s28, s6, 11
	s_mov_b32 s29, 0
	s_lshl_b64 s[0:1], s[28:29], 3
	s_waitcnt lgkmcnt(0)
	s_add_u32 s0, s24, s0
	s_addc_u32 s1, s25, s1
	v_lshlrev_b32_e32 v35, 7, v0
	global_load_dwordx4 v[3:6], v35, s[0:1]
	global_load_dwordx4 v[7:10], v35, s[0:1] offset:16
	global_load_dwordx4 v[11:14], v35, s[0:1] offset:32
	global_load_dwordx4 v[15:18], v35, s[0:1] offset:48
	global_load_dwordx4 v[19:22], v35, s[0:1] offset:64
	global_load_dwordx4 v[23:26], v35, s[0:1] offset:80
	global_load_dwordx4 v[27:30], v35, s[0:1] offset:96
	global_load_dwordx4 v[31:34], v35, s[0:1] offset:112
	v_mbcnt_lo_u32_b32 v36, -1, 0
	v_mbcnt_hi_u32_b32 v36, -1, v36
	s_lshr_b32 s21, s20, 16
	v_or_b32_e32 v38, 63, v0
	v_subrev_co_u32_e64 v41, s[4:5], 1, v36
	v_and_b32_e32 v42, 64, v36
	s_and_b32 s20, s20, 0xffff
	v_mad_u32_u24 v1, v2, s21, v1
	v_lshlrev_b32_e32 v35, 4, v0
	v_lshlrev_b32_e32 v37, 2, v0
	v_cmp_gt_u32_e32 vcc, 2, v0
	v_cmp_lt_u32_e64 s[0:1], 63, v0
	v_lshrrev_b32_e32 v39, 4, v0
	v_cmp_eq_u32_e64 s[2:3], v0, v38
	v_cmp_lt_i32_e64 s[18:19], v41, v42
	v_mad_u32_u24 v0, v1, s20, v0
	v_and_b32_e32 v40, 15, v36
	v_and_b32_e32 v38, 16, v36
	v_cmp_lt_u32_e64 s[6:7], 31, v36
	v_and_b32_e32 v43, 1, v36
	v_and_b32_e32 v39, 4, v39
	v_cndmask_b32_e64 v36, v41, v36, s[18:19]
	v_lshrrev_b32_e32 v0, 4, v0
	s_mov_b32 s30, s29
	v_cmp_eq_u32_e64 s[8:9], 0, v40
	v_cmp_lt_u32_e64 s[10:11], 1, v40
	v_cmp_lt_u32_e64 s[12:13], 3, v40
	;; [unrolled: 1-line block ×3, first 2 shown]
	v_cmp_eq_u32_e64 s[16:17], 0, v38
	v_cmp_eq_u32_e64 s[18:19], 0, v43
	v_add_u32_e32 v40, -4, v39
	v_lshlrev_b32_e32 v41, 2, v36
	v_and_b32_e32 v36, 0xffffffc, v0
	v_mov_b32_e32 v0, 0
	s_waitcnt vmcnt(7)
	v_xor_b32_e32 v4, 0x80000000, v4
	v_xor_b32_e32 v6, 0x80000000, v6
	s_waitcnt vmcnt(6)
	v_xor_b32_e32 v8, 0x80000000, v8
	v_xor_b32_e32 v10, 0x80000000, v10
	;; [unrolled: 3-line block ×8, first 2 shown]
	s_branch .LBB101_2
.LBB101_1:                              ;   in Loop: Header=BB101_2 Depth=1
	s_add_i32 s30, s30, 1
	s_cmp_eq_u32 s30, 10
	s_cbranch_scc1 .LBB101_42
.LBB101_2:                              ; =>This Loop Header: Depth=1
                                        ;     Child Loop BB101_4 Depth 2
	s_mov_b64 s[24:25], 60
	s_mov_b32 s31, -4
	s_branch .LBB101_4
.LBB101_3:                              ;   in Loop: Header=BB101_4 Depth=2
	s_or_b64 exec, exec, s[20:21]
	s_waitcnt lgkmcnt(0)
	v_add_u32_e32 v1, v2, v1
	ds_bpermute_b32 v1, v41, v1
	s_add_i32 s31, s31, 4
	s_add_u32 s24, s24, -4
	s_addc_u32 s25, s25, -1
	s_cmp_lt_u32 s31, 60
	s_waitcnt lgkmcnt(0)
	v_cndmask_b32_e64 v1, v1, v2, s[4:5]
	ds_write_b32 v37, v1 offset:8
	s_waitcnt lgkmcnt(0)
	s_barrier
	s_cbranch_scc0 .LBB101_1
.LBB101_4:                              ;   Parent Loop BB101_2 Depth=1
                                        ; =>  This Inner Loop Header: Depth=2
	v_lshlrev_b64 v[42:43], s24, v[3:4]
	ds_write_b32 v37, v0 offset:8
	v_bfe_u32 v1, v43, 28, 1
	v_add_co_u32_e64 v44, s[20:21], -1, v1
	v_addc_co_u32_e64 v45, s[20:21], 0, -1, s[20:21]
	v_cmp_ne_u32_e64 s[20:21], 0, v1
	v_lshrrev_b32_e32 v2, 28, v43
	v_xor_b32_e32 v1, s21, v45
	v_and_b32_e32 v45, exec_hi, v1
	v_lshlrev_b32_e32 v1, 30, v2
	v_xor_b32_e32 v44, s20, v44
	v_cmp_gt_i64_e64 s[20:21], 0, v[0:1]
	v_not_b32_e32 v1, v1
	v_ashrrev_i32_e32 v1, 31, v1
	v_and_b32_e32 v44, exec_lo, v44
	v_xor_b32_e32 v46, s21, v1
	v_xor_b32_e32 v1, s20, v1
	v_and_b32_e32 v44, v44, v1
	v_lshlrev_b32_e32 v1, 29, v2
	v_cmp_gt_i64_e64 s[20:21], 0, v[0:1]
	v_not_b32_e32 v1, v1
	v_ashrrev_i32_e32 v1, 31, v1
	v_mul_u32_u24_e32 v38, 12, v2
	v_xor_b32_e32 v2, s21, v1
	v_xor_b32_e32 v1, s20, v1
	v_cmp_gt_i64_e64 s[20:21], 0, v[42:43]
	v_not_b32_e32 v42, v43
	v_ashrrev_i32_e32 v42, 31, v42
	v_and_b32_e32 v45, v45, v46
	v_and_b32_e32 v1, v44, v1
	v_xor_b32_e32 v43, s21, v42
	v_xor_b32_e32 v42, s20, v42
	v_and_b32_e32 v2, v45, v2
	v_and_b32_e32 v1, v1, v42
	;; [unrolled: 1-line block ×3, first 2 shown]
	v_mbcnt_lo_u32_b32 v42, v1, 0
	v_mbcnt_hi_u32_b32 v42, v2, v42
	v_cmp_ne_u64_e64 s[20:21], 0, v[1:2]
	v_cmp_eq_u32_e64 s[22:23], 0, v42
	s_and_b64 s[22:23], s[20:21], s[22:23]
	s_waitcnt lgkmcnt(0)
	s_barrier
	; wave barrier
	s_and_saveexec_b64 s[20:21], s[22:23]
; %bb.5:                                ;   in Loop: Header=BB101_4 Depth=2
	v_bcnt_u32_b32 v1, v1, 0
	v_bcnt_u32_b32 v1, v2, v1
	v_add_u32_e32 v2, v36, v38
	ds_write_b32 v2, v1 offset:8
; %bb.6:                                ;   in Loop: Header=BB101_4 Depth=2
	s_or_b64 exec, exec, s[20:21]
	v_lshlrev_b64 v[45:46], s24, v[5:6]
	v_lshrrev_b32_e32 v2, 28, v46
	v_mad_u32_u24 v1, v2, 12, v36
	; wave barrier
	ds_read_b32 v43, v1 offset:8
	v_bfe_u32 v1, v46, 28, 1
	v_add_co_u32_e64 v47, s[20:21], -1, v1
	v_addc_co_u32_e64 v48, s[20:21], 0, -1, s[20:21]
	v_cmp_ne_u32_e64 s[20:21], 0, v1
	v_xor_b32_e32 v1, s21, v48
	v_and_b32_e32 v48, exec_hi, v1
	v_lshlrev_b32_e32 v1, 30, v2
	v_xor_b32_e32 v47, s20, v47
	v_cmp_gt_i64_e64 s[20:21], 0, v[0:1]
	v_not_b32_e32 v1, v1
	v_ashrrev_i32_e32 v1, 31, v1
	v_and_b32_e32 v47, exec_lo, v47
	v_xor_b32_e32 v49, s21, v1
	v_xor_b32_e32 v1, s20, v1
	v_and_b32_e32 v47, v47, v1
	v_lshlrev_b32_e32 v1, 29, v2
	v_cmp_gt_i64_e64 s[20:21], 0, v[0:1]
	v_not_b32_e32 v1, v1
	v_ashrrev_i32_e32 v1, 31, v1
	v_mul_u32_u24_e32 v44, 12, v2
	v_xor_b32_e32 v2, s21, v1
	v_xor_b32_e32 v1, s20, v1
	v_cmp_gt_i64_e64 s[20:21], 0, v[45:46]
	v_not_b32_e32 v45, v46
	v_ashrrev_i32_e32 v45, 31, v45
	v_and_b32_e32 v48, v48, v49
	v_and_b32_e32 v1, v47, v1
	v_xor_b32_e32 v46, s21, v45
	v_xor_b32_e32 v45, s20, v45
	v_and_b32_e32 v2, v48, v2
	v_and_b32_e32 v1, v1, v45
	;; [unrolled: 1-line block ×3, first 2 shown]
	v_mbcnt_lo_u32_b32 v45, v1, 0
	v_mbcnt_hi_u32_b32 v45, v2, v45
	v_cmp_ne_u64_e64 s[20:21], 0, v[1:2]
	v_cmp_eq_u32_e64 s[22:23], 0, v45
	s_and_b64 s[22:23], s[20:21], s[22:23]
	; wave barrier
	s_and_saveexec_b64 s[20:21], s[22:23]
	s_cbranch_execz .LBB101_8
; %bb.7:                                ;   in Loop: Header=BB101_4 Depth=2
	v_bcnt_u32_b32 v1, v1, 0
	v_bcnt_u32_b32 v1, v2, v1
	s_waitcnt lgkmcnt(0)
	v_add_u32_e32 v1, v43, v1
	v_add_u32_e32 v2, v36, v44
	ds_write_b32 v2, v1 offset:8
.LBB101_8:                              ;   in Loop: Header=BB101_4 Depth=2
	s_or_b64 exec, exec, s[20:21]
	v_lshlrev_b64 v[48:49], s24, v[7:8]
	v_lshrrev_b32_e32 v2, 28, v49
	v_mad_u32_u24 v1, v2, 12, v36
	; wave barrier
	ds_read_b32 v46, v1 offset:8
	v_bfe_u32 v1, v49, 28, 1
	v_add_co_u32_e64 v50, s[20:21], -1, v1
	v_addc_co_u32_e64 v51, s[20:21], 0, -1, s[20:21]
	v_cmp_ne_u32_e64 s[20:21], 0, v1
	v_xor_b32_e32 v1, s21, v51
	v_and_b32_e32 v51, exec_hi, v1
	v_lshlrev_b32_e32 v1, 30, v2
	v_xor_b32_e32 v50, s20, v50
	v_cmp_gt_i64_e64 s[20:21], 0, v[0:1]
	v_not_b32_e32 v1, v1
	v_ashrrev_i32_e32 v1, 31, v1
	v_and_b32_e32 v50, exec_lo, v50
	v_xor_b32_e32 v52, s21, v1
	v_xor_b32_e32 v1, s20, v1
	v_and_b32_e32 v50, v50, v1
	v_lshlrev_b32_e32 v1, 29, v2
	v_cmp_gt_i64_e64 s[20:21], 0, v[0:1]
	v_not_b32_e32 v1, v1
	v_ashrrev_i32_e32 v1, 31, v1
	v_mul_u32_u24_e32 v47, 12, v2
	v_xor_b32_e32 v2, s21, v1
	v_xor_b32_e32 v1, s20, v1
	v_cmp_gt_i64_e64 s[20:21], 0, v[48:49]
	v_not_b32_e32 v48, v49
	v_ashrrev_i32_e32 v48, 31, v48
	v_and_b32_e32 v51, v51, v52
	v_and_b32_e32 v1, v50, v1
	v_xor_b32_e32 v49, s21, v48
	v_xor_b32_e32 v48, s20, v48
	v_and_b32_e32 v2, v51, v2
	v_and_b32_e32 v1, v1, v48
	;; [unrolled: 1-line block ×3, first 2 shown]
	v_mbcnt_lo_u32_b32 v48, v1, 0
	v_mbcnt_hi_u32_b32 v48, v2, v48
	v_cmp_ne_u64_e64 s[20:21], 0, v[1:2]
	v_cmp_eq_u32_e64 s[22:23], 0, v48
	s_and_b64 s[22:23], s[20:21], s[22:23]
	; wave barrier
	s_and_saveexec_b64 s[20:21], s[22:23]
	s_cbranch_execz .LBB101_10
; %bb.9:                                ;   in Loop: Header=BB101_4 Depth=2
	v_bcnt_u32_b32 v1, v1, 0
	v_bcnt_u32_b32 v1, v2, v1
	s_waitcnt lgkmcnt(0)
	v_add_u32_e32 v1, v46, v1
	v_add_u32_e32 v2, v36, v47
	ds_write_b32 v2, v1 offset:8
.LBB101_10:                             ;   in Loop: Header=BB101_4 Depth=2
	s_or_b64 exec, exec, s[20:21]
	v_lshlrev_b64 v[51:52], s24, v[9:10]
	v_lshrrev_b32_e32 v2, 28, v52
	v_mad_u32_u24 v1, v2, 12, v36
	; wave barrier
	ds_read_b32 v49, v1 offset:8
	v_bfe_u32 v1, v52, 28, 1
	v_add_co_u32_e64 v53, s[20:21], -1, v1
	v_addc_co_u32_e64 v54, s[20:21], 0, -1, s[20:21]
	v_cmp_ne_u32_e64 s[20:21], 0, v1
	v_xor_b32_e32 v1, s21, v54
	v_and_b32_e32 v54, exec_hi, v1
	v_lshlrev_b32_e32 v1, 30, v2
	v_xor_b32_e32 v53, s20, v53
	v_cmp_gt_i64_e64 s[20:21], 0, v[0:1]
	v_not_b32_e32 v1, v1
	v_ashrrev_i32_e32 v1, 31, v1
	v_and_b32_e32 v53, exec_lo, v53
	v_xor_b32_e32 v55, s21, v1
	v_xor_b32_e32 v1, s20, v1
	v_and_b32_e32 v53, v53, v1
	v_lshlrev_b32_e32 v1, 29, v2
	v_cmp_gt_i64_e64 s[20:21], 0, v[0:1]
	v_not_b32_e32 v1, v1
	v_ashrrev_i32_e32 v1, 31, v1
	v_mul_u32_u24_e32 v50, 12, v2
	v_xor_b32_e32 v2, s21, v1
	v_xor_b32_e32 v1, s20, v1
	v_cmp_gt_i64_e64 s[20:21], 0, v[51:52]
	v_not_b32_e32 v51, v52
	v_ashrrev_i32_e32 v51, 31, v51
	v_and_b32_e32 v54, v54, v55
	v_and_b32_e32 v1, v53, v1
	v_xor_b32_e32 v52, s21, v51
	v_xor_b32_e32 v51, s20, v51
	v_and_b32_e32 v2, v54, v2
	v_and_b32_e32 v1, v1, v51
	v_and_b32_e32 v2, v2, v52
	v_mbcnt_lo_u32_b32 v51, v1, 0
	v_mbcnt_hi_u32_b32 v51, v2, v51
	v_cmp_ne_u64_e64 s[20:21], 0, v[1:2]
	v_cmp_eq_u32_e64 s[22:23], 0, v51
	s_and_b64 s[22:23], s[20:21], s[22:23]
	; wave barrier
	s_and_saveexec_b64 s[20:21], s[22:23]
	s_cbranch_execz .LBB101_12
; %bb.11:                               ;   in Loop: Header=BB101_4 Depth=2
	v_bcnt_u32_b32 v1, v1, 0
	v_bcnt_u32_b32 v1, v2, v1
	s_waitcnt lgkmcnt(0)
	v_add_u32_e32 v1, v49, v1
	v_add_u32_e32 v2, v36, v50
	ds_write_b32 v2, v1 offset:8
.LBB101_12:                             ;   in Loop: Header=BB101_4 Depth=2
	s_or_b64 exec, exec, s[20:21]
	v_lshlrev_b64 v[54:55], s24, v[11:12]
	v_lshrrev_b32_e32 v2, 28, v55
	v_mad_u32_u24 v1, v2, 12, v36
	; wave barrier
	ds_read_b32 v52, v1 offset:8
	v_bfe_u32 v1, v55, 28, 1
	v_add_co_u32_e64 v56, s[20:21], -1, v1
	v_addc_co_u32_e64 v57, s[20:21], 0, -1, s[20:21]
	v_cmp_ne_u32_e64 s[20:21], 0, v1
	v_xor_b32_e32 v1, s21, v57
	v_and_b32_e32 v57, exec_hi, v1
	v_lshlrev_b32_e32 v1, 30, v2
	v_xor_b32_e32 v56, s20, v56
	v_cmp_gt_i64_e64 s[20:21], 0, v[0:1]
	v_not_b32_e32 v1, v1
	v_ashrrev_i32_e32 v1, 31, v1
	v_and_b32_e32 v56, exec_lo, v56
	v_xor_b32_e32 v58, s21, v1
	v_xor_b32_e32 v1, s20, v1
	v_and_b32_e32 v56, v56, v1
	v_lshlrev_b32_e32 v1, 29, v2
	v_cmp_gt_i64_e64 s[20:21], 0, v[0:1]
	v_not_b32_e32 v1, v1
	v_ashrrev_i32_e32 v1, 31, v1
	v_mul_u32_u24_e32 v53, 12, v2
	v_xor_b32_e32 v2, s21, v1
	v_xor_b32_e32 v1, s20, v1
	v_cmp_gt_i64_e64 s[20:21], 0, v[54:55]
	v_not_b32_e32 v54, v55
	v_ashrrev_i32_e32 v54, 31, v54
	v_and_b32_e32 v57, v57, v58
	v_and_b32_e32 v1, v56, v1
	v_xor_b32_e32 v55, s21, v54
	v_xor_b32_e32 v54, s20, v54
	v_and_b32_e32 v2, v57, v2
	v_and_b32_e32 v1, v1, v54
	v_and_b32_e32 v2, v2, v55
	v_mbcnt_lo_u32_b32 v54, v1, 0
	v_mbcnt_hi_u32_b32 v54, v2, v54
	v_cmp_ne_u64_e64 s[20:21], 0, v[1:2]
	v_cmp_eq_u32_e64 s[22:23], 0, v54
	s_and_b64 s[22:23], s[20:21], s[22:23]
	; wave barrier
	s_and_saveexec_b64 s[20:21], s[22:23]
	s_cbranch_execz .LBB101_14
; %bb.13:                               ;   in Loop: Header=BB101_4 Depth=2
	v_bcnt_u32_b32 v1, v1, 0
	v_bcnt_u32_b32 v1, v2, v1
	s_waitcnt lgkmcnt(0)
	v_add_u32_e32 v1, v52, v1
	v_add_u32_e32 v2, v36, v53
	ds_write_b32 v2, v1 offset:8
.LBB101_14:                             ;   in Loop: Header=BB101_4 Depth=2
	;; [unrolled: 54-line block ×5, first 2 shown]
	s_or_b64 exec, exec, s[20:21]
	v_lshlrev_b64 v[67:68], s24, v[19:20]
	v_lshrrev_b32_e32 v2, 28, v68
	v_mad_u32_u24 v1, v2, 12, v36
	; wave barrier
	ds_read_b32 v64, v1 offset:8
	v_bfe_u32 v1, v68, 28, 1
	v_add_co_u32_e64 v65, s[20:21], -1, v1
	v_addc_co_u32_e64 v69, s[20:21], 0, -1, s[20:21]
	v_cmp_ne_u32_e64 s[20:21], 0, v1
	v_xor_b32_e32 v1, s21, v69
	v_and_b32_e32 v69, exec_hi, v1
	v_lshlrev_b32_e32 v1, 30, v2
	v_xor_b32_e32 v65, s20, v65
	v_cmp_gt_i64_e64 s[20:21], 0, v[0:1]
	v_not_b32_e32 v1, v1
	v_ashrrev_i32_e32 v1, 31, v1
	v_and_b32_e32 v65, exec_lo, v65
	v_xor_b32_e32 v70, s21, v1
	v_xor_b32_e32 v1, s20, v1
	v_and_b32_e32 v65, v65, v1
	v_lshlrev_b32_e32 v1, 29, v2
	v_cmp_gt_i64_e64 s[20:21], 0, v[0:1]
	v_not_b32_e32 v1, v1
	v_ashrrev_i32_e32 v1, 31, v1
	v_mul_u32_u24_e32 v66, 12, v2
	v_xor_b32_e32 v2, s21, v1
	v_xor_b32_e32 v1, s20, v1
	v_and_b32_e32 v1, v65, v1
	v_cmp_gt_i64_e64 s[20:21], 0, v[67:68]
	v_not_b32_e32 v65, v68
	v_ashrrev_i32_e32 v65, 31, v65
	v_and_b32_e32 v69, v69, v70
	v_xor_b32_e32 v67, s21, v65
	v_xor_b32_e32 v65, s20, v65
	v_and_b32_e32 v2, v69, v2
	v_and_b32_e32 v1, v1, v65
	v_and_b32_e32 v2, v2, v67
	v_mbcnt_lo_u32_b32 v65, v1, 0
	v_mbcnt_hi_u32_b32 v65, v2, v65
	v_cmp_ne_u64_e64 s[20:21], 0, v[1:2]
	v_cmp_eq_u32_e64 s[22:23], 0, v65
	s_and_b64 s[22:23], s[20:21], s[22:23]
	; wave barrier
	s_and_saveexec_b64 s[20:21], s[22:23]
	s_cbranch_execz .LBB101_22
; %bb.21:                               ;   in Loop: Header=BB101_4 Depth=2
	v_bcnt_u32_b32 v1, v1, 0
	v_bcnt_u32_b32 v1, v2, v1
	s_waitcnt lgkmcnt(0)
	v_add_u32_e32 v1, v64, v1
	v_add_u32_e32 v2, v36, v66
	ds_write_b32 v2, v1 offset:8
.LBB101_22:                             ;   in Loop: Header=BB101_4 Depth=2
	s_or_b64 exec, exec, s[20:21]
	v_lshlrev_b64 v[69:70], s24, v[21:22]
	v_lshrrev_b32_e32 v2, 28, v70
	v_mad_u32_u24 v1, v2, 12, v36
	; wave barrier
	ds_read_b32 v67, v1 offset:8
	v_bfe_u32 v1, v70, 28, 1
	v_add_co_u32_e64 v71, s[20:21], -1, v1
	v_addc_co_u32_e64 v72, s[20:21], 0, -1, s[20:21]
	v_cmp_ne_u32_e64 s[20:21], 0, v1
	v_xor_b32_e32 v1, s21, v72
	v_and_b32_e32 v72, exec_hi, v1
	v_lshlrev_b32_e32 v1, 30, v2
	v_xor_b32_e32 v71, s20, v71
	v_cmp_gt_i64_e64 s[20:21], 0, v[0:1]
	v_not_b32_e32 v1, v1
	v_ashrrev_i32_e32 v1, 31, v1
	v_and_b32_e32 v71, exec_lo, v71
	v_xor_b32_e32 v73, s21, v1
	v_xor_b32_e32 v1, s20, v1
	v_and_b32_e32 v71, v71, v1
	v_lshlrev_b32_e32 v1, 29, v2
	v_cmp_gt_i64_e64 s[20:21], 0, v[0:1]
	v_not_b32_e32 v1, v1
	v_ashrrev_i32_e32 v1, 31, v1
	v_mul_u32_u24_e32 v68, 12, v2
	v_xor_b32_e32 v2, s21, v1
	v_xor_b32_e32 v1, s20, v1
	v_cmp_gt_i64_e64 s[20:21], 0, v[69:70]
	v_not_b32_e32 v69, v70
	v_ashrrev_i32_e32 v69, 31, v69
	v_and_b32_e32 v72, v72, v73
	v_and_b32_e32 v1, v71, v1
	v_xor_b32_e32 v70, s21, v69
	v_xor_b32_e32 v69, s20, v69
	v_and_b32_e32 v2, v72, v2
	v_and_b32_e32 v1, v1, v69
	v_and_b32_e32 v2, v2, v70
	v_mbcnt_lo_u32_b32 v69, v1, 0
	v_mbcnt_hi_u32_b32 v69, v2, v69
	v_cmp_ne_u64_e64 s[20:21], 0, v[1:2]
	v_cmp_eq_u32_e64 s[22:23], 0, v69
	s_and_b64 s[22:23], s[20:21], s[22:23]
	; wave barrier
	s_and_saveexec_b64 s[20:21], s[22:23]
	s_cbranch_execz .LBB101_24
; %bb.23:                               ;   in Loop: Header=BB101_4 Depth=2
	v_bcnt_u32_b32 v1, v1, 0
	v_bcnt_u32_b32 v1, v2, v1
	s_waitcnt lgkmcnt(0)
	v_add_u32_e32 v1, v67, v1
	v_add_u32_e32 v2, v36, v68
	ds_write_b32 v2, v1 offset:8
.LBB101_24:                             ;   in Loop: Header=BB101_4 Depth=2
	s_or_b64 exec, exec, s[20:21]
	v_lshlrev_b64 v[72:73], s24, v[23:24]
	v_lshrrev_b32_e32 v2, 28, v73
	v_mad_u32_u24 v1, v2, 12, v36
	; wave barrier
	ds_read_b32 v70, v1 offset:8
	v_bfe_u32 v1, v73, 28, 1
	v_add_co_u32_e64 v74, s[20:21], -1, v1
	v_addc_co_u32_e64 v75, s[20:21], 0, -1, s[20:21]
	v_cmp_ne_u32_e64 s[20:21], 0, v1
	v_xor_b32_e32 v1, s21, v75
	v_and_b32_e32 v75, exec_hi, v1
	v_lshlrev_b32_e32 v1, 30, v2
	v_xor_b32_e32 v74, s20, v74
	v_cmp_gt_i64_e64 s[20:21], 0, v[0:1]
	v_not_b32_e32 v1, v1
	v_ashrrev_i32_e32 v1, 31, v1
	v_and_b32_e32 v74, exec_lo, v74
	v_xor_b32_e32 v76, s21, v1
	v_xor_b32_e32 v1, s20, v1
	v_and_b32_e32 v74, v74, v1
	v_lshlrev_b32_e32 v1, 29, v2
	v_cmp_gt_i64_e64 s[20:21], 0, v[0:1]
	v_not_b32_e32 v1, v1
	v_ashrrev_i32_e32 v1, 31, v1
	v_mul_u32_u24_e32 v71, 12, v2
	v_xor_b32_e32 v2, s21, v1
	v_xor_b32_e32 v1, s20, v1
	v_cmp_gt_i64_e64 s[20:21], 0, v[72:73]
	v_not_b32_e32 v72, v73
	v_ashrrev_i32_e32 v72, 31, v72
	v_and_b32_e32 v75, v75, v76
	;; [unrolled: 54-line block ×7, first 2 shown]
	v_and_b32_e32 v1, v89, v1
	v_xor_b32_e32 v88, s21, v87
	v_xor_b32_e32 v87, s20, v87
	v_and_b32_e32 v2, v90, v2
	v_and_b32_e32 v1, v1, v87
	;; [unrolled: 1-line block ×3, first 2 shown]
	v_mbcnt_lo_u32_b32 v87, v1, 0
	v_mbcnt_hi_u32_b32 v87, v2, v87
	v_cmp_ne_u64_e64 s[20:21], 0, v[1:2]
	v_cmp_eq_u32_e64 s[22:23], 0, v87
	s_and_b64 s[22:23], s[20:21], s[22:23]
	; wave barrier
	s_and_saveexec_b64 s[20:21], s[22:23]
	s_cbranch_execz .LBB101_36
; %bb.35:                               ;   in Loop: Header=BB101_4 Depth=2
	v_bcnt_u32_b32 v1, v1, 0
	v_bcnt_u32_b32 v1, v2, v1
	s_waitcnt lgkmcnt(0)
	v_add_u32_e32 v1, v85, v1
	v_add_u32_e32 v2, v36, v86
	ds_write_b32 v2, v1 offset:8
.LBB101_36:                             ;   in Loop: Header=BB101_4 Depth=2
	s_or_b64 exec, exec, s[20:21]
	; wave barrier
	s_waitcnt lgkmcnt(0)
	s_barrier
	ds_read_b32 v1, v37 offset:8
	s_waitcnt lgkmcnt(0)
	s_nop 0
	v_mov_b32_dpp v2, v1 row_shr:1 row_mask:0xf bank_mask:0xf
	v_cndmask_b32_e64 v2, v2, 0, s[8:9]
	v_add_u32_e32 v1, v2, v1
	s_nop 1
	v_mov_b32_dpp v2, v1 row_shr:2 row_mask:0xf bank_mask:0xf
	v_cndmask_b32_e64 v2, 0, v2, s[10:11]
	v_add_u32_e32 v1, v1, v2
	;; [unrolled: 4-line block ×4, first 2 shown]
	s_nop 1
	v_mov_b32_dpp v2, v1 row_bcast:15 row_mask:0xf bank_mask:0xf
	v_cndmask_b32_e64 v2, v2, 0, s[16:17]
	v_add_u32_e32 v1, v1, v2
	s_nop 1
	v_mov_b32_dpp v2, v1 row_bcast:31 row_mask:0xf bank_mask:0xf
	v_cndmask_b32_e64 v2, 0, v2, s[6:7]
	v_add_u32_e32 v1, v1, v2
	s_and_saveexec_b64 s[20:21], s[2:3]
; %bb.37:                               ;   in Loop: Header=BB101_4 Depth=2
	ds_write_b32 v39, v1
; %bb.38:                               ;   in Loop: Header=BB101_4 Depth=2
	s_or_b64 exec, exec, s[20:21]
	s_waitcnt lgkmcnt(0)
	s_barrier
	s_and_saveexec_b64 s[20:21], vcc
	s_cbranch_execz .LBB101_40
; %bb.39:                               ;   in Loop: Header=BB101_4 Depth=2
	ds_read_b32 v2, v37
	s_waitcnt lgkmcnt(0)
	s_nop 0
	v_mov_b32_dpp v88, v2 row_shr:1 row_mask:0xf bank_mask:0xf
	v_cndmask_b32_e64 v88, v88, 0, s[18:19]
	v_add_u32_e32 v2, v88, v2
	ds_write_b32 v37, v2
.LBB101_40:                             ;   in Loop: Header=BB101_4 Depth=2
	s_or_b64 exec, exec, s[20:21]
	v_mov_b32_e32 v2, 0
	s_waitcnt lgkmcnt(0)
	s_barrier
	s_and_saveexec_b64 s[20:21], s[0:1]
	s_cbranch_execz .LBB101_3
; %bb.41:                               ;   in Loop: Header=BB101_4 Depth=2
	ds_read_b32 v2, v40
	s_branch .LBB101_3
.LBB101_42:
	v_add_u32_e32 v0, v36, v86
	v_add_u32_e32 v1, v36, v83
	;; [unrolled: 1-line block ×8, first 2 shown]
	ds_read_b32 v0, v0 offset:8
	ds_read_b32 v1, v1 offset:8
	;; [unrolled: 1-line block ×8, first 2 shown]
	s_waitcnt lgkmcnt(7)
	v_add3_u32 v3, v87, v85, v0
	s_waitcnt lgkmcnt(6)
	v_add3_u32 v2, v84, v82, v1
	;; [unrolled: 2-line block ×5, first 2 shown]
	v_add_u32_e32 v4, v36, v62
	v_add_u32_e32 v8, v36, v59
	;; [unrolled: 1-line block ×5, first 2 shown]
	s_waitcnt lgkmcnt(2)
	v_add3_u32 v6, v72, v70, v5
	s_waitcnt lgkmcnt(1)
	v_add3_u32 v5, v69, v67, v10
	v_add_u32_e32 v10, v36, v53
	v_add_u32_e32 v14, v36, v44
	v_add_u32_e32 v15, v36, v38
	ds_read_b32 v16, v4 offset:8
	ds_read_b32 v8, v8 offset:8
	;; [unrolled: 1-line block ×8, first 2 shown]
	s_lshl_b64 s[0:1], s[28:29], 2
	s_add_u32 s0, s26, s0
	s_waitcnt lgkmcnt(8)
	v_add3_u32 v4, v65, v64, v11
	s_waitcnt lgkmcnt(7)
	v_add3_u32 v11, v63, v61, v16
	;; [unrolled: 2-line block ×5, first 2 shown]
	s_waitcnt lgkmcnt(0)
	v_add_u32_e32 v12, v19, v42
	s_addc_u32 s1, s27, s1
	v_lshlrev_b32_e32 v16, 2, v35
	v_add3_u32 v10, v60, v58, v8
	v_add3_u32 v9, v57, v55, v9
	;; [unrolled: 1-line block ×3, first 2 shown]
	global_store_dwordx4 v16, v[12:15], s[0:1]
	global_store_dwordx4 v16, v[8:11], s[0:1] offset:16
	global_store_dwordx4 v16, v[4:7], s[0:1] offset:32
	;; [unrolled: 1-line block ×3, first 2 shown]
	s_endpgm
	.section	.rodata,"a",@progbits
	.p2align	6, 0x0
	.amdhsa_kernel _Z11rank_kernelIxLj4ELb0EL18RadixRankAlgorithm2ELj128ELj16ELj10EEvPKT_Pi
		.amdhsa_group_segment_fixed_size 520
		.amdhsa_private_segment_fixed_size 0
		.amdhsa_kernarg_size 272
		.amdhsa_user_sgpr_count 6
		.amdhsa_user_sgpr_private_segment_buffer 1
		.amdhsa_user_sgpr_dispatch_ptr 0
		.amdhsa_user_sgpr_queue_ptr 0
		.amdhsa_user_sgpr_kernarg_segment_ptr 1
		.amdhsa_user_sgpr_dispatch_id 0
		.amdhsa_user_sgpr_flat_scratch_init 0
		.amdhsa_user_sgpr_private_segment_size 0
		.amdhsa_uses_dynamic_stack 0
		.amdhsa_system_sgpr_private_segment_wavefront_offset 0
		.amdhsa_system_sgpr_workgroup_id_x 1
		.amdhsa_system_sgpr_workgroup_id_y 0
		.amdhsa_system_sgpr_workgroup_id_z 0
		.amdhsa_system_sgpr_workgroup_info 0
		.amdhsa_system_vgpr_workitem_id 2
		.amdhsa_next_free_vgpr 92
		.amdhsa_next_free_sgpr 32
		.amdhsa_reserve_vcc 1
		.amdhsa_reserve_flat_scratch 0
		.amdhsa_float_round_mode_32 0
		.amdhsa_float_round_mode_16_64 0
		.amdhsa_float_denorm_mode_32 3
		.amdhsa_float_denorm_mode_16_64 3
		.amdhsa_dx10_clamp 1
		.amdhsa_ieee_mode 1
		.amdhsa_fp16_overflow 0
		.amdhsa_exception_fp_ieee_invalid_op 0
		.amdhsa_exception_fp_denorm_src 0
		.amdhsa_exception_fp_ieee_div_zero 0
		.amdhsa_exception_fp_ieee_overflow 0
		.amdhsa_exception_fp_ieee_underflow 0
		.amdhsa_exception_fp_ieee_inexact 0
		.amdhsa_exception_int_div_zero 0
	.end_amdhsa_kernel
	.section	.text._Z11rank_kernelIxLj4ELb0EL18RadixRankAlgorithm2ELj128ELj16ELj10EEvPKT_Pi,"axG",@progbits,_Z11rank_kernelIxLj4ELb0EL18RadixRankAlgorithm2ELj128ELj16ELj10EEvPKT_Pi,comdat
.Lfunc_end101:
	.size	_Z11rank_kernelIxLj4ELb0EL18RadixRankAlgorithm2ELj128ELj16ELj10EEvPKT_Pi, .Lfunc_end101-_Z11rank_kernelIxLj4ELb0EL18RadixRankAlgorithm2ELj128ELj16ELj10EEvPKT_Pi
                                        ; -- End function
	.set _Z11rank_kernelIxLj4ELb0EL18RadixRankAlgorithm2ELj128ELj16ELj10EEvPKT_Pi.num_vgpr, 92
	.set _Z11rank_kernelIxLj4ELb0EL18RadixRankAlgorithm2ELj128ELj16ELj10EEvPKT_Pi.num_agpr, 0
	.set _Z11rank_kernelIxLj4ELb0EL18RadixRankAlgorithm2ELj128ELj16ELj10EEvPKT_Pi.numbered_sgpr, 32
	.set _Z11rank_kernelIxLj4ELb0EL18RadixRankAlgorithm2ELj128ELj16ELj10EEvPKT_Pi.num_named_barrier, 0
	.set _Z11rank_kernelIxLj4ELb0EL18RadixRankAlgorithm2ELj128ELj16ELj10EEvPKT_Pi.private_seg_size, 0
	.set _Z11rank_kernelIxLj4ELb0EL18RadixRankAlgorithm2ELj128ELj16ELj10EEvPKT_Pi.uses_vcc, 1
	.set _Z11rank_kernelIxLj4ELb0EL18RadixRankAlgorithm2ELj128ELj16ELj10EEvPKT_Pi.uses_flat_scratch, 0
	.set _Z11rank_kernelIxLj4ELb0EL18RadixRankAlgorithm2ELj128ELj16ELj10EEvPKT_Pi.has_dyn_sized_stack, 0
	.set _Z11rank_kernelIxLj4ELb0EL18RadixRankAlgorithm2ELj128ELj16ELj10EEvPKT_Pi.has_recursion, 0
	.set _Z11rank_kernelIxLj4ELb0EL18RadixRankAlgorithm2ELj128ELj16ELj10EEvPKT_Pi.has_indirect_call, 0
	.section	.AMDGPU.csdata,"",@progbits
; Kernel info:
; codeLenInByte = 5544
; TotalNumSgprs: 36
; NumVgprs: 92
; ScratchSize: 0
; MemoryBound: 0
; FloatMode: 240
; IeeeMode: 1
; LDSByteSize: 520 bytes/workgroup (compile time only)
; SGPRBlocks: 4
; VGPRBlocks: 22
; NumSGPRsForWavesPerEU: 36
; NumVGPRsForWavesPerEU: 92
; Occupancy: 2
; WaveLimiterHint : 0
; COMPUTE_PGM_RSRC2:SCRATCH_EN: 0
; COMPUTE_PGM_RSRC2:USER_SGPR: 6
; COMPUTE_PGM_RSRC2:TRAP_HANDLER: 0
; COMPUTE_PGM_RSRC2:TGID_X_EN: 1
; COMPUTE_PGM_RSRC2:TGID_Y_EN: 0
; COMPUTE_PGM_RSRC2:TGID_Z_EN: 0
; COMPUTE_PGM_RSRC2:TIDIG_COMP_CNT: 2
	.section	.text._Z11rank_kernelIxLj4ELb0EL18RadixRankAlgorithm0ELj128ELj32ELj10EEvPKT_Pi,"axG",@progbits,_Z11rank_kernelIxLj4ELb0EL18RadixRankAlgorithm0ELj128ELj32ELj10EEvPKT_Pi,comdat
	.protected	_Z11rank_kernelIxLj4ELb0EL18RadixRankAlgorithm0ELj128ELj32ELj10EEvPKT_Pi ; -- Begin function _Z11rank_kernelIxLj4ELb0EL18RadixRankAlgorithm0ELj128ELj32ELj10EEvPKT_Pi
	.globl	_Z11rank_kernelIxLj4ELb0EL18RadixRankAlgorithm0ELj128ELj32ELj10EEvPKT_Pi
	.p2align	8
	.type	_Z11rank_kernelIxLj4ELb0EL18RadixRankAlgorithm0ELj128ELj32ELj10EEvPKT_Pi,@function
_Z11rank_kernelIxLj4ELb0EL18RadixRankAlgorithm0ELj128ELj32ELj10EEvPKT_Pi: ; @_Z11rank_kernelIxLj4ELb0EL18RadixRankAlgorithm0ELj128ELj32ELj10EEvPKT_Pi
; %bb.0:
	s_load_dwordx4 s[20:23], s[4:5], 0x0
	s_lshl_b32 s24, s6, 12
	s_mov_b32 s25, 0
	s_lshl_b64 s[0:1], s[24:25], 3
	v_lshlrev_b32_e32 v61, 8, v0
	s_waitcnt lgkmcnt(0)
	s_add_u32 s0, s20, s0
	s_addc_u32 s1, s21, s1
	global_load_dwordx4 v[1:4], v61, s[0:1]
	global_load_dwordx4 v[5:8], v61, s[0:1] offset:16
	global_load_dwordx4 v[9:12], v61, s[0:1] offset:32
	;; [unrolled: 1-line block ×14, first 2 shown]
	s_nop 0
	global_load_dwordx4 v[61:64], v61, s[0:1] offset:240
	v_mbcnt_lo_u32_b32 v67, -1, 0
	v_mbcnt_hi_u32_b32 v69, -1, v67
	v_subrev_co_u32_e64 v73, s[6:7], 1, v69
	v_and_b32_e32 v74, 64, v69
	v_cmp_lt_i32_e64 s[18:19], v73, v74
	v_lshlrev_b32_e32 v65, 5, v0
	v_or_b32_e32 v67, 63, v0
	v_lshrrev_b32_e32 v68, 4, v0
	v_mul_i32_i24_e32 v70, 0xffffffe4, v0
	v_and_b32_e32 v71, 15, v69
	v_and_b32_e32 v72, 16, v69
	v_cmp_lt_u32_e64 s[4:5], 31, v69
	v_and_b32_e32 v75, 1, v69
	v_cndmask_b32_e64 v69, v73, v69, s[18:19]
	s_movk_i32 s28, 0x37f
	s_movk_i32 s29, 0x380
	v_mov_b32_e32 v66, 0
	v_cmp_gt_u32_e32 vcc, 2, v0
	v_cmp_lt_u32_e64 s[0:1], 63, v0
	s_mov_b32 s30, s25
	v_cmp_eq_u32_e64 s[2:3], v0, v67
	v_and_b32_e32 v67, 4, v68
	v_add_u32_e32 v68, v65, v70
	v_cmp_eq_u32_e64 s[8:9], 0, v71
	v_cmp_lt_u32_e64 s[10:11], 1, v71
	v_cmp_lt_u32_e64 s[12:13], 3, v71
	;; [unrolled: 1-line block ×3, first 2 shown]
	v_cmp_eq_u32_e64 s[16:17], 0, v72
	v_cmp_eq_u32_e64 s[18:19], 0, v75
	v_lshlrev_b32_e32 v69, 2, v69
	v_lshlrev_b32_e32 v73, 2, v0
	v_or_b32_e32 v74, 0xffffff80, v0
	s_waitcnt vmcnt(15)
	v_xor_b32_e32 v2, 0x80000000, v2
	v_xor_b32_e32 v4, 0x80000000, v4
	s_waitcnt vmcnt(14)
	v_xor_b32_e32 v6, 0x80000000, v6
	v_xor_b32_e32 v8, 0x80000000, v8
	;; [unrolled: 3-line block ×16, first 2 shown]
	s_branch .LBB102_2
.LBB102_1:                              ;   in Loop: Header=BB102_2 Depth=1
	s_add_i32 s30, s30, 1
	s_cmp_eq_u32 s30, 10
	s_cbranch_scc1 .LBB102_12
.LBB102_2:                              ; =>This Loop Header: Depth=1
                                        ;     Child Loop BB102_4 Depth 2
                                        ;       Child Loop BB102_5 Depth 3
	s_mov_b32 s31, 0
	s_branch .LBB102_4
.LBB102_3:                              ;   in Loop: Header=BB102_4 Depth=2
	s_or_b64 exec, exec, s[20:21]
	s_waitcnt lgkmcnt(0)
	v_add_u32_e32 v136, v137, v136
	ds_bpermute_b32 v136, v69, v136
	ds_read_b32 v144, v66 offset:4100
	ds_read2_b64 v[138:141], v65 offset1:1
	ds_read_b64 v[142:143], v65 offset:16
	ds_read_b32 v145, v65 offset:24
	s_add_i32 s20, s31, 4
	s_cmp_lt_u32 s31, 60
	s_mov_b32 s31, s20
	s_waitcnt lgkmcnt(4)
	v_cndmask_b32_e64 v136, v136, v137, s[6:7]
	s_waitcnt lgkmcnt(3)
	v_lshl_add_u32 v136, v144, 16, v136
	s_waitcnt lgkmcnt(2)
	v_add_u32_e32 v137, v136, v138
	v_add_u32_e32 v138, v139, v137
	;; [unrolled: 1-line block ×3, first 2 shown]
	ds_write2_b64 v65, v[136:137], v[138:139] offset1:1
	v_add_u32_e32 v136, v141, v139
	s_waitcnt lgkmcnt(2)
	v_add_u32_e32 v137, v142, v136
	v_add_u32_e32 v138, v143, v137
	s_waitcnt lgkmcnt(1)
	v_add_u32_e32 v139, v145, v138
	ds_write2_b64 v65, v[136:137], v[138:139] offset0:2 offset1:3
	s_waitcnt lgkmcnt(0)
	s_barrier
	s_cbranch_scc0 .LBB102_1
.LBB102_4:                              ;   Parent Loop BB102_2 Depth=1
                                        ; =>  This Loop Header: Depth=2
                                        ;       Child Loop BB102_5 Depth 3
	s_mov_b64 s[26:27], 0
	v_mov_b32_e32 v70, v74
	v_mov_b32_e32 v71, v73
.LBB102_5:                              ;   Parent Loop BB102_2 Depth=1
                                        ;     Parent Loop BB102_4 Depth=2
                                        ; =>    This Inner Loop Header: Depth=3
	v_add_u32_e32 v70, 0x80, v70
	v_cmp_lt_u32_e64 s[20:21], s28, v70
	ds_write_b32 v71, v66
	s_or_b64 s[26:27], s[20:21], s[26:27]
	v_add_u32_e32 v71, 0x200, v71
	s_andn2_b64 exec, exec, s[26:27]
	s_cbranch_execnz .LBB102_5
; %bb.6:                                ;   in Loop: Header=BB102_4 Depth=2
	s_or_b64 exec, exec, s[26:27]
	s_sub_i32 s20, 60, s31
	v_lshlrev_b64 v[70:71], s20, v[1:2]
	v_lshlrev_b64 v[78:79], s20, v[5:6]
	v_lshrrev_b32_e32 v70, 21, v71
	v_lshrrev_b32_e32 v71, 30, v71
	v_and_or_b32 v70, v70, s29, v0
	v_and_b32_e32 v71, 2, v71
	v_lshl_or_b32 v75, v70, 2, v71
	ds_read_u16 v70, v75
	v_lshlrev_b64 v[71:72], s20, v[3:4]
	v_lshlrev_b64 v[80:81], s20, v[7:8]
	v_lshrrev_b32_e32 v71, 21, v72
	v_lshrrev_b32_e32 v72, 30, v72
	v_and_or_b32 v71, v71, s29, v0
	s_waitcnt lgkmcnt(0)
	v_add_u16_e32 v76, 1, v70
	v_and_b32_e32 v72, 2, v72
	ds_write_b16 v75, v76
	v_lshl_or_b32 v77, v71, 2, v72
	ds_read_u16 v71, v77
	v_lshrrev_b32_e32 v76, 30, v79
	v_and_b32_e32 v76, 2, v76
	v_lshrrev_b32_e32 v78, 30, v81
	v_and_b32_e32 v78, 2, v78
	s_waitcnt lgkmcnt(0)
	v_add_u16_e32 v72, 1, v71
	ds_write_b16 v77, v72
	v_lshrrev_b32_e32 v72, 21, v79
	v_and_or_b32 v72, v72, s29, v0
	v_lshl_or_b32 v79, v72, 2, v76
	ds_read_u16 v72, v79
	v_lshlrev_b64 v[82:83], s20, v[9:10]
	v_lshlrev_b64 v[84:85], s20, v[11:12]
	v_lshrrev_b32_e32 v80, 30, v83
	v_and_b32_e32 v80, 2, v80
	s_waitcnt lgkmcnt(0)
	v_add_u16_e32 v76, 1, v72
	ds_write_b16 v79, v76
	v_lshrrev_b32_e32 v76, 21, v81
	v_and_or_b32 v76, v76, s29, v0
	v_lshl_or_b32 v81, v76, 2, v78
	ds_read_u16 v76, v81
	v_lshrrev_b32_e32 v82, 30, v85
	v_and_b32_e32 v82, 2, v82
	v_lshlrev_b64 v[86:87], s20, v[13:14]
	v_lshlrev_b64 v[88:89], s20, v[15:16]
	s_waitcnt lgkmcnt(0)
	v_add_u16_e32 v78, 1, v76
	ds_write_b16 v81, v78
	v_lshrrev_b32_e32 v78, 21, v83
	v_and_or_b32 v78, v78, s29, v0
	v_lshl_or_b32 v83, v78, 2, v80
	ds_read_u16 v78, v83
	v_lshrrev_b32_e32 v84, 30, v87
	v_and_b32_e32 v84, 2, v84
	v_lshrrev_b32_e32 v86, 30, v89
	v_and_b32_e32 v86, 2, v86
	s_waitcnt lgkmcnt(0)
	v_add_u16_e32 v80, 1, v78
	ds_write_b16 v83, v80
	v_lshrrev_b32_e32 v80, 21, v85
	v_and_or_b32 v80, v80, s29, v0
	v_lshl_or_b32 v85, v80, 2, v82
	ds_read_u16 v80, v85
	v_lshlrev_b64 v[90:91], s20, v[17:18]
	v_lshlrev_b64 v[92:93], s20, v[19:20]
	v_lshrrev_b32_e32 v88, 30, v91
	v_and_b32_e32 v88, 2, v88
	s_waitcnt lgkmcnt(0)
	v_add_u16_e32 v82, 1, v80
	ds_write_b16 v85, v82
	v_lshrrev_b32_e32 v82, 21, v87
	v_and_or_b32 v82, v82, s29, v0
	v_lshl_or_b32 v87, v82, 2, v84
	ds_read_u16 v82, v87
	v_lshrrev_b32_e32 v90, 30, v93
	v_and_b32_e32 v90, 2, v90
	v_lshlrev_b64 v[94:95], s20, v[21:22]
	v_lshlrev_b64 v[96:97], s20, v[23:24]
	s_waitcnt lgkmcnt(0)
	v_add_u16_e32 v84, 1, v82
	ds_write_b16 v87, v84
	v_lshrrev_b32_e32 v84, 21, v89
	v_and_or_b32 v84, v84, s29, v0
	;; [unrolled: 33-line block ×6, first 2 shown]
	v_lshl_or_b32 v113, v108, 2, v110
	ds_read_u16 v108, v113
	v_lshrrev_b32_e32 v124, 30, v127
	v_and_b32_e32 v124, 2, v124
	v_lshrrev_b32_e32 v126, 30, v129
	v_and_b32_e32 v126, 2, v126
	s_waitcnt lgkmcnt(0)
	v_add_u16_e32 v110, 1, v108
	ds_write_b16 v113, v110
	v_lshrrev_b32_e32 v110, 21, v115
	v_and_or_b32 v110, v110, s29, v0
	v_lshl_or_b32 v115, v110, 2, v112
	ds_read_u16 v110, v115
	v_lshlrev_b64 v[130:131], s20, v[57:58]
	v_lshlrev_b64 v[132:133], s20, v[59:60]
	v_lshrrev_b32_e32 v128, 30, v131
	v_and_b32_e32 v128, 2, v128
	s_waitcnt lgkmcnt(0)
	v_add_u16_e32 v112, 1, v110
	ds_write_b16 v115, v112
	v_lshrrev_b32_e32 v112, 21, v117
	v_and_or_b32 v112, v112, s29, v0
	v_lshl_or_b32 v117, v112, 2, v114
	ds_read_u16 v112, v117
	v_lshrrev_b32_e32 v130, 30, v133
	v_and_b32_e32 v130, 2, v130
	v_lshlrev_b64 v[134:135], s20, v[61:62]
	s_waitcnt lgkmcnt(0)
	v_add_u16_e32 v114, 1, v112
	ds_write_b16 v117, v114
	v_lshrrev_b32_e32 v114, 21, v119
	v_and_or_b32 v114, v114, s29, v0
	v_lshl_or_b32 v119, v114, 2, v116
	ds_read_u16 v114, v119
	v_lshrrev_b32_e32 v132, 30, v135
	v_and_b32_e32 v132, 2, v132
	s_waitcnt lgkmcnt(0)
	v_add_u16_e32 v116, 1, v114
	ds_write_b16 v119, v116
	v_lshrrev_b32_e32 v116, 21, v121
	v_and_or_b32 v116, v116, s29, v0
	v_lshl_or_b32 v121, v116, 2, v118
	ds_read_u16 v116, v121
	s_waitcnt lgkmcnt(0)
	v_add_u16_e32 v118, 1, v116
	ds_write_b16 v121, v118
	v_lshrrev_b32_e32 v118, 21, v123
	v_and_or_b32 v118, v118, s29, v0
	v_lshl_or_b32 v123, v118, 2, v120
	ds_read_u16 v118, v123
	;; [unrolled: 7-line block ×8, first 2 shown]
	v_lshlrev_b64 v[135:136], s20, v[63:64]
	v_lshrrev_b32_e32 v135, 30, v136
	v_and_b32_e32 v135, 2, v135
	s_waitcnt lgkmcnt(0)
	v_add_u16_e32 v132, 1, v130
	ds_write_b16 v134, v132
	v_lshrrev_b32_e32 v132, 21, v136
	v_and_or_b32 v132, v132, s29, v0
	v_lshl_or_b32 v135, v132, 2, v135
	ds_read_u16 v132, v135
	s_waitcnt lgkmcnt(0)
	v_add_u16_e32 v136, 1, v132
	ds_write_b16 v135, v136
	s_waitcnt lgkmcnt(0)
	s_barrier
	ds_read2_b64 v[136:139], v65 offset1:1
	ds_read2_b64 v[140:143], v65 offset0:2 offset1:3
	s_waitcnt lgkmcnt(1)
	v_add_u32_e32 v136, v137, v136
	v_add3_u32 v136, v136, v138, v139
	s_waitcnt lgkmcnt(0)
	v_add3_u32 v136, v136, v140, v141
	v_add3_u32 v136, v136, v142, v143
	s_nop 1
	v_mov_b32_dpp v137, v136 row_shr:1 row_mask:0xf bank_mask:0xf
	v_cndmask_b32_e64 v137, v137, 0, s[8:9]
	v_add_u32_e32 v136, v137, v136
	s_nop 1
	v_mov_b32_dpp v137, v136 row_shr:2 row_mask:0xf bank_mask:0xf
	v_cndmask_b32_e64 v137, 0, v137, s[10:11]
	v_add_u32_e32 v136, v136, v137
	;; [unrolled: 4-line block ×4, first 2 shown]
	s_nop 1
	v_mov_b32_dpp v137, v136 row_bcast:15 row_mask:0xf bank_mask:0xf
	v_cndmask_b32_e64 v137, v137, 0, s[16:17]
	v_add_u32_e32 v136, v136, v137
	s_nop 1
	v_mov_b32_dpp v137, v136 row_bcast:31 row_mask:0xf bank_mask:0xf
	v_cndmask_b32_e64 v137, 0, v137, s[4:5]
	v_add_u32_e32 v136, v136, v137
	s_and_saveexec_b64 s[20:21], s[2:3]
; %bb.7:                                ;   in Loop: Header=BB102_4 Depth=2
	ds_write_b32 v67, v136 offset:4096
; %bb.8:                                ;   in Loop: Header=BB102_4 Depth=2
	s_or_b64 exec, exec, s[20:21]
	s_waitcnt lgkmcnt(0)
	s_barrier
	s_and_saveexec_b64 s[20:21], vcc
	s_cbranch_execz .LBB102_10
; %bb.9:                                ;   in Loop: Header=BB102_4 Depth=2
	ds_read_b32 v137, v68 offset:4096
	s_waitcnt lgkmcnt(0)
	s_nop 0
	v_mov_b32_dpp v138, v137 row_shr:1 row_mask:0xf bank_mask:0xf
	v_cndmask_b32_e64 v138, v138, 0, s[18:19]
	v_add_u32_e32 v137, v138, v137
	ds_write_b32 v68, v137 offset:4096
.LBB102_10:                             ;   in Loop: Header=BB102_4 Depth=2
	s_or_b64 exec, exec, s[20:21]
	v_mov_b32_e32 v137, 0
	s_waitcnt lgkmcnt(0)
	s_barrier
	s_and_saveexec_b64 s[20:21], s[0:1]
	s_cbranch_execz .LBB102_3
; %bb.11:                               ;   in Loop: Header=BB102_4 Depth=2
	ds_read_b32 v137, v67 offset:4092
	s_branch .LBB102_3
.LBB102_12:
	ds_read_u16 v0, v135
	ds_read_u16 v1, v134
	;; [unrolled: 1-line block ×32, first 2 shown]
	s_lshl_b64 s[0:1], s[24:25], 2
	s_add_u32 s0, s22, s0
	s_waitcnt lgkmcnt(14)
	v_add_u32_sdwa v3, v0, v132 dst_sel:DWORD dst_unused:UNUSED_PAD src0_sel:DWORD src1_sel:WORD_0
	v_add_u32_sdwa v2, v1, v130 dst_sel:DWORD dst_unused:UNUSED_PAD src0_sel:DWORD src1_sel:WORD_0
	;; [unrolled: 1-line block ×15, first 2 shown]
	s_waitcnt lgkmcnt(13)
	v_add_u32_sdwa v17, v21, v96 dst_sel:DWORD dst_unused:UNUSED_PAD src0_sel:DWORD src1_sel:WORD_0
	s_waitcnt lgkmcnt(12)
	v_add_u32_sdwa v16, v22, v94 dst_sel:DWORD dst_unused:UNUSED_PAD src0_sel:DWORD src1_sel:WORD_0
	;; [unrolled: 2-line block ×12, first 2 shown]
	s_addc_u32 s1, s23, s1
	v_lshlrev_b32_e32 v32, 2, v65
	v_add_u32_sdwa v11, v11, v116 dst_sel:DWORD dst_unused:UNUSED_PAD src0_sel:DWORD src1_sel:WORD_0
	v_add_u32_sdwa v15, v15, v108 dst_sel:DWORD dst_unused:UNUSED_PAD src0_sel:DWORD src1_sel:WORD_0
	;; [unrolled: 1-line block ×5, first 2 shown]
	global_store_dwordx4 v32, v[28:31], s[0:1]
	global_store_dwordx4 v32, v[24:27], s[0:1] offset:16
	global_store_dwordx4 v32, v[20:23], s[0:1] offset:32
	;; [unrolled: 1-line block ×7, first 2 shown]
	s_endpgm
	.section	.rodata,"a",@progbits
	.p2align	6, 0x0
	.amdhsa_kernel _Z11rank_kernelIxLj4ELb0EL18RadixRankAlgorithm0ELj128ELj32ELj10EEvPKT_Pi
		.amdhsa_group_segment_fixed_size 4104
		.amdhsa_private_segment_fixed_size 0
		.amdhsa_kernarg_size 16
		.amdhsa_user_sgpr_count 6
		.amdhsa_user_sgpr_private_segment_buffer 1
		.amdhsa_user_sgpr_dispatch_ptr 0
		.amdhsa_user_sgpr_queue_ptr 0
		.amdhsa_user_sgpr_kernarg_segment_ptr 1
		.amdhsa_user_sgpr_dispatch_id 0
		.amdhsa_user_sgpr_flat_scratch_init 0
		.amdhsa_user_sgpr_private_segment_size 0
		.amdhsa_uses_dynamic_stack 0
		.amdhsa_system_sgpr_private_segment_wavefront_offset 0
		.amdhsa_system_sgpr_workgroup_id_x 1
		.amdhsa_system_sgpr_workgroup_id_y 0
		.amdhsa_system_sgpr_workgroup_id_z 0
		.amdhsa_system_sgpr_workgroup_info 0
		.amdhsa_system_vgpr_workitem_id 0
		.amdhsa_next_free_vgpr 146
		.amdhsa_next_free_sgpr 61
		.amdhsa_reserve_vcc 1
		.amdhsa_reserve_flat_scratch 0
		.amdhsa_float_round_mode_32 0
		.amdhsa_float_round_mode_16_64 0
		.amdhsa_float_denorm_mode_32 3
		.amdhsa_float_denorm_mode_16_64 3
		.amdhsa_dx10_clamp 1
		.amdhsa_ieee_mode 1
		.amdhsa_fp16_overflow 0
		.amdhsa_exception_fp_ieee_invalid_op 0
		.amdhsa_exception_fp_denorm_src 0
		.amdhsa_exception_fp_ieee_div_zero 0
		.amdhsa_exception_fp_ieee_overflow 0
		.amdhsa_exception_fp_ieee_underflow 0
		.amdhsa_exception_fp_ieee_inexact 0
		.amdhsa_exception_int_div_zero 0
	.end_amdhsa_kernel
	.section	.text._Z11rank_kernelIxLj4ELb0EL18RadixRankAlgorithm0ELj128ELj32ELj10EEvPKT_Pi,"axG",@progbits,_Z11rank_kernelIxLj4ELb0EL18RadixRankAlgorithm0ELj128ELj32ELj10EEvPKT_Pi,comdat
.Lfunc_end102:
	.size	_Z11rank_kernelIxLj4ELb0EL18RadixRankAlgorithm0ELj128ELj32ELj10EEvPKT_Pi, .Lfunc_end102-_Z11rank_kernelIxLj4ELb0EL18RadixRankAlgorithm0ELj128ELj32ELj10EEvPKT_Pi
                                        ; -- End function
	.set _Z11rank_kernelIxLj4ELb0EL18RadixRankAlgorithm0ELj128ELj32ELj10EEvPKT_Pi.num_vgpr, 146
	.set _Z11rank_kernelIxLj4ELb0EL18RadixRankAlgorithm0ELj128ELj32ELj10EEvPKT_Pi.num_agpr, 0
	.set _Z11rank_kernelIxLj4ELb0EL18RadixRankAlgorithm0ELj128ELj32ELj10EEvPKT_Pi.numbered_sgpr, 32
	.set _Z11rank_kernelIxLj4ELb0EL18RadixRankAlgorithm0ELj128ELj32ELj10EEvPKT_Pi.num_named_barrier, 0
	.set _Z11rank_kernelIxLj4ELb0EL18RadixRankAlgorithm0ELj128ELj32ELj10EEvPKT_Pi.private_seg_size, 0
	.set _Z11rank_kernelIxLj4ELb0EL18RadixRankAlgorithm0ELj128ELj32ELj10EEvPKT_Pi.uses_vcc, 1
	.set _Z11rank_kernelIxLj4ELb0EL18RadixRankAlgorithm0ELj128ELj32ELj10EEvPKT_Pi.uses_flat_scratch, 0
	.set _Z11rank_kernelIxLj4ELb0EL18RadixRankAlgorithm0ELj128ELj32ELj10EEvPKT_Pi.has_dyn_sized_stack, 0
	.set _Z11rank_kernelIxLj4ELb0EL18RadixRankAlgorithm0ELj128ELj32ELj10EEvPKT_Pi.has_recursion, 0
	.set _Z11rank_kernelIxLj4ELb0EL18RadixRankAlgorithm0ELj128ELj32ELj10EEvPKT_Pi.has_indirect_call, 0
	.section	.AMDGPU.csdata,"",@progbits
; Kernel info:
; codeLenInByte = 3808
; TotalNumSgprs: 36
; NumVgprs: 146
; ScratchSize: 0
; MemoryBound: 1
; FloatMode: 240
; IeeeMode: 1
; LDSByteSize: 4104 bytes/workgroup (compile time only)
; SGPRBlocks: 8
; VGPRBlocks: 36
; NumSGPRsForWavesPerEU: 65
; NumVGPRsForWavesPerEU: 146
; Occupancy: 1
; WaveLimiterHint : 0
; COMPUTE_PGM_RSRC2:SCRATCH_EN: 0
; COMPUTE_PGM_RSRC2:USER_SGPR: 6
; COMPUTE_PGM_RSRC2:TRAP_HANDLER: 0
; COMPUTE_PGM_RSRC2:TGID_X_EN: 1
; COMPUTE_PGM_RSRC2:TGID_Y_EN: 0
; COMPUTE_PGM_RSRC2:TGID_Z_EN: 0
; COMPUTE_PGM_RSRC2:TIDIG_COMP_CNT: 0
	.section	.text._Z11rank_kernelIxLj4ELb0EL18RadixRankAlgorithm1ELj128ELj32ELj10EEvPKT_Pi,"axG",@progbits,_Z11rank_kernelIxLj4ELb0EL18RadixRankAlgorithm1ELj128ELj32ELj10EEvPKT_Pi,comdat
	.protected	_Z11rank_kernelIxLj4ELb0EL18RadixRankAlgorithm1ELj128ELj32ELj10EEvPKT_Pi ; -- Begin function _Z11rank_kernelIxLj4ELb0EL18RadixRankAlgorithm1ELj128ELj32ELj10EEvPKT_Pi
	.globl	_Z11rank_kernelIxLj4ELb0EL18RadixRankAlgorithm1ELj128ELj32ELj10EEvPKT_Pi
	.p2align	8
	.type	_Z11rank_kernelIxLj4ELb0EL18RadixRankAlgorithm1ELj128ELj32ELj10EEvPKT_Pi,@function
_Z11rank_kernelIxLj4ELb0EL18RadixRankAlgorithm1ELj128ELj32ELj10EEvPKT_Pi: ; @_Z11rank_kernelIxLj4ELb0EL18RadixRankAlgorithm1ELj128ELj32ELj10EEvPKT_Pi
; %bb.0:
	s_load_dwordx4 s[20:23], s[4:5], 0x0
	s_lshl_b32 s24, s6, 12
	s_mov_b32 s25, 0
	s_lshl_b64 s[0:1], s[24:25], 3
	v_lshlrev_b32_e32 v61, 8, v0
	s_waitcnt lgkmcnt(0)
	s_add_u32 s0, s20, s0
	s_addc_u32 s1, s21, s1
	global_load_dwordx4 v[1:4], v61, s[0:1]
	global_load_dwordx4 v[5:8], v61, s[0:1] offset:16
	global_load_dwordx4 v[9:12], v61, s[0:1] offset:32
	;; [unrolled: 1-line block ×14, first 2 shown]
	s_nop 0
	global_load_dwordx4 v[61:64], v61, s[0:1] offset:240
	v_mbcnt_lo_u32_b32 v65, -1, 0
	v_mbcnt_hi_u32_b32 v65, -1, v65
	v_subrev_co_u32_e64 v70, s[6:7], 1, v65
	v_and_b32_e32 v71, 64, v65
	v_or_b32_e32 v66, 63, v0
	v_lshrrev_b32_e32 v67, 4, v0
	v_cmp_lt_i32_e64 s[18:19], v70, v71
	v_lshlrev_b32_e32 v73, 5, v0
	v_mul_i32_i24_e32 v68, 0xffffffe4, v0
	v_and_b32_e32 v69, 15, v65
	v_cmp_eq_u32_e64 s[2:3], v0, v66
	v_and_b32_e32 v66, 16, v65
	v_cmp_lt_u32_e64 s[4:5], 31, v65
	v_and_b32_e32 v75, 4, v67
	v_and_b32_e32 v67, 1, v65
	v_cndmask_b32_e64 v65, v70, v65, s[18:19]
	s_movk_i32 s28, 0x37f
	s_movk_i32 s29, 0x380
	v_mov_b32_e32 v74, 0
	v_cmp_gt_u32_e32 vcc, 2, v0
	v_cmp_lt_u32_e64 s[0:1], 63, v0
	s_mov_b32 s30, s25
	v_add_u32_e32 v76, v73, v68
	v_cmp_eq_u32_e64 s[8:9], 0, v69
	v_cmp_lt_u32_e64 s[10:11], 1, v69
	v_cmp_lt_u32_e64 s[12:13], 3, v69
	;; [unrolled: 1-line block ×3, first 2 shown]
	v_cmp_eq_u32_e64 s[16:17], 0, v66
	v_cmp_eq_u32_e64 s[18:19], 0, v67
	v_lshlrev_b32_e32 v77, 2, v65
	v_lshlrev_b32_e32 v81, 2, v0
	v_or_b32_e32 v82, 0xffffff80, v0
	s_waitcnt vmcnt(15)
	v_xor_b32_e32 v2, 0x80000000, v2
	v_xor_b32_e32 v4, 0x80000000, v4
	s_waitcnt vmcnt(14)
	v_xor_b32_e32 v6, 0x80000000, v6
	v_xor_b32_e32 v8, 0x80000000, v8
	;; [unrolled: 3-line block ×16, first 2 shown]
	s_branch .LBB103_2
.LBB103_1:                              ;   in Loop: Header=BB103_2 Depth=1
	s_add_i32 s30, s30, 1
	s_cmp_eq_u32 s30, 10
	s_cbranch_scc1 .LBB103_12
.LBB103_2:                              ; =>This Loop Header: Depth=1
                                        ;     Child Loop BB103_4 Depth 2
                                        ;       Child Loop BB103_5 Depth 3
	s_mov_b32 s31, 0
	s_branch .LBB103_4
.LBB103_3:                              ;   in Loop: Header=BB103_4 Depth=2
	s_or_b64 exec, exec, s[20:21]
	s_waitcnt lgkmcnt(0)
	v_add_u32_e32 v68, v144, v68
	ds_bpermute_b32 v68, v77, v68
	ds_read_b32 v145, v74 offset:4100
	s_add_i32 s20, s31, 4
	s_cmp_lt_u32 s31, 60
	s_mov_b32 s31, s20
	s_waitcnt lgkmcnt(1)
	v_cndmask_b32_e64 v68, v68, v144, s[6:7]
	s_waitcnt lgkmcnt(0)
	v_lshl_add_u32 v68, v145, 16, v68
	v_add_u32_e32 v69, v68, v69
	v_add_u32_e32 v70, v69, v70
	;; [unrolled: 1-line block ×7, first 2 shown]
	ds_write2_b64 v73, v[68:69], v[70:71] offset1:1
	ds_write2_b64 v73, v[144:145], v[65:66] offset0:2 offset1:3
	s_waitcnt lgkmcnt(0)
	s_barrier
	s_cbranch_scc0 .LBB103_1
.LBB103_4:                              ;   Parent Loop BB103_2 Depth=1
                                        ; =>  This Loop Header: Depth=2
                                        ;       Child Loop BB103_5 Depth 3
	s_mov_b64 s[26:27], 0
	v_mov_b32_e32 v65, v82
	v_mov_b32_e32 v66, v81
.LBB103_5:                              ;   Parent Loop BB103_2 Depth=1
                                        ;     Parent Loop BB103_4 Depth=2
                                        ; =>    This Inner Loop Header: Depth=3
	v_add_u32_e32 v65, 0x80, v65
	v_cmp_lt_u32_e64 s[20:21], s28, v65
	ds_write_b32 v66, v74
	s_or_b64 s[26:27], s[20:21], s[26:27]
	v_add_u32_e32 v66, 0x200, v66
	s_andn2_b64 exec, exec, s[26:27]
	s_cbranch_execnz .LBB103_5
; %bb.6:                                ;   in Loop: Header=BB103_4 Depth=2
	s_or_b64 exec, exec, s[26:27]
	s_sub_i32 s20, 60, s31
	v_lshlrev_b64 v[65:66], s20, v[1:2]
	v_lshrrev_b32_e32 v65, 21, v66
	v_lshrrev_b32_e32 v66, 30, v66
	v_and_or_b32 v65, v65, s29, v0
	v_and_b32_e32 v66, 2, v66
	v_lshl_or_b32 v83, v65, 2, v66
	ds_read_u16 v78, v83
	v_lshlrev_b64 v[65:66], s20, v[3:4]
	v_lshrrev_b32_e32 v65, 21, v66
	v_lshrrev_b32_e32 v66, 30, v66
	v_and_or_b32 v65, v65, s29, v0
	s_waitcnt lgkmcnt(0)
	v_add_u16_e32 v67, 1, v78
	v_and_b32_e32 v66, 2, v66
	ds_write_b16 v83, v67
	v_lshl_or_b32 v85, v65, 2, v66
	ds_read_u16 v79, v85
	v_lshlrev_b64 v[65:66], s20, v[5:6]
	s_waitcnt lgkmcnt(0)
	v_add_u16_e32 v65, 1, v79
	ds_write_b16 v85, v65
	v_lshrrev_b32_e32 v65, 21, v66
	v_lshrrev_b32_e32 v66, 30, v66
	v_and_or_b32 v65, v65, s29, v0
	v_and_b32_e32 v66, 2, v66
	v_lshl_or_b32 v87, v65, 2, v66
	ds_read_u16 v80, v87
	v_lshlrev_b64 v[65:66], s20, v[7:8]
	v_lshrrev_b32_e32 v65, 21, v66
	v_lshrrev_b32_e32 v66, 30, v66
	s_waitcnt lgkmcnt(0)
	v_add_u16_e32 v67, 1, v80
	v_and_or_b32 v65, v65, s29, v0
	v_and_b32_e32 v66, 2, v66
	ds_write_b16 v87, v67
	v_lshl_or_b32 v89, v65, 2, v66
	ds_read_u16 v84, v89
	v_lshlrev_b64 v[65:66], s20, v[9:10]
	v_lshrrev_b32_e32 v65, 21, v66
	v_lshrrev_b32_e32 v66, 30, v66
	s_waitcnt lgkmcnt(0)
	v_add_u16_e32 v67, 1, v84
	v_and_or_b32 v65, v65, s29, v0
	v_and_b32_e32 v66, 2, v66
	ds_write_b16 v89, v67
	;; [unrolled: 10-line block ×29, first 2 shown]
	v_lshl_or_b32 v143, v65, 2, v66
	ds_read_u16 v140, v143
	s_waitcnt lgkmcnt(0)
	v_add_u16_e32 v65, 1, v140
	ds_write_b16 v143, v65
	s_waitcnt lgkmcnt(0)
	s_barrier
	ds_read2_b64 v[69:72], v73 offset1:1
	ds_read2_b64 v[65:68], v73 offset0:2 offset1:3
	s_waitcnt lgkmcnt(1)
	v_add_u32_e32 v144, v70, v69
	v_add3_u32 v144, v144, v71, v72
	s_waitcnt lgkmcnt(0)
	v_add3_u32 v144, v144, v65, v66
	v_add3_u32 v68, v144, v67, v68
	s_nop 1
	v_mov_b32_dpp v144, v68 row_shr:1 row_mask:0xf bank_mask:0xf
	v_cndmask_b32_e64 v144, v144, 0, s[8:9]
	v_add_u32_e32 v68, v144, v68
	s_nop 1
	v_mov_b32_dpp v144, v68 row_shr:2 row_mask:0xf bank_mask:0xf
	v_cndmask_b32_e64 v144, 0, v144, s[10:11]
	v_add_u32_e32 v68, v68, v144
	;; [unrolled: 4-line block ×4, first 2 shown]
	s_nop 1
	v_mov_b32_dpp v144, v68 row_bcast:15 row_mask:0xf bank_mask:0xf
	v_cndmask_b32_e64 v144, v144, 0, s[16:17]
	v_add_u32_e32 v68, v68, v144
	s_nop 1
	v_mov_b32_dpp v144, v68 row_bcast:31 row_mask:0xf bank_mask:0xf
	v_cndmask_b32_e64 v144, 0, v144, s[4:5]
	v_add_u32_e32 v68, v68, v144
	s_and_saveexec_b64 s[20:21], s[2:3]
; %bb.7:                                ;   in Loop: Header=BB103_4 Depth=2
	ds_write_b32 v75, v68 offset:4096
; %bb.8:                                ;   in Loop: Header=BB103_4 Depth=2
	s_or_b64 exec, exec, s[20:21]
	s_waitcnt lgkmcnt(0)
	s_barrier
	s_and_saveexec_b64 s[20:21], vcc
	s_cbranch_execz .LBB103_10
; %bb.9:                                ;   in Loop: Header=BB103_4 Depth=2
	ds_read_b32 v144, v76 offset:4096
	s_waitcnt lgkmcnt(0)
	s_nop 0
	v_mov_b32_dpp v145, v144 row_shr:1 row_mask:0xf bank_mask:0xf
	v_cndmask_b32_e64 v145, v145, 0, s[18:19]
	v_add_u32_e32 v144, v145, v144
	ds_write_b32 v76, v144 offset:4096
.LBB103_10:                             ;   in Loop: Header=BB103_4 Depth=2
	s_or_b64 exec, exec, s[20:21]
	v_mov_b32_e32 v144, 0
	s_waitcnt lgkmcnt(0)
	s_barrier
	s_and_saveexec_b64 s[20:21], s[0:1]
	s_cbranch_execz .LBB103_3
; %bb.11:                               ;   in Loop: Header=BB103_4 Depth=2
	ds_read_b32 v144, v75 offset:4092
	s_branch .LBB103_3
.LBB103_12:
	ds_read_u16 v0, v143
	ds_read_u16 v1, v142
	;; [unrolled: 1-line block ×32, first 2 shown]
	s_lshl_b64 s[0:1], s[24:25], 2
	s_add_u32 s0, s22, s0
	s_waitcnt lgkmcnt(14)
	v_add_u32_sdwa v3, v0, v140 dst_sel:DWORD dst_unused:UNUSED_PAD src0_sel:DWORD src1_sel:WORD_0
	v_add_u32_sdwa v2, v1, v138 dst_sel:DWORD dst_unused:UNUSED_PAD src0_sel:DWORD src1_sel:WORD_0
	;; [unrolled: 1-line block ×15, first 2 shown]
	s_waitcnt lgkmcnt(13)
	v_add_u32_sdwa v17, v21, v104 dst_sel:DWORD dst_unused:UNUSED_PAD src0_sel:DWORD src1_sel:WORD_0
	s_waitcnt lgkmcnt(12)
	v_add_u32_sdwa v16, v22, v102 dst_sel:DWORD dst_unused:UNUSED_PAD src0_sel:DWORD src1_sel:WORD_0
	;; [unrolled: 2-line block ×12, first 2 shown]
	s_addc_u32 s1, s23, s1
	v_lshlrev_b32_e32 v32, 2, v73
	v_add_u32_sdwa v11, v11, v124 dst_sel:DWORD dst_unused:UNUSED_PAD src0_sel:DWORD src1_sel:WORD_0
	v_add_u32_sdwa v15, v15, v116 dst_sel:DWORD dst_unused:UNUSED_PAD src0_sel:DWORD src1_sel:WORD_0
	v_add_u32_sdwa v19, v19, v108 dst_sel:DWORD dst_unused:UNUSED_PAD src0_sel:DWORD src1_sel:WORD_0
	v_add_u32_sdwa v23, v23, v100 dst_sel:DWORD dst_unused:UNUSED_PAD src0_sel:DWORD src1_sel:WORD_0
	v_add_u32_sdwa v27, v27, v92 dst_sel:DWORD dst_unused:UNUSED_PAD src0_sel:DWORD src1_sel:WORD_0
	global_store_dwordx4 v32, v[28:31], s[0:1]
	global_store_dwordx4 v32, v[24:27], s[0:1] offset:16
	global_store_dwordx4 v32, v[20:23], s[0:1] offset:32
	;; [unrolled: 1-line block ×7, first 2 shown]
	s_endpgm
	.section	.rodata,"a",@progbits
	.p2align	6, 0x0
	.amdhsa_kernel _Z11rank_kernelIxLj4ELb0EL18RadixRankAlgorithm1ELj128ELj32ELj10EEvPKT_Pi
		.amdhsa_group_segment_fixed_size 4104
		.amdhsa_private_segment_fixed_size 0
		.amdhsa_kernarg_size 16
		.amdhsa_user_sgpr_count 6
		.amdhsa_user_sgpr_private_segment_buffer 1
		.amdhsa_user_sgpr_dispatch_ptr 0
		.amdhsa_user_sgpr_queue_ptr 0
		.amdhsa_user_sgpr_kernarg_segment_ptr 1
		.amdhsa_user_sgpr_dispatch_id 0
		.amdhsa_user_sgpr_flat_scratch_init 0
		.amdhsa_user_sgpr_private_segment_size 0
		.amdhsa_uses_dynamic_stack 0
		.amdhsa_system_sgpr_private_segment_wavefront_offset 0
		.amdhsa_system_sgpr_workgroup_id_x 1
		.amdhsa_system_sgpr_workgroup_id_y 0
		.amdhsa_system_sgpr_workgroup_id_z 0
		.amdhsa_system_sgpr_workgroup_info 0
		.amdhsa_system_vgpr_workitem_id 0
		.amdhsa_next_free_vgpr 146
		.amdhsa_next_free_sgpr 61
		.amdhsa_reserve_vcc 1
		.amdhsa_reserve_flat_scratch 0
		.amdhsa_float_round_mode_32 0
		.amdhsa_float_round_mode_16_64 0
		.amdhsa_float_denorm_mode_32 3
		.amdhsa_float_denorm_mode_16_64 3
		.amdhsa_dx10_clamp 1
		.amdhsa_ieee_mode 1
		.amdhsa_fp16_overflow 0
		.amdhsa_exception_fp_ieee_invalid_op 0
		.amdhsa_exception_fp_denorm_src 0
		.amdhsa_exception_fp_ieee_div_zero 0
		.amdhsa_exception_fp_ieee_overflow 0
		.amdhsa_exception_fp_ieee_underflow 0
		.amdhsa_exception_fp_ieee_inexact 0
		.amdhsa_exception_int_div_zero 0
	.end_amdhsa_kernel
	.section	.text._Z11rank_kernelIxLj4ELb0EL18RadixRankAlgorithm1ELj128ELj32ELj10EEvPKT_Pi,"axG",@progbits,_Z11rank_kernelIxLj4ELb0EL18RadixRankAlgorithm1ELj128ELj32ELj10EEvPKT_Pi,comdat
.Lfunc_end103:
	.size	_Z11rank_kernelIxLj4ELb0EL18RadixRankAlgorithm1ELj128ELj32ELj10EEvPKT_Pi, .Lfunc_end103-_Z11rank_kernelIxLj4ELb0EL18RadixRankAlgorithm1ELj128ELj32ELj10EEvPKT_Pi
                                        ; -- End function
	.set _Z11rank_kernelIxLj4ELb0EL18RadixRankAlgorithm1ELj128ELj32ELj10EEvPKT_Pi.num_vgpr, 146
	.set _Z11rank_kernelIxLj4ELb0EL18RadixRankAlgorithm1ELj128ELj32ELj10EEvPKT_Pi.num_agpr, 0
	.set _Z11rank_kernelIxLj4ELb0EL18RadixRankAlgorithm1ELj128ELj32ELj10EEvPKT_Pi.numbered_sgpr, 32
	.set _Z11rank_kernelIxLj4ELb0EL18RadixRankAlgorithm1ELj128ELj32ELj10EEvPKT_Pi.num_named_barrier, 0
	.set _Z11rank_kernelIxLj4ELb0EL18RadixRankAlgorithm1ELj128ELj32ELj10EEvPKT_Pi.private_seg_size, 0
	.set _Z11rank_kernelIxLj4ELb0EL18RadixRankAlgorithm1ELj128ELj32ELj10EEvPKT_Pi.uses_vcc, 1
	.set _Z11rank_kernelIxLj4ELb0EL18RadixRankAlgorithm1ELj128ELj32ELj10EEvPKT_Pi.uses_flat_scratch, 0
	.set _Z11rank_kernelIxLj4ELb0EL18RadixRankAlgorithm1ELj128ELj32ELj10EEvPKT_Pi.has_dyn_sized_stack, 0
	.set _Z11rank_kernelIxLj4ELb0EL18RadixRankAlgorithm1ELj128ELj32ELj10EEvPKT_Pi.has_recursion, 0
	.set _Z11rank_kernelIxLj4ELb0EL18RadixRankAlgorithm1ELj128ELj32ELj10EEvPKT_Pi.has_indirect_call, 0
	.section	.AMDGPU.csdata,"",@progbits
; Kernel info:
; codeLenInByte = 3772
; TotalNumSgprs: 36
; NumVgprs: 146
; ScratchSize: 0
; MemoryBound: 1
; FloatMode: 240
; IeeeMode: 1
; LDSByteSize: 4104 bytes/workgroup (compile time only)
; SGPRBlocks: 8
; VGPRBlocks: 36
; NumSGPRsForWavesPerEU: 65
; NumVGPRsForWavesPerEU: 146
; Occupancy: 1
; WaveLimiterHint : 0
; COMPUTE_PGM_RSRC2:SCRATCH_EN: 0
; COMPUTE_PGM_RSRC2:USER_SGPR: 6
; COMPUTE_PGM_RSRC2:TRAP_HANDLER: 0
; COMPUTE_PGM_RSRC2:TGID_X_EN: 1
; COMPUTE_PGM_RSRC2:TGID_Y_EN: 0
; COMPUTE_PGM_RSRC2:TGID_Z_EN: 0
; COMPUTE_PGM_RSRC2:TIDIG_COMP_CNT: 0
	.section	.text._Z11rank_kernelIxLj4ELb0EL18RadixRankAlgorithm2ELj128ELj32ELj10EEvPKT_Pi,"axG",@progbits,_Z11rank_kernelIxLj4ELb0EL18RadixRankAlgorithm2ELj128ELj32ELj10EEvPKT_Pi,comdat
	.protected	_Z11rank_kernelIxLj4ELb0EL18RadixRankAlgorithm2ELj128ELj32ELj10EEvPKT_Pi ; -- Begin function _Z11rank_kernelIxLj4ELb0EL18RadixRankAlgorithm2ELj128ELj32ELj10EEvPKT_Pi
	.globl	_Z11rank_kernelIxLj4ELb0EL18RadixRankAlgorithm2ELj128ELj32ELj10EEvPKT_Pi
	.p2align	8
	.type	_Z11rank_kernelIxLj4ELb0EL18RadixRankAlgorithm2ELj128ELj32ELj10EEvPKT_Pi,@function
_Z11rank_kernelIxLj4ELb0EL18RadixRankAlgorithm2ELj128ELj32ELj10EEvPKT_Pi: ; @_Z11rank_kernelIxLj4ELb0EL18RadixRankAlgorithm2ELj128ELj32ELj10EEvPKT_Pi
; %bb.0:
	s_load_dwordx4 s[24:27], s[4:5], 0x0
	s_load_dword s20, s[4:5], 0x1c
	s_lshl_b32 s28, s6, 12
	s_mov_b32 s29, 0
	s_lshl_b64 s[0:1], s[28:29], 3
	s_waitcnt lgkmcnt(0)
	s_add_u32 s0, s24, s0
	s_addc_u32 s1, s25, s1
	v_lshlrev_b32_e32 v63, 8, v0
	global_load_dwordx4 v[3:6], v63, s[0:1]
	global_load_dwordx4 v[7:10], v63, s[0:1] offset:16
	global_load_dwordx4 v[11:14], v63, s[0:1] offset:32
	global_load_dwordx4 v[15:18], v63, s[0:1] offset:48
	global_load_dwordx4 v[19:22], v63, s[0:1] offset:64
	global_load_dwordx4 v[23:26], v63, s[0:1] offset:80
	global_load_dwordx4 v[27:30], v63, s[0:1] offset:96
	global_load_dwordx4 v[31:34], v63, s[0:1] offset:112
	global_load_dwordx4 v[35:38], v63, s[0:1] offset:128
	global_load_dwordx4 v[39:42], v63, s[0:1] offset:144
	global_load_dwordx4 v[43:46], v63, s[0:1] offset:160
	global_load_dwordx4 v[47:50], v63, s[0:1] offset:176
	global_load_dwordx4 v[51:54], v63, s[0:1] offset:192
	global_load_dwordx4 v[55:58], v63, s[0:1] offset:208
	global_load_dwordx4 v[59:62], v63, s[0:1] offset:224
	s_nop 0
	global_load_dwordx4 v[63:66], v63, s[0:1] offset:240
	v_mbcnt_lo_u32_b32 v67, -1, 0
	v_mbcnt_hi_u32_b32 v68, -1, v67
	v_or_b32_e32 v69, 63, v0
	s_lshr_b32 s21, s20, 16
	v_cmp_eq_u32_e64 s[4:5], v0, v69
	v_subrev_co_u32_e64 v69, s[6:7], 1, v68
	v_and_b32_e32 v73, 64, v68
	s_and_b32 s20, s20, 0xffff
	v_mad_u32_u24 v1, v2, s21, v1
	v_cmp_gt_u32_e32 vcc, 2, v0
	v_cmp_lt_u32_e64 s[0:1], 63, v0
	v_lshlrev_b32_e32 v67, 5, v0
	v_lshlrev_b32_e32 v72, 2, v0
	v_cmp_lt_i32_e64 s[18:19], v69, v73
	v_mad_u32_u24 v1, v1, s20, v0
	v_lshrrev_b32_e32 v0, 4, v0
	v_and_b32_e32 v70, 15, v68
	v_and_b32_e32 v71, 16, v68
	v_cmp_lt_u32_e64 s[2:3], 31, v68
	v_and_b32_e32 v74, 1, v68
	v_cndmask_b32_e64 v68, v69, v68, s[18:19]
	v_and_b32_e32 v76, 4, v0
	v_lshrrev_b32_e32 v0, 4, v1
	v_cmp_eq_u32_e64 s[8:9], 0, v70
	v_cmp_lt_u32_e64 s[10:11], 1, v70
	v_cmp_lt_u32_e64 s[12:13], 3, v70
	;; [unrolled: 1-line block ×3, first 2 shown]
	v_cmp_eq_u32_e64 s[16:17], 0, v71
	v_cmp_eq_u32_e64 s[18:19], 0, v74
	v_lshlrev_b32_e32 v73, 2, v68
	v_and_b32_e32 v68, 0xffffffc, v0
	s_mov_b32 s30, s29
	v_add_u32_e32 v77, -4, v76
	v_mov_b32_e32 v0, 0
	s_waitcnt vmcnt(15)
	v_xor_b32_e32 v4, 0x80000000, v4
	v_xor_b32_e32 v6, 0x80000000, v6
	s_waitcnt vmcnt(14)
	v_xor_b32_e32 v8, 0x80000000, v8
	v_xor_b32_e32 v10, 0x80000000, v10
	;; [unrolled: 3-line block ×16, first 2 shown]
	s_branch .LBB104_2
.LBB104_1:                              ;   in Loop: Header=BB104_2 Depth=1
	s_add_i32 s30, s30, 1
	s_cmp_eq_u32 s30, 10
	s_cbranch_scc1 .LBB104_74
.LBB104_2:                              ; =>This Loop Header: Depth=1
                                        ;     Child Loop BB104_4 Depth 2
	s_mov_b64 s[24:25], 60
	s_mov_b32 s31, -4
	s_branch .LBB104_4
.LBB104_3:                              ;   in Loop: Header=BB104_4 Depth=2
	s_or_b64 exec, exec, s[20:21]
	s_waitcnt lgkmcnt(0)
	v_add_u32_e32 v1, v2, v1
	ds_bpermute_b32 v1, v73, v1
	s_add_i32 s31, s31, 4
	s_add_u32 s24, s24, -4
	s_addc_u32 s25, s25, -1
	s_cmp_lt_u32 s31, 60
	s_waitcnt lgkmcnt(0)
	v_cndmask_b32_e64 v1, v1, v2, s[6:7]
	ds_write_b32 v72, v1 offset:8
	s_waitcnt lgkmcnt(0)
	s_barrier
	s_cbranch_scc0 .LBB104_1
.LBB104_4:                              ;   Parent Loop BB104_2 Depth=1
                                        ; =>  This Inner Loop Header: Depth=2
	v_lshlrev_b64 v[70:71], s24, v[3:4]
	ds_write_b32 v72, v0 offset:8
	v_bfe_u32 v1, v71, 28, 1
	v_add_co_u32_e64 v74, s[20:21], -1, v1
	v_addc_co_u32_e64 v75, s[20:21], 0, -1, s[20:21]
	v_cmp_ne_u32_e64 s[20:21], 0, v1
	v_lshrrev_b32_e32 v2, 28, v71
	v_xor_b32_e32 v1, s21, v75
	v_and_b32_e32 v75, exec_hi, v1
	v_lshlrev_b32_e32 v1, 30, v2
	v_xor_b32_e32 v74, s20, v74
	v_cmp_gt_i64_e64 s[20:21], 0, v[0:1]
	v_not_b32_e32 v1, v1
	v_ashrrev_i32_e32 v1, 31, v1
	v_and_b32_e32 v74, exec_lo, v74
	v_xor_b32_e32 v78, s21, v1
	v_xor_b32_e32 v1, s20, v1
	v_and_b32_e32 v74, v74, v1
	v_lshlrev_b32_e32 v1, 29, v2
	v_cmp_gt_i64_e64 s[20:21], 0, v[0:1]
	v_not_b32_e32 v1, v1
	v_ashrrev_i32_e32 v1, 31, v1
	v_mul_u32_u24_e32 v69, 12, v2
	v_xor_b32_e32 v2, s21, v1
	v_xor_b32_e32 v1, s20, v1
	v_cmp_gt_i64_e64 s[20:21], 0, v[70:71]
	v_not_b32_e32 v70, v71
	v_ashrrev_i32_e32 v70, 31, v70
	v_and_b32_e32 v75, v75, v78
	v_and_b32_e32 v1, v74, v1
	v_xor_b32_e32 v71, s21, v70
	v_xor_b32_e32 v70, s20, v70
	v_and_b32_e32 v2, v75, v2
	v_and_b32_e32 v1, v1, v70
	;; [unrolled: 1-line block ×3, first 2 shown]
	v_mbcnt_lo_u32_b32 v70, v1, 0
	v_mbcnt_hi_u32_b32 v70, v2, v70
	v_cmp_ne_u64_e64 s[20:21], 0, v[1:2]
	v_cmp_eq_u32_e64 s[22:23], 0, v70
	s_and_b64 s[22:23], s[20:21], s[22:23]
	s_waitcnt lgkmcnt(0)
	s_barrier
	; wave barrier
	s_and_saveexec_b64 s[20:21], s[22:23]
; %bb.5:                                ;   in Loop: Header=BB104_4 Depth=2
	v_bcnt_u32_b32 v1, v1, 0
	v_bcnt_u32_b32 v1, v2, v1
	v_add_u32_e32 v2, v68, v69
	ds_write_b32 v2, v1 offset:8
; %bb.6:                                ;   in Loop: Header=BB104_4 Depth=2
	s_or_b64 exec, exec, s[20:21]
	v_lshlrev_b64 v[78:79], s24, v[5:6]
	v_lshrrev_b32_e32 v2, 28, v79
	v_mad_u32_u24 v1, v2, 12, v68
	; wave barrier
	ds_read_b32 v71, v1 offset:8
	v_bfe_u32 v1, v79, 28, 1
	v_add_co_u32_e64 v75, s[20:21], -1, v1
	v_addc_co_u32_e64 v80, s[20:21], 0, -1, s[20:21]
	v_cmp_ne_u32_e64 s[20:21], 0, v1
	v_xor_b32_e32 v1, s21, v80
	v_and_b32_e32 v80, exec_hi, v1
	v_lshlrev_b32_e32 v1, 30, v2
	v_xor_b32_e32 v75, s20, v75
	v_cmp_gt_i64_e64 s[20:21], 0, v[0:1]
	v_not_b32_e32 v1, v1
	v_ashrrev_i32_e32 v1, 31, v1
	v_and_b32_e32 v75, exec_lo, v75
	v_xor_b32_e32 v81, s21, v1
	v_xor_b32_e32 v1, s20, v1
	v_and_b32_e32 v75, v75, v1
	v_lshlrev_b32_e32 v1, 29, v2
	v_cmp_gt_i64_e64 s[20:21], 0, v[0:1]
	v_not_b32_e32 v1, v1
	v_ashrrev_i32_e32 v1, 31, v1
	v_mul_u32_u24_e32 v74, 12, v2
	v_xor_b32_e32 v2, s21, v1
	v_xor_b32_e32 v1, s20, v1
	v_and_b32_e32 v1, v75, v1
	v_cmp_gt_i64_e64 s[20:21], 0, v[78:79]
	v_not_b32_e32 v75, v79
	v_ashrrev_i32_e32 v75, 31, v75
	v_and_b32_e32 v80, v80, v81
	v_xor_b32_e32 v78, s21, v75
	v_xor_b32_e32 v75, s20, v75
	v_and_b32_e32 v2, v80, v2
	v_and_b32_e32 v1, v1, v75
	;; [unrolled: 1-line block ×3, first 2 shown]
	v_mbcnt_lo_u32_b32 v75, v1, 0
	v_mbcnt_hi_u32_b32 v75, v2, v75
	v_cmp_ne_u64_e64 s[20:21], 0, v[1:2]
	v_cmp_eq_u32_e64 s[22:23], 0, v75
	s_and_b64 s[22:23], s[20:21], s[22:23]
	; wave barrier
	s_and_saveexec_b64 s[20:21], s[22:23]
	s_cbranch_execz .LBB104_8
; %bb.7:                                ;   in Loop: Header=BB104_4 Depth=2
	v_bcnt_u32_b32 v1, v1, 0
	v_bcnt_u32_b32 v1, v2, v1
	s_waitcnt lgkmcnt(0)
	v_add_u32_e32 v1, v71, v1
	v_add_u32_e32 v2, v68, v74
	ds_write_b32 v2, v1 offset:8
.LBB104_8:                              ;   in Loop: Header=BB104_4 Depth=2
	s_or_b64 exec, exec, s[20:21]
	v_lshlrev_b64 v[80:81], s24, v[7:8]
	v_lshrrev_b32_e32 v2, 28, v81
	v_mad_u32_u24 v1, v2, 12, v68
	; wave barrier
	ds_read_b32 v78, v1 offset:8
	v_bfe_u32 v1, v81, 28, 1
	v_add_co_u32_e64 v82, s[20:21], -1, v1
	v_addc_co_u32_e64 v83, s[20:21], 0, -1, s[20:21]
	v_cmp_ne_u32_e64 s[20:21], 0, v1
	v_xor_b32_e32 v1, s21, v83
	v_and_b32_e32 v83, exec_hi, v1
	v_lshlrev_b32_e32 v1, 30, v2
	v_xor_b32_e32 v82, s20, v82
	v_cmp_gt_i64_e64 s[20:21], 0, v[0:1]
	v_not_b32_e32 v1, v1
	v_ashrrev_i32_e32 v1, 31, v1
	v_and_b32_e32 v82, exec_lo, v82
	v_xor_b32_e32 v84, s21, v1
	v_xor_b32_e32 v1, s20, v1
	v_and_b32_e32 v82, v82, v1
	v_lshlrev_b32_e32 v1, 29, v2
	v_cmp_gt_i64_e64 s[20:21], 0, v[0:1]
	v_not_b32_e32 v1, v1
	v_ashrrev_i32_e32 v1, 31, v1
	v_mul_u32_u24_e32 v79, 12, v2
	v_xor_b32_e32 v2, s21, v1
	v_xor_b32_e32 v1, s20, v1
	v_cmp_gt_i64_e64 s[20:21], 0, v[80:81]
	v_not_b32_e32 v80, v81
	v_ashrrev_i32_e32 v80, 31, v80
	v_and_b32_e32 v83, v83, v84
	v_and_b32_e32 v1, v82, v1
	v_xor_b32_e32 v81, s21, v80
	v_xor_b32_e32 v80, s20, v80
	v_and_b32_e32 v2, v83, v2
	v_and_b32_e32 v1, v1, v80
	;; [unrolled: 1-line block ×3, first 2 shown]
	v_mbcnt_lo_u32_b32 v80, v1, 0
	v_mbcnt_hi_u32_b32 v80, v2, v80
	v_cmp_ne_u64_e64 s[20:21], 0, v[1:2]
	v_cmp_eq_u32_e64 s[22:23], 0, v80
	s_and_b64 s[22:23], s[20:21], s[22:23]
	; wave barrier
	s_and_saveexec_b64 s[20:21], s[22:23]
	s_cbranch_execz .LBB104_10
; %bb.9:                                ;   in Loop: Header=BB104_4 Depth=2
	v_bcnt_u32_b32 v1, v1, 0
	v_bcnt_u32_b32 v1, v2, v1
	s_waitcnt lgkmcnt(0)
	v_add_u32_e32 v1, v78, v1
	v_add_u32_e32 v2, v68, v79
	ds_write_b32 v2, v1 offset:8
.LBB104_10:                             ;   in Loop: Header=BB104_4 Depth=2
	s_or_b64 exec, exec, s[20:21]
	v_lshlrev_b64 v[83:84], s24, v[9:10]
	v_lshrrev_b32_e32 v2, 28, v84
	v_mad_u32_u24 v1, v2, 12, v68
	; wave barrier
	ds_read_b32 v81, v1 offset:8
	v_bfe_u32 v1, v84, 28, 1
	v_add_co_u32_e64 v85, s[20:21], -1, v1
	v_addc_co_u32_e64 v86, s[20:21], 0, -1, s[20:21]
	v_cmp_ne_u32_e64 s[20:21], 0, v1
	v_xor_b32_e32 v1, s21, v86
	v_and_b32_e32 v86, exec_hi, v1
	v_lshlrev_b32_e32 v1, 30, v2
	v_xor_b32_e32 v85, s20, v85
	v_cmp_gt_i64_e64 s[20:21], 0, v[0:1]
	v_not_b32_e32 v1, v1
	v_ashrrev_i32_e32 v1, 31, v1
	v_and_b32_e32 v85, exec_lo, v85
	v_xor_b32_e32 v87, s21, v1
	v_xor_b32_e32 v1, s20, v1
	v_and_b32_e32 v85, v85, v1
	v_lshlrev_b32_e32 v1, 29, v2
	v_cmp_gt_i64_e64 s[20:21], 0, v[0:1]
	v_not_b32_e32 v1, v1
	v_ashrrev_i32_e32 v1, 31, v1
	v_mul_u32_u24_e32 v82, 12, v2
	v_xor_b32_e32 v2, s21, v1
	v_xor_b32_e32 v1, s20, v1
	v_cmp_gt_i64_e64 s[20:21], 0, v[83:84]
	v_not_b32_e32 v83, v84
	v_ashrrev_i32_e32 v83, 31, v83
	v_and_b32_e32 v86, v86, v87
	v_and_b32_e32 v1, v85, v1
	v_xor_b32_e32 v84, s21, v83
	v_xor_b32_e32 v83, s20, v83
	v_and_b32_e32 v2, v86, v2
	v_and_b32_e32 v1, v1, v83
	v_and_b32_e32 v2, v2, v84
	v_mbcnt_lo_u32_b32 v83, v1, 0
	v_mbcnt_hi_u32_b32 v83, v2, v83
	v_cmp_ne_u64_e64 s[20:21], 0, v[1:2]
	v_cmp_eq_u32_e64 s[22:23], 0, v83
	s_and_b64 s[22:23], s[20:21], s[22:23]
	; wave barrier
	s_and_saveexec_b64 s[20:21], s[22:23]
	s_cbranch_execz .LBB104_12
; %bb.11:                               ;   in Loop: Header=BB104_4 Depth=2
	v_bcnt_u32_b32 v1, v1, 0
	v_bcnt_u32_b32 v1, v2, v1
	s_waitcnt lgkmcnt(0)
	v_add_u32_e32 v1, v81, v1
	v_add_u32_e32 v2, v68, v82
	ds_write_b32 v2, v1 offset:8
.LBB104_12:                             ;   in Loop: Header=BB104_4 Depth=2
	s_or_b64 exec, exec, s[20:21]
	v_lshlrev_b64 v[86:87], s24, v[11:12]
	v_lshrrev_b32_e32 v2, 28, v87
	v_mad_u32_u24 v1, v2, 12, v68
	; wave barrier
	ds_read_b32 v84, v1 offset:8
	v_bfe_u32 v1, v87, 28, 1
	v_add_co_u32_e64 v88, s[20:21], -1, v1
	v_addc_co_u32_e64 v89, s[20:21], 0, -1, s[20:21]
	v_cmp_ne_u32_e64 s[20:21], 0, v1
	v_xor_b32_e32 v1, s21, v89
	v_and_b32_e32 v89, exec_hi, v1
	v_lshlrev_b32_e32 v1, 30, v2
	v_xor_b32_e32 v88, s20, v88
	v_cmp_gt_i64_e64 s[20:21], 0, v[0:1]
	v_not_b32_e32 v1, v1
	v_ashrrev_i32_e32 v1, 31, v1
	v_and_b32_e32 v88, exec_lo, v88
	v_xor_b32_e32 v90, s21, v1
	v_xor_b32_e32 v1, s20, v1
	v_and_b32_e32 v88, v88, v1
	v_lshlrev_b32_e32 v1, 29, v2
	v_cmp_gt_i64_e64 s[20:21], 0, v[0:1]
	v_not_b32_e32 v1, v1
	v_ashrrev_i32_e32 v1, 31, v1
	v_mul_u32_u24_e32 v85, 12, v2
	v_xor_b32_e32 v2, s21, v1
	v_xor_b32_e32 v1, s20, v1
	v_cmp_gt_i64_e64 s[20:21], 0, v[86:87]
	v_not_b32_e32 v86, v87
	v_ashrrev_i32_e32 v86, 31, v86
	v_and_b32_e32 v89, v89, v90
	v_and_b32_e32 v1, v88, v1
	v_xor_b32_e32 v87, s21, v86
	v_xor_b32_e32 v86, s20, v86
	v_and_b32_e32 v2, v89, v2
	v_and_b32_e32 v1, v1, v86
	v_and_b32_e32 v2, v2, v87
	v_mbcnt_lo_u32_b32 v86, v1, 0
	v_mbcnt_hi_u32_b32 v86, v2, v86
	v_cmp_ne_u64_e64 s[20:21], 0, v[1:2]
	v_cmp_eq_u32_e64 s[22:23], 0, v86
	s_and_b64 s[22:23], s[20:21], s[22:23]
	; wave barrier
	s_and_saveexec_b64 s[20:21], s[22:23]
	s_cbranch_execz .LBB104_14
; %bb.13:                               ;   in Loop: Header=BB104_4 Depth=2
	v_bcnt_u32_b32 v1, v1, 0
	v_bcnt_u32_b32 v1, v2, v1
	s_waitcnt lgkmcnt(0)
	v_add_u32_e32 v1, v84, v1
	v_add_u32_e32 v2, v68, v85
	ds_write_b32 v2, v1 offset:8
.LBB104_14:                             ;   in Loop: Header=BB104_4 Depth=2
	;; [unrolled: 54-line block ×13, first 2 shown]
	s_or_b64 exec, exec, s[20:21]
	v_lshlrev_b64 v[123:124], s24, v[35:36]
	v_lshrrev_b32_e32 v2, 28, v124
	v_mad_u32_u24 v1, v2, 12, v68
	; wave barrier
	ds_read_b32 v120, v1 offset:8
	v_bfe_u32 v1, v124, 28, 1
	v_add_co_u32_e64 v121, s[20:21], -1, v1
	v_addc_co_u32_e64 v125, s[20:21], 0, -1, s[20:21]
	v_cmp_ne_u32_e64 s[20:21], 0, v1
	v_xor_b32_e32 v1, s21, v125
	v_and_b32_e32 v125, exec_hi, v1
	v_lshlrev_b32_e32 v1, 30, v2
	v_xor_b32_e32 v121, s20, v121
	v_cmp_gt_i64_e64 s[20:21], 0, v[0:1]
	v_not_b32_e32 v1, v1
	v_ashrrev_i32_e32 v1, 31, v1
	v_and_b32_e32 v121, exec_lo, v121
	v_xor_b32_e32 v126, s21, v1
	v_xor_b32_e32 v1, s20, v1
	v_and_b32_e32 v121, v121, v1
	v_lshlrev_b32_e32 v1, 29, v2
	v_cmp_gt_i64_e64 s[20:21], 0, v[0:1]
	v_not_b32_e32 v1, v1
	v_ashrrev_i32_e32 v1, 31, v1
	v_mul_u32_u24_e32 v122, 12, v2
	v_xor_b32_e32 v2, s21, v1
	v_xor_b32_e32 v1, s20, v1
	v_and_b32_e32 v1, v121, v1
	v_cmp_gt_i64_e64 s[20:21], 0, v[123:124]
	v_not_b32_e32 v121, v124
	v_ashrrev_i32_e32 v121, 31, v121
	v_and_b32_e32 v125, v125, v126
	v_xor_b32_e32 v123, s21, v121
	v_xor_b32_e32 v121, s20, v121
	v_and_b32_e32 v2, v125, v2
	v_and_b32_e32 v1, v1, v121
	v_and_b32_e32 v2, v2, v123
	v_mbcnt_lo_u32_b32 v121, v1, 0
	v_mbcnt_hi_u32_b32 v121, v2, v121
	v_cmp_ne_u64_e64 s[20:21], 0, v[1:2]
	v_cmp_eq_u32_e64 s[22:23], 0, v121
	s_and_b64 s[22:23], s[20:21], s[22:23]
	; wave barrier
	s_and_saveexec_b64 s[20:21], s[22:23]
	s_cbranch_execz .LBB104_38
; %bb.37:                               ;   in Loop: Header=BB104_4 Depth=2
	v_bcnt_u32_b32 v1, v1, 0
	v_bcnt_u32_b32 v1, v2, v1
	s_waitcnt lgkmcnt(0)
	v_add_u32_e32 v1, v120, v1
	v_add_u32_e32 v2, v68, v122
	ds_write_b32 v2, v1 offset:8
.LBB104_38:                             ;   in Loop: Header=BB104_4 Depth=2
	s_or_b64 exec, exec, s[20:21]
	v_lshlrev_b64 v[126:127], s24, v[37:38]
	v_lshrrev_b32_e32 v2, 28, v127
	v_mad_u32_u24 v1, v2, 12, v68
	; wave barrier
	ds_read_b32 v123, v1 offset:8
	v_bfe_u32 v1, v127, 28, 1
	v_add_co_u32_e64 v124, s[20:21], -1, v1
	v_addc_co_u32_e64 v128, s[20:21], 0, -1, s[20:21]
	v_cmp_ne_u32_e64 s[20:21], 0, v1
	v_xor_b32_e32 v1, s21, v128
	v_and_b32_e32 v128, exec_hi, v1
	v_lshlrev_b32_e32 v1, 30, v2
	v_xor_b32_e32 v124, s20, v124
	v_cmp_gt_i64_e64 s[20:21], 0, v[0:1]
	v_not_b32_e32 v1, v1
	v_ashrrev_i32_e32 v1, 31, v1
	v_and_b32_e32 v124, exec_lo, v124
	v_xor_b32_e32 v129, s21, v1
	v_xor_b32_e32 v1, s20, v1
	v_and_b32_e32 v124, v124, v1
	v_lshlrev_b32_e32 v1, 29, v2
	v_cmp_gt_i64_e64 s[20:21], 0, v[0:1]
	v_not_b32_e32 v1, v1
	v_ashrrev_i32_e32 v1, 31, v1
	v_mul_u32_u24_e32 v125, 12, v2
	v_xor_b32_e32 v2, s21, v1
	v_xor_b32_e32 v1, s20, v1
	v_and_b32_e32 v1, v124, v1
	v_cmp_gt_i64_e64 s[20:21], 0, v[126:127]
	v_not_b32_e32 v124, v127
	v_ashrrev_i32_e32 v124, 31, v124
	v_and_b32_e32 v128, v128, v129
	v_xor_b32_e32 v126, s21, v124
	v_xor_b32_e32 v124, s20, v124
	v_and_b32_e32 v2, v128, v2
	v_and_b32_e32 v1, v1, v124
	v_and_b32_e32 v2, v2, v126
	v_mbcnt_lo_u32_b32 v124, v1, 0
	v_mbcnt_hi_u32_b32 v124, v2, v124
	v_cmp_ne_u64_e64 s[20:21], 0, v[1:2]
	v_cmp_eq_u32_e64 s[22:23], 0, v124
	s_and_b64 s[22:23], s[20:21], s[22:23]
	; wave barrier
	s_and_saveexec_b64 s[20:21], s[22:23]
	s_cbranch_execz .LBB104_40
; %bb.39:                               ;   in Loop: Header=BB104_4 Depth=2
	v_bcnt_u32_b32 v1, v1, 0
	v_bcnt_u32_b32 v1, v2, v1
	s_waitcnt lgkmcnt(0)
	v_add_u32_e32 v1, v123, v1
	v_add_u32_e32 v2, v68, v125
	ds_write_b32 v2, v1 offset:8
.LBB104_40:                             ;   in Loop: Header=BB104_4 Depth=2
	;; [unrolled: 54-line block ×6, first 2 shown]
	s_or_b64 exec, exec, s[20:21]
	v_lshlrev_b64 v[140:141], s24, v[47:48]
	v_lshrrev_b32_e32 v2, 28, v141
	v_mad_u32_u24 v1, v2, 12, v68
	; wave barrier
	ds_read_b32 v138, v1 offset:8
	v_bfe_u32 v1, v141, 28, 1
	v_add_co_u32_e64 v142, s[20:21], -1, v1
	v_addc_co_u32_e64 v143, s[20:21], 0, -1, s[20:21]
	v_cmp_ne_u32_e64 s[20:21], 0, v1
	v_xor_b32_e32 v1, s21, v143
	v_and_b32_e32 v143, exec_hi, v1
	v_lshlrev_b32_e32 v1, 30, v2
	v_xor_b32_e32 v142, s20, v142
	v_cmp_gt_i64_e64 s[20:21], 0, v[0:1]
	v_not_b32_e32 v1, v1
	v_ashrrev_i32_e32 v1, 31, v1
	v_and_b32_e32 v142, exec_lo, v142
	v_xor_b32_e32 v144, s21, v1
	v_xor_b32_e32 v1, s20, v1
	v_and_b32_e32 v142, v142, v1
	v_lshlrev_b32_e32 v1, 29, v2
	v_cmp_gt_i64_e64 s[20:21], 0, v[0:1]
	v_not_b32_e32 v1, v1
	v_ashrrev_i32_e32 v1, 31, v1
	v_mul_u32_u24_e32 v139, 12, v2
	v_xor_b32_e32 v2, s21, v1
	v_xor_b32_e32 v1, s20, v1
	v_cmp_gt_i64_e64 s[20:21], 0, v[140:141]
	v_not_b32_e32 v140, v141
	v_ashrrev_i32_e32 v140, 31, v140
	v_and_b32_e32 v143, v143, v144
	v_and_b32_e32 v1, v142, v1
	v_xor_b32_e32 v141, s21, v140
	v_xor_b32_e32 v140, s20, v140
	v_and_b32_e32 v2, v143, v2
	v_and_b32_e32 v1, v1, v140
	;; [unrolled: 1-line block ×3, first 2 shown]
	v_mbcnt_lo_u32_b32 v140, v1, 0
	v_mbcnt_hi_u32_b32 v140, v2, v140
	v_cmp_ne_u64_e64 s[20:21], 0, v[1:2]
	v_cmp_eq_u32_e64 s[22:23], 0, v140
	s_and_b64 s[22:23], s[20:21], s[22:23]
	; wave barrier
	s_and_saveexec_b64 s[20:21], s[22:23]
	s_cbranch_execz .LBB104_50
; %bb.49:                               ;   in Loop: Header=BB104_4 Depth=2
	v_bcnt_u32_b32 v1, v1, 0
	v_bcnt_u32_b32 v1, v2, v1
	s_waitcnt lgkmcnt(0)
	v_add_u32_e32 v1, v138, v1
	v_add_u32_e32 v2, v68, v139
	ds_write_b32 v2, v1 offset:8
.LBB104_50:                             ;   in Loop: Header=BB104_4 Depth=2
	s_or_b64 exec, exec, s[20:21]
	v_lshlrev_b64 v[143:144], s24, v[49:50]
	v_lshrrev_b32_e32 v2, 28, v144
	v_mad_u32_u24 v1, v2, 12, v68
	; wave barrier
	ds_read_b32 v141, v1 offset:8
	v_bfe_u32 v1, v144, 28, 1
	v_add_co_u32_e64 v145, s[20:21], -1, v1
	v_addc_co_u32_e64 v146, s[20:21], 0, -1, s[20:21]
	v_cmp_ne_u32_e64 s[20:21], 0, v1
	v_xor_b32_e32 v1, s21, v146
	v_and_b32_e32 v146, exec_hi, v1
	v_lshlrev_b32_e32 v1, 30, v2
	v_xor_b32_e32 v145, s20, v145
	v_cmp_gt_i64_e64 s[20:21], 0, v[0:1]
	v_not_b32_e32 v1, v1
	v_ashrrev_i32_e32 v1, 31, v1
	v_and_b32_e32 v145, exec_lo, v145
	v_xor_b32_e32 v147, s21, v1
	v_xor_b32_e32 v1, s20, v1
	v_and_b32_e32 v145, v145, v1
	v_lshlrev_b32_e32 v1, 29, v2
	v_cmp_gt_i64_e64 s[20:21], 0, v[0:1]
	v_not_b32_e32 v1, v1
	v_ashrrev_i32_e32 v1, 31, v1
	v_mul_u32_u24_e32 v142, 12, v2
	v_xor_b32_e32 v2, s21, v1
	v_xor_b32_e32 v1, s20, v1
	v_cmp_gt_i64_e64 s[20:21], 0, v[143:144]
	v_not_b32_e32 v143, v144
	v_ashrrev_i32_e32 v143, 31, v143
	v_and_b32_e32 v146, v146, v147
	v_and_b32_e32 v1, v145, v1
	v_xor_b32_e32 v144, s21, v143
	v_xor_b32_e32 v143, s20, v143
	v_and_b32_e32 v2, v146, v2
	v_and_b32_e32 v1, v1, v143
	v_and_b32_e32 v2, v2, v144
	v_mbcnt_lo_u32_b32 v143, v1, 0
	v_mbcnt_hi_u32_b32 v143, v2, v143
	v_cmp_ne_u64_e64 s[20:21], 0, v[1:2]
	v_cmp_eq_u32_e64 s[22:23], 0, v143
	s_and_b64 s[22:23], s[20:21], s[22:23]
	; wave barrier
	s_and_saveexec_b64 s[20:21], s[22:23]
	s_cbranch_execz .LBB104_52
; %bb.51:                               ;   in Loop: Header=BB104_4 Depth=2
	v_bcnt_u32_b32 v1, v1, 0
	v_bcnt_u32_b32 v1, v2, v1
	s_waitcnt lgkmcnt(0)
	v_add_u32_e32 v1, v141, v1
	v_add_u32_e32 v2, v68, v142
	ds_write_b32 v2, v1 offset:8
.LBB104_52:                             ;   in Loop: Header=BB104_4 Depth=2
	s_or_b64 exec, exec, s[20:21]
	v_lshlrev_b64 v[147:148], s24, v[51:52]
	v_lshrrev_b32_e32 v2, 28, v148
	v_mad_u32_u24 v1, v2, 12, v68
	; wave barrier
	ds_read_b32 v144, v1 offset:8
	v_bfe_u32 v1, v148, 28, 1
	v_add_co_u32_e64 v145, s[20:21], -1, v1
	v_addc_co_u32_e64 v149, s[20:21], 0, -1, s[20:21]
	v_cmp_ne_u32_e64 s[20:21], 0, v1
	v_xor_b32_e32 v1, s21, v149
	v_and_b32_e32 v149, exec_hi, v1
	v_lshlrev_b32_e32 v1, 30, v2
	v_xor_b32_e32 v145, s20, v145
	v_cmp_gt_i64_e64 s[20:21], 0, v[0:1]
	v_not_b32_e32 v1, v1
	v_ashrrev_i32_e32 v1, 31, v1
	v_and_b32_e32 v145, exec_lo, v145
	v_xor_b32_e32 v150, s21, v1
	v_xor_b32_e32 v1, s20, v1
	v_and_b32_e32 v145, v145, v1
	v_lshlrev_b32_e32 v1, 29, v2
	v_cmp_gt_i64_e64 s[20:21], 0, v[0:1]
	v_not_b32_e32 v1, v1
	v_ashrrev_i32_e32 v1, 31, v1
	v_mul_u32_u24_e32 v146, 12, v2
	v_xor_b32_e32 v2, s21, v1
	v_xor_b32_e32 v1, s20, v1
	v_and_b32_e32 v1, v145, v1
	v_cmp_gt_i64_e64 s[20:21], 0, v[147:148]
	v_not_b32_e32 v145, v148
	v_ashrrev_i32_e32 v145, 31, v145
	v_and_b32_e32 v149, v149, v150
	v_xor_b32_e32 v147, s21, v145
	v_xor_b32_e32 v145, s20, v145
	v_and_b32_e32 v2, v149, v2
	v_and_b32_e32 v1, v1, v145
	v_and_b32_e32 v2, v2, v147
	v_mbcnt_lo_u32_b32 v145, v1, 0
	v_mbcnt_hi_u32_b32 v145, v2, v145
	v_cmp_ne_u64_e64 s[20:21], 0, v[1:2]
	v_cmp_eq_u32_e64 s[22:23], 0, v145
	s_and_b64 s[22:23], s[20:21], s[22:23]
	; wave barrier
	s_and_saveexec_b64 s[20:21], s[22:23]
	s_cbranch_execz .LBB104_54
; %bb.53:                               ;   in Loop: Header=BB104_4 Depth=2
	v_bcnt_u32_b32 v1, v1, 0
	v_bcnt_u32_b32 v1, v2, v1
	s_waitcnt lgkmcnt(0)
	v_add_u32_e32 v1, v144, v1
	v_add_u32_e32 v2, v68, v146
	ds_write_b32 v2, v1 offset:8
.LBB104_54:                             ;   in Loop: Header=BB104_4 Depth=2
	s_or_b64 exec, exec, s[20:21]
	v_lshlrev_b64 v[150:151], s24, v[53:54]
	v_lshrrev_b32_e32 v2, 28, v151
	v_mad_u32_u24 v1, v2, 12, v68
	; wave barrier
	ds_read_b32 v147, v1 offset:8
	v_bfe_u32 v1, v151, 28, 1
	v_add_co_u32_e64 v148, s[20:21], -1, v1
	v_addc_co_u32_e64 v152, s[20:21], 0, -1, s[20:21]
	v_cmp_ne_u32_e64 s[20:21], 0, v1
	v_xor_b32_e32 v1, s21, v152
	v_and_b32_e32 v152, exec_hi, v1
	v_lshlrev_b32_e32 v1, 30, v2
	v_xor_b32_e32 v148, s20, v148
	v_cmp_gt_i64_e64 s[20:21], 0, v[0:1]
	v_not_b32_e32 v1, v1
	v_ashrrev_i32_e32 v1, 31, v1
	v_and_b32_e32 v148, exec_lo, v148
	v_xor_b32_e32 v153, s21, v1
	v_xor_b32_e32 v1, s20, v1
	v_and_b32_e32 v148, v148, v1
	v_lshlrev_b32_e32 v1, 29, v2
	v_cmp_gt_i64_e64 s[20:21], 0, v[0:1]
	v_not_b32_e32 v1, v1
	v_ashrrev_i32_e32 v1, 31, v1
	v_mul_u32_u24_e32 v149, 12, v2
	v_xor_b32_e32 v2, s21, v1
	v_xor_b32_e32 v1, s20, v1
	v_and_b32_e32 v1, v148, v1
	v_cmp_gt_i64_e64 s[20:21], 0, v[150:151]
	v_not_b32_e32 v148, v151
	v_ashrrev_i32_e32 v148, 31, v148
	;; [unrolled: 54-line block ×8, first 2 shown]
	v_and_b32_e32 v170, v170, v171
	v_xor_b32_e32 v168, s21, v166
	v_xor_b32_e32 v166, s20, v166
	v_and_b32_e32 v2, v170, v2
	v_and_b32_e32 v1, v1, v166
	;; [unrolled: 1-line block ×3, first 2 shown]
	v_mbcnt_lo_u32_b32 v166, v1, 0
	v_mbcnt_hi_u32_b32 v166, v2, v166
	v_cmp_ne_u64_e64 s[20:21], 0, v[1:2]
	v_cmp_eq_u32_e64 s[22:23], 0, v166
	s_and_b64 s[22:23], s[20:21], s[22:23]
	; wave barrier
	s_and_saveexec_b64 s[20:21], s[22:23]
	s_cbranch_execz .LBB104_68
; %bb.67:                               ;   in Loop: Header=BB104_4 Depth=2
	v_bcnt_u32_b32 v1, v1, 0
	v_bcnt_u32_b32 v1, v2, v1
	s_waitcnt lgkmcnt(0)
	v_add_u32_e32 v1, v165, v1
	v_add_u32_e32 v2, v68, v167
	ds_write_b32 v2, v1 offset:8
.LBB104_68:                             ;   in Loop: Header=BB104_4 Depth=2
	s_or_b64 exec, exec, s[20:21]
	; wave barrier
	s_waitcnt lgkmcnt(0)
	s_barrier
	ds_read_b32 v1, v72 offset:8
	s_waitcnt lgkmcnt(0)
	s_nop 0
	v_mov_b32_dpp v2, v1 row_shr:1 row_mask:0xf bank_mask:0xf
	v_cndmask_b32_e64 v2, v2, 0, s[8:9]
	v_add_u32_e32 v1, v2, v1
	s_nop 1
	v_mov_b32_dpp v2, v1 row_shr:2 row_mask:0xf bank_mask:0xf
	v_cndmask_b32_e64 v2, 0, v2, s[10:11]
	v_add_u32_e32 v1, v1, v2
	;; [unrolled: 4-line block ×4, first 2 shown]
	s_nop 1
	v_mov_b32_dpp v2, v1 row_bcast:15 row_mask:0xf bank_mask:0xf
	v_cndmask_b32_e64 v2, v2, 0, s[16:17]
	v_add_u32_e32 v1, v1, v2
	s_nop 1
	v_mov_b32_dpp v2, v1 row_bcast:31 row_mask:0xf bank_mask:0xf
	v_cndmask_b32_e64 v2, 0, v2, s[2:3]
	v_add_u32_e32 v1, v1, v2
	s_and_saveexec_b64 s[20:21], s[4:5]
; %bb.69:                               ;   in Loop: Header=BB104_4 Depth=2
	ds_write_b32 v76, v1
; %bb.70:                               ;   in Loop: Header=BB104_4 Depth=2
	s_or_b64 exec, exec, s[20:21]
	s_waitcnt lgkmcnt(0)
	s_barrier
	s_and_saveexec_b64 s[20:21], vcc
	s_cbranch_execz .LBB104_72
; %bb.71:                               ;   in Loop: Header=BB104_4 Depth=2
	ds_read_b32 v2, v72
	s_waitcnt lgkmcnt(0)
	s_nop 0
	v_mov_b32_dpp v168, v2 row_shr:1 row_mask:0xf bank_mask:0xf
	v_cndmask_b32_e64 v168, v168, 0, s[18:19]
	v_add_u32_e32 v2, v168, v2
	ds_write_b32 v72, v2
.LBB104_72:                             ;   in Loop: Header=BB104_4 Depth=2
	s_or_b64 exec, exec, s[20:21]
	v_mov_b32_e32 v2, 0
	s_waitcnt lgkmcnt(0)
	s_barrier
	s_and_saveexec_b64 s[20:21], s[0:1]
	s_cbranch_execz .LBB104_3
; %bb.73:                               ;   in Loop: Header=BB104_4 Depth=2
	ds_read_b32 v2, v77
	s_branch .LBB104_3
.LBB104_74:
	v_add_u32_e32 v0, v68, v167
	v_add_u32_e32 v1, v68, v164
	;; [unrolled: 1-line block ×8, first 2 shown]
	ds_read_b32 v0, v0 offset:8
	ds_read_b32 v1, v1 offset:8
	;; [unrolled: 1-line block ×8, first 2 shown]
	s_waitcnt lgkmcnt(7)
	v_add3_u32 v3, v166, v165, v0
	s_waitcnt lgkmcnt(6)
	v_add3_u32 v2, v163, v162, v1
	;; [unrolled: 2-line block ×4, first 2 shown]
	v_add_u32_e32 v8, v68, v142
	v_add_u32_e32 v9, v68, v139
	;; [unrolled: 1-line block ×4, first 2 shown]
	s_waitcnt lgkmcnt(3)
	v_add3_u32 v7, v154, v153, v4
	s_waitcnt lgkmcnt(2)
	v_add3_u32 v6, v151, v150, v5
	;; [unrolled: 2-line block ×4, first 2 shown]
	v_add_u32_e32 v10, v68, v137
	v_add_u32_e32 v11, v68, v134
	;; [unrolled: 1-line block ×4, first 2 shown]
	ds_read_b32 v8, v8 offset:8
	ds_read_b32 v9, v9 offset:8
	;; [unrolled: 1-line block ×8, first 2 shown]
	s_waitcnt lgkmcnt(7)
	v_add3_u32 v11, v143, v141, v8
	v_add_u32_e32 v8, v68, v118
	v_add_u32_e32 v20, v68, v106
	;; [unrolled: 1-line block ×3, first 2 shown]
	s_waitcnt lgkmcnt(6)
	v_add3_u32 v10, v140, v138, v9
	v_add_u32_e32 v9, v68, v115
	v_add_u32_e32 v14, v68, v112
	;; [unrolled: 1-line block ×5, first 2 shown]
	ds_read_b32 v24, v8 offset:8
	ds_read_b32 v25, v9 offset:8
	;; [unrolled: 1-line block ×8, first 2 shown]
	v_add_u32_e32 v8, v68, v94
	v_add_u32_e32 v9, v68, v91
	;; [unrolled: 1-line block ×8, first 2 shown]
	ds_read_b32 v32, v8 offset:8
	ds_read_b32 v33, v9 offset:8
	;; [unrolled: 1-line block ×8, first 2 shown]
	s_lshl_b64 s[0:1], s[28:29], 2
	s_add_u32 s0, s26, s0
	s_waitcnt lgkmcnt(14)
	v_add3_u32 v9, v136, v135, v16
	s_waitcnt lgkmcnt(12)
	v_add3_u32 v16, v110, v108, v27
	;; [unrolled: 2-line block ×10, first 2 shown]
	s_waitcnt lgkmcnt(0)
	v_add_u32_e32 v28, v39, v70
	s_addc_u32 s1, s27, s1
	v_lshlrev_b32_e32 v32, 2, v67
	v_add3_u32 v8, v133, v132, v17
	v_add3_u32 v15, v130, v129, v12
	;; [unrolled: 1-line block ×11, first 2 shown]
	global_store_dwordx4 v32, v[28:31], s[0:1]
	global_store_dwordx4 v32, v[24:27], s[0:1] offset:16
	global_store_dwordx4 v32, v[20:23], s[0:1] offset:32
	;; [unrolled: 1-line block ×7, first 2 shown]
	s_endpgm
	.section	.rodata,"a",@progbits
	.p2align	6, 0x0
	.amdhsa_kernel _Z11rank_kernelIxLj4ELb0EL18RadixRankAlgorithm2ELj128ELj32ELj10EEvPKT_Pi
		.amdhsa_group_segment_fixed_size 520
		.amdhsa_private_segment_fixed_size 0
		.amdhsa_kernarg_size 272
		.amdhsa_user_sgpr_count 6
		.amdhsa_user_sgpr_private_segment_buffer 1
		.amdhsa_user_sgpr_dispatch_ptr 0
		.amdhsa_user_sgpr_queue_ptr 0
		.amdhsa_user_sgpr_kernarg_segment_ptr 1
		.amdhsa_user_sgpr_dispatch_id 0
		.amdhsa_user_sgpr_flat_scratch_init 0
		.amdhsa_user_sgpr_private_segment_size 0
		.amdhsa_uses_dynamic_stack 0
		.amdhsa_system_sgpr_private_segment_wavefront_offset 0
		.amdhsa_system_sgpr_workgroup_id_x 1
		.amdhsa_system_sgpr_workgroup_id_y 0
		.amdhsa_system_sgpr_workgroup_id_z 0
		.amdhsa_system_sgpr_workgroup_info 0
		.amdhsa_system_vgpr_workitem_id 2
		.amdhsa_next_free_vgpr 172
		.amdhsa_next_free_sgpr 32
		.amdhsa_reserve_vcc 1
		.amdhsa_reserve_flat_scratch 0
		.amdhsa_float_round_mode_32 0
		.amdhsa_float_round_mode_16_64 0
		.amdhsa_float_denorm_mode_32 3
		.amdhsa_float_denorm_mode_16_64 3
		.amdhsa_dx10_clamp 1
		.amdhsa_ieee_mode 1
		.amdhsa_fp16_overflow 0
		.amdhsa_exception_fp_ieee_invalid_op 0
		.amdhsa_exception_fp_denorm_src 0
		.amdhsa_exception_fp_ieee_div_zero 0
		.amdhsa_exception_fp_ieee_overflow 0
		.amdhsa_exception_fp_ieee_underflow 0
		.amdhsa_exception_fp_ieee_inexact 0
		.amdhsa_exception_int_div_zero 0
	.end_amdhsa_kernel
	.section	.text._Z11rank_kernelIxLj4ELb0EL18RadixRankAlgorithm2ELj128ELj32ELj10EEvPKT_Pi,"axG",@progbits,_Z11rank_kernelIxLj4ELb0EL18RadixRankAlgorithm2ELj128ELj32ELj10EEvPKT_Pi,comdat
.Lfunc_end104:
	.size	_Z11rank_kernelIxLj4ELb0EL18RadixRankAlgorithm2ELj128ELj32ELj10EEvPKT_Pi, .Lfunc_end104-_Z11rank_kernelIxLj4ELb0EL18RadixRankAlgorithm2ELj128ELj32ELj10EEvPKT_Pi
                                        ; -- End function
	.set _Z11rank_kernelIxLj4ELb0EL18RadixRankAlgorithm2ELj128ELj32ELj10EEvPKT_Pi.num_vgpr, 172
	.set _Z11rank_kernelIxLj4ELb0EL18RadixRankAlgorithm2ELj128ELj32ELj10EEvPKT_Pi.num_agpr, 0
	.set _Z11rank_kernelIxLj4ELb0EL18RadixRankAlgorithm2ELj128ELj32ELj10EEvPKT_Pi.numbered_sgpr, 32
	.set _Z11rank_kernelIxLj4ELb0EL18RadixRankAlgorithm2ELj128ELj32ELj10EEvPKT_Pi.num_named_barrier, 0
	.set _Z11rank_kernelIxLj4ELb0EL18RadixRankAlgorithm2ELj128ELj32ELj10EEvPKT_Pi.private_seg_size, 0
	.set _Z11rank_kernelIxLj4ELb0EL18RadixRankAlgorithm2ELj128ELj32ELj10EEvPKT_Pi.uses_vcc, 1
	.set _Z11rank_kernelIxLj4ELb0EL18RadixRankAlgorithm2ELj128ELj32ELj10EEvPKT_Pi.uses_flat_scratch, 0
	.set _Z11rank_kernelIxLj4ELb0EL18RadixRankAlgorithm2ELj128ELj32ELj10EEvPKT_Pi.has_dyn_sized_stack, 0
	.set _Z11rank_kernelIxLj4ELb0EL18RadixRankAlgorithm2ELj128ELj32ELj10EEvPKT_Pi.has_recursion, 0
	.set _Z11rank_kernelIxLj4ELb0EL18RadixRankAlgorithm2ELj128ELj32ELj10EEvPKT_Pi.has_indirect_call, 0
	.section	.AMDGPU.csdata,"",@progbits
; Kernel info:
; codeLenInByte = 10444
; TotalNumSgprs: 36
; NumVgprs: 172
; ScratchSize: 0
; MemoryBound: 0
; FloatMode: 240
; IeeeMode: 1
; LDSByteSize: 520 bytes/workgroup (compile time only)
; SGPRBlocks: 4
; VGPRBlocks: 42
; NumSGPRsForWavesPerEU: 36
; NumVGPRsForWavesPerEU: 172
; Occupancy: 1
; WaveLimiterHint : 0
; COMPUTE_PGM_RSRC2:SCRATCH_EN: 0
; COMPUTE_PGM_RSRC2:USER_SGPR: 6
; COMPUTE_PGM_RSRC2:TRAP_HANDLER: 0
; COMPUTE_PGM_RSRC2:TGID_X_EN: 1
; COMPUTE_PGM_RSRC2:TGID_Y_EN: 0
; COMPUTE_PGM_RSRC2:TGID_Z_EN: 0
; COMPUTE_PGM_RSRC2:TIDIG_COMP_CNT: 2
	.section	.text._Z11rank_kernelIxLj4ELb0EL18RadixRankAlgorithm0ELj256ELj1ELj10EEvPKT_Pi,"axG",@progbits,_Z11rank_kernelIxLj4ELb0EL18RadixRankAlgorithm0ELj256ELj1ELj10EEvPKT_Pi,comdat
	.protected	_Z11rank_kernelIxLj4ELb0EL18RadixRankAlgorithm0ELj256ELj1ELj10EEvPKT_Pi ; -- Begin function _Z11rank_kernelIxLj4ELb0EL18RadixRankAlgorithm0ELj256ELj1ELj10EEvPKT_Pi
	.globl	_Z11rank_kernelIxLj4ELb0EL18RadixRankAlgorithm0ELj256ELj1ELj10EEvPKT_Pi
	.p2align	8
	.type	_Z11rank_kernelIxLj4ELb0EL18RadixRankAlgorithm0ELj256ELj1ELj10EEvPKT_Pi,@function
_Z11rank_kernelIxLj4ELb0EL18RadixRankAlgorithm0ELj256ELj1ELj10EEvPKT_Pi: ; @_Z11rank_kernelIxLj4ELb0EL18RadixRankAlgorithm0ELj256ELj1ELj10EEvPKT_Pi
; %bb.0:
	s_load_dwordx4 s[24:27], s[4:5], 0x0
	s_lshl_b32 s28, s6, 8
	s_mov_b32 s29, 0
	s_lshl_b64 s[0:1], s[28:29], 3
	v_lshlrev_b32_e32 v1, 3, v0
	s_waitcnt lgkmcnt(0)
	s_add_u32 s0, s24, s0
	s_addc_u32 s1, s25, s1
	global_load_dwordx2 v[1:2], v1, s[0:1]
	v_mbcnt_lo_u32_b32 v5, -1, 0
	v_mbcnt_hi_u32_b32 v9, -1, v5
	v_subrev_co_u32_e64 v13, s[6:7], 1, v9
	v_and_b32_e32 v14, 64, v9
	v_cmp_lt_i32_e64 s[18:19], v13, v14
	v_lshlrev_b32_e32 v4, 5, v0
	v_or_b32_e32 v7, 63, v0
	v_lshrrev_b32_e32 v8, 4, v0
	v_mul_i32_i24_e32 v10, 0xffffffe4, v0
	v_and_b32_e32 v11, 15, v9
	v_and_b32_e32 v12, 16, v9
	v_cmp_lt_u32_e64 s[2:3], 31, v9
	v_and_b32_e32 v15, 3, v9
	v_cndmask_b32_e64 v9, v13, v9, s[18:19]
	v_mov_b32_e32 v3, 0
	s_movk_i32 s30, 0x6ff
	s_movk_i32 s31, 0x700
	v_cmp_gt_u32_e32 vcc, 4, v0
	v_cmp_lt_u32_e64 s[0:1], 63, v0
	v_lshlrev_b32_e32 v5, 2, v0
	v_or_b32_e32 v6, 0xffffff00, v0
	v_cmp_eq_u32_e64 s[4:5], v0, v7
	v_and_b32_e32 v7, 12, v8
	v_add_u32_e32 v8, v4, v10
	v_cmp_eq_u32_e64 s[8:9], 0, v11
	v_cmp_lt_u32_e64 s[10:11], 1, v11
	v_cmp_lt_u32_e64 s[12:13], 3, v11
	;; [unrolled: 1-line block ×3, first 2 shown]
	v_cmp_eq_u32_e64 s[16:17], 0, v12
	v_cmp_eq_u32_e64 s[18:19], 0, v15
	v_cmp_lt_u32_e64 s[20:21], 1, v15
	v_lshlrev_b32_e32 v9, 2, v9
	s_mov_b32 s33, s29
	s_waitcnt vmcnt(0)
	v_xor_b32_e32 v2, 0x80000000, v2
	s_branch .LBB105_2
.LBB105_1:                              ;   in Loop: Header=BB105_2 Depth=1
	s_add_i32 s33, s33, 1
	s_cmp_eq_u32 s33, 10
	s_cbranch_scc1 .LBB105_12
.LBB105_2:                              ; =>This Loop Header: Depth=1
                                        ;     Child Loop BB105_4 Depth 2
                                        ;       Child Loop BB105_5 Depth 3
	s_mov_b32 s34, 0
	s_branch .LBB105_4
.LBB105_3:                              ;   in Loop: Header=BB105_4 Depth=2
	s_or_b64 exec, exec, s[22:23]
	s_waitcnt lgkmcnt(0)
	v_add_u32_e32 v12, v13, v12
	ds_bpermute_b32 v12, v9, v12
	ds_read_b32 v20, v3 offset:8204
	ds_read2_b64 v[14:17], v4 offset1:1
	ds_read_b64 v[18:19], v4 offset:16
	ds_read_b32 v21, v4 offset:24
	s_add_i32 s22, s34, 4
	s_cmp_lt_u32 s34, 60
	s_mov_b32 s34, s22
	s_waitcnt lgkmcnt(4)
	v_cndmask_b32_e64 v12, v12, v13, s[6:7]
	s_waitcnt lgkmcnt(3)
	v_lshl_add_u32 v12, v20, 16, v12
	s_waitcnt lgkmcnt(2)
	v_add_u32_e32 v13, v12, v14
	v_add_u32_e32 v14, v15, v13
	;; [unrolled: 1-line block ×3, first 2 shown]
	ds_write2_b64 v4, v[12:13], v[14:15] offset1:1
	v_add_u32_e32 v12, v17, v15
	s_waitcnt lgkmcnt(2)
	v_add_u32_e32 v13, v18, v12
	v_add_u32_e32 v14, v19, v13
	s_waitcnt lgkmcnt(1)
	v_add_u32_e32 v15, v21, v14
	ds_write2_b64 v4, v[12:13], v[14:15] offset0:2 offset1:3
	s_waitcnt lgkmcnt(0)
	s_barrier
	s_cbranch_scc0 .LBB105_1
.LBB105_4:                              ;   Parent Loop BB105_2 Depth=1
                                        ; =>  This Loop Header: Depth=2
                                        ;       Child Loop BB105_5 Depth 3
	s_mov_b64 s[24:25], 0
	v_mov_b32_e32 v10, v6
	v_mov_b32_e32 v11, v5
.LBB105_5:                              ;   Parent Loop BB105_2 Depth=1
                                        ;     Parent Loop BB105_4 Depth=2
                                        ; =>    This Inner Loop Header: Depth=3
	v_add_u32_e32 v10, 0x100, v10
	v_cmp_lt_u32_e64 s[22:23], s30, v10
	ds_write_b32 v11, v3
	s_or_b64 s[24:25], s[22:23], s[24:25]
	v_add_u32_e32 v11, 0x400, v11
	s_andn2_b64 exec, exec, s[24:25]
	s_cbranch_execnz .LBB105_5
; %bb.6:                                ;   in Loop: Header=BB105_4 Depth=2
	s_or_b64 exec, exec, s[24:25]
	s_sub_i32 s22, 60, s34
	v_lshlrev_b64 v[10:11], s22, v[1:2]
	v_lshrrev_b32_e32 v10, 20, v11
	v_lshrrev_b32_e32 v11, 30, v11
	v_and_or_b32 v10, v10, s31, v0
	v_and_b32_e32 v11, 2, v11
	v_lshl_or_b32 v11, v10, 2, v11
	ds_read_u16 v10, v11
	s_waitcnt lgkmcnt(0)
	v_add_u16_e32 v12, 1, v10
	ds_write_b16 v11, v12
	s_waitcnt lgkmcnt(0)
	s_barrier
	ds_read2_b64 v[12:15], v4 offset1:1
	ds_read2_b64 v[16:19], v4 offset0:2 offset1:3
	s_waitcnt lgkmcnt(1)
	v_add_u32_e32 v12, v13, v12
	v_add3_u32 v12, v12, v14, v15
	s_waitcnt lgkmcnt(0)
	v_add3_u32 v12, v12, v16, v17
	v_add3_u32 v12, v12, v18, v19
	s_nop 1
	v_mov_b32_dpp v13, v12 row_shr:1 row_mask:0xf bank_mask:0xf
	v_cndmask_b32_e64 v13, v13, 0, s[8:9]
	v_add_u32_e32 v12, v13, v12
	s_nop 1
	v_mov_b32_dpp v13, v12 row_shr:2 row_mask:0xf bank_mask:0xf
	v_cndmask_b32_e64 v13, 0, v13, s[10:11]
	v_add_u32_e32 v12, v12, v13
	;; [unrolled: 4-line block ×4, first 2 shown]
	s_nop 1
	v_mov_b32_dpp v13, v12 row_bcast:15 row_mask:0xf bank_mask:0xf
	v_cndmask_b32_e64 v13, v13, 0, s[16:17]
	v_add_u32_e32 v12, v12, v13
	s_nop 1
	v_mov_b32_dpp v13, v12 row_bcast:31 row_mask:0xf bank_mask:0xf
	v_cndmask_b32_e64 v13, 0, v13, s[2:3]
	v_add_u32_e32 v12, v12, v13
	s_and_saveexec_b64 s[22:23], s[4:5]
	s_xor_b64 s[22:23], exec, s[22:23]
; %bb.7:                                ;   in Loop: Header=BB105_4 Depth=2
	ds_write_b32 v7, v12 offset:8192
; %bb.8:                                ;   in Loop: Header=BB105_4 Depth=2
	s_or_b64 exec, exec, s[22:23]
	s_waitcnt lgkmcnt(0)
	s_barrier
	s_and_saveexec_b64 s[22:23], vcc
	s_cbranch_execz .LBB105_10
; %bb.9:                                ;   in Loop: Header=BB105_4 Depth=2
	ds_read_b32 v13, v8 offset:8192
	s_waitcnt lgkmcnt(0)
	s_nop 0
	v_mov_b32_dpp v14, v13 row_shr:1 row_mask:0xf bank_mask:0xf
	v_cndmask_b32_e64 v14, v14, 0, s[18:19]
	v_add_u32_e32 v13, v14, v13
	s_nop 1
	v_mov_b32_dpp v14, v13 row_shr:2 row_mask:0xf bank_mask:0xf
	v_cndmask_b32_e64 v14, 0, v14, s[20:21]
	v_add_u32_e32 v13, v13, v14
	ds_write_b32 v8, v13 offset:8192
.LBB105_10:                             ;   in Loop: Header=BB105_4 Depth=2
	s_or_b64 exec, exec, s[22:23]
	v_mov_b32_e32 v13, 0
	s_waitcnt lgkmcnt(0)
	s_barrier
	s_and_saveexec_b64 s[22:23], s[0:1]
	s_cbranch_execz .LBB105_3
; %bb.11:                               ;   in Loop: Header=BB105_4 Depth=2
	ds_read_b32 v13, v7 offset:8188
	s_branch .LBB105_3
.LBB105_12:
	ds_read_u16 v1, v11
	s_lshl_b64 s[0:1], s[28:29], 2
	s_add_u32 s0, s26, s0
	s_addc_u32 s1, s27, s1
	v_lshlrev_b32_e32 v0, 2, v0
	s_waitcnt lgkmcnt(0)
	v_add_u32_sdwa v1, v1, v10 dst_sel:DWORD dst_unused:UNUSED_PAD src0_sel:DWORD src1_sel:WORD_0
	global_store_dword v0, v1, s[0:1]
	s_endpgm
	.section	.rodata,"a",@progbits
	.p2align	6, 0x0
	.amdhsa_kernel _Z11rank_kernelIxLj4ELb0EL18RadixRankAlgorithm0ELj256ELj1ELj10EEvPKT_Pi
		.amdhsa_group_segment_fixed_size 8208
		.amdhsa_private_segment_fixed_size 0
		.amdhsa_kernarg_size 16
		.amdhsa_user_sgpr_count 6
		.amdhsa_user_sgpr_private_segment_buffer 1
		.amdhsa_user_sgpr_dispatch_ptr 0
		.amdhsa_user_sgpr_queue_ptr 0
		.amdhsa_user_sgpr_kernarg_segment_ptr 1
		.amdhsa_user_sgpr_dispatch_id 0
		.amdhsa_user_sgpr_flat_scratch_init 0
		.amdhsa_user_sgpr_private_segment_size 0
		.amdhsa_uses_dynamic_stack 0
		.amdhsa_system_sgpr_private_segment_wavefront_offset 0
		.amdhsa_system_sgpr_workgroup_id_x 1
		.amdhsa_system_sgpr_workgroup_id_y 0
		.amdhsa_system_sgpr_workgroup_id_z 0
		.amdhsa_system_sgpr_workgroup_info 0
		.amdhsa_system_vgpr_workitem_id 0
		.amdhsa_next_free_vgpr 33
		.amdhsa_next_free_sgpr 77
		.amdhsa_reserve_vcc 1
		.amdhsa_reserve_flat_scratch 0
		.amdhsa_float_round_mode_32 0
		.amdhsa_float_round_mode_16_64 0
		.amdhsa_float_denorm_mode_32 3
		.amdhsa_float_denorm_mode_16_64 3
		.amdhsa_dx10_clamp 1
		.amdhsa_ieee_mode 1
		.amdhsa_fp16_overflow 0
		.amdhsa_exception_fp_ieee_invalid_op 0
		.amdhsa_exception_fp_denorm_src 0
		.amdhsa_exception_fp_ieee_div_zero 0
		.amdhsa_exception_fp_ieee_overflow 0
		.amdhsa_exception_fp_ieee_underflow 0
		.amdhsa_exception_fp_ieee_inexact 0
		.amdhsa_exception_int_div_zero 0
	.end_amdhsa_kernel
	.section	.text._Z11rank_kernelIxLj4ELb0EL18RadixRankAlgorithm0ELj256ELj1ELj10EEvPKT_Pi,"axG",@progbits,_Z11rank_kernelIxLj4ELb0EL18RadixRankAlgorithm0ELj256ELj1ELj10EEvPKT_Pi,comdat
.Lfunc_end105:
	.size	_Z11rank_kernelIxLj4ELb0EL18RadixRankAlgorithm0ELj256ELj1ELj10EEvPKT_Pi, .Lfunc_end105-_Z11rank_kernelIxLj4ELb0EL18RadixRankAlgorithm0ELj256ELj1ELj10EEvPKT_Pi
                                        ; -- End function
	.set _Z11rank_kernelIxLj4ELb0EL18RadixRankAlgorithm0ELj256ELj1ELj10EEvPKT_Pi.num_vgpr, 22
	.set _Z11rank_kernelIxLj4ELb0EL18RadixRankAlgorithm0ELj256ELj1ELj10EEvPKT_Pi.num_agpr, 0
	.set _Z11rank_kernelIxLj4ELb0EL18RadixRankAlgorithm0ELj256ELj1ELj10EEvPKT_Pi.numbered_sgpr, 35
	.set _Z11rank_kernelIxLj4ELb0EL18RadixRankAlgorithm0ELj256ELj1ELj10EEvPKT_Pi.num_named_barrier, 0
	.set _Z11rank_kernelIxLj4ELb0EL18RadixRankAlgorithm0ELj256ELj1ELj10EEvPKT_Pi.private_seg_size, 0
	.set _Z11rank_kernelIxLj4ELb0EL18RadixRankAlgorithm0ELj256ELj1ELj10EEvPKT_Pi.uses_vcc, 1
	.set _Z11rank_kernelIxLj4ELb0EL18RadixRankAlgorithm0ELj256ELj1ELj10EEvPKT_Pi.uses_flat_scratch, 0
	.set _Z11rank_kernelIxLj4ELb0EL18RadixRankAlgorithm0ELj256ELj1ELj10EEvPKT_Pi.has_dyn_sized_stack, 0
	.set _Z11rank_kernelIxLj4ELb0EL18RadixRankAlgorithm0ELj256ELj1ELj10EEvPKT_Pi.has_recursion, 0
	.set _Z11rank_kernelIxLj4ELb0EL18RadixRankAlgorithm0ELj256ELj1ELj10EEvPKT_Pi.has_indirect_call, 0
	.section	.AMDGPU.csdata,"",@progbits
; Kernel info:
; codeLenInByte = 952
; TotalNumSgprs: 39
; NumVgprs: 22
; ScratchSize: 0
; MemoryBound: 0
; FloatMode: 240
; IeeeMode: 1
; LDSByteSize: 8208 bytes/workgroup (compile time only)
; SGPRBlocks: 10
; VGPRBlocks: 8
; NumSGPRsForWavesPerEU: 81
; NumVGPRsForWavesPerEU: 33
; Occupancy: 7
; WaveLimiterHint : 0
; COMPUTE_PGM_RSRC2:SCRATCH_EN: 0
; COMPUTE_PGM_RSRC2:USER_SGPR: 6
; COMPUTE_PGM_RSRC2:TRAP_HANDLER: 0
; COMPUTE_PGM_RSRC2:TGID_X_EN: 1
; COMPUTE_PGM_RSRC2:TGID_Y_EN: 0
; COMPUTE_PGM_RSRC2:TGID_Z_EN: 0
; COMPUTE_PGM_RSRC2:TIDIG_COMP_CNT: 0
	.section	.text._Z11rank_kernelIxLj4ELb0EL18RadixRankAlgorithm1ELj256ELj1ELj10EEvPKT_Pi,"axG",@progbits,_Z11rank_kernelIxLj4ELb0EL18RadixRankAlgorithm1ELj256ELj1ELj10EEvPKT_Pi,comdat
	.protected	_Z11rank_kernelIxLj4ELb0EL18RadixRankAlgorithm1ELj256ELj1ELj10EEvPKT_Pi ; -- Begin function _Z11rank_kernelIxLj4ELb0EL18RadixRankAlgorithm1ELj256ELj1ELj10EEvPKT_Pi
	.globl	_Z11rank_kernelIxLj4ELb0EL18RadixRankAlgorithm1ELj256ELj1ELj10EEvPKT_Pi
	.p2align	8
	.type	_Z11rank_kernelIxLj4ELb0EL18RadixRankAlgorithm1ELj256ELj1ELj10EEvPKT_Pi,@function
_Z11rank_kernelIxLj4ELb0EL18RadixRankAlgorithm1ELj256ELj1ELj10EEvPKT_Pi: ; @_Z11rank_kernelIxLj4ELb0EL18RadixRankAlgorithm1ELj256ELj1ELj10EEvPKT_Pi
; %bb.0:
	s_load_dwordx4 s[24:27], s[4:5], 0x0
	s_lshl_b32 s28, s6, 8
	s_mov_b32 s29, 0
	s_lshl_b64 s[0:1], s[28:29], 3
	v_lshlrev_b32_e32 v1, 3, v0
	s_waitcnt lgkmcnt(0)
	s_add_u32 s0, s24, s0
	s_addc_u32 s1, s25, s1
	global_load_dwordx2 v[9:10], v1, s[0:1]
	v_mbcnt_lo_u32_b32 v1, -1, 0
	v_mbcnt_hi_u32_b32 v1, -1, v1
	v_or_b32_e32 v2, 63, v0
	v_cmp_eq_u32_e64 s[4:5], v0, v2
	v_subrev_co_u32_e64 v2, s[6:7], 1, v1
	v_and_b32_e32 v7, 64, v1
	v_lshrrev_b32_e32 v3, 4, v0
	v_cmp_lt_i32_e64 s[18:19], v2, v7
	v_lshlrev_b32_e32 v12, 5, v0
	v_mul_i32_i24_e32 v4, 0xffffffe4, v0
	v_and_b32_e32 v5, 15, v1
	v_and_b32_e32 v6, 16, v1
	v_cmp_lt_u32_e64 s[2:3], 31, v1
	v_and_b32_e32 v15, 12, v3
	v_and_b32_e32 v3, 3, v1
	v_cndmask_b32_e64 v1, v2, v1, s[18:19]
	v_mov_b32_e32 v11, 0
	s_movk_i32 s30, 0x6ff
	s_movk_i32 s31, 0x700
	v_cmp_gt_u32_e32 vcc, 4, v0
	v_cmp_lt_u32_e64 s[0:1], 63, v0
	v_lshlrev_b32_e32 v13, 2, v0
	v_or_b32_e32 v14, 0xffffff00, v0
	v_add_u32_e32 v16, v12, v4
	v_cmp_eq_u32_e64 s[8:9], 0, v5
	v_cmp_lt_u32_e64 s[10:11], 1, v5
	v_cmp_lt_u32_e64 s[12:13], 3, v5
	;; [unrolled: 1-line block ×3, first 2 shown]
	v_cmp_eq_u32_e64 s[16:17], 0, v6
	v_cmp_eq_u32_e64 s[18:19], 0, v3
	v_cmp_lt_u32_e64 s[20:21], 1, v3
	v_lshlrev_b32_e32 v17, 2, v1
	s_mov_b32 s33, s29
	s_waitcnt vmcnt(0)
	v_xor_b32_e32 v10, 0x80000000, v10
	s_branch .LBB106_2
.LBB106_1:                              ;   in Loop: Header=BB106_2 Depth=1
	s_add_i32 s33, s33, 1
	s_cmp_eq_u32 s33, 10
	s_cbranch_scc1 .LBB106_12
.LBB106_2:                              ; =>This Loop Header: Depth=1
                                        ;     Child Loop BB106_4 Depth 2
                                        ;       Child Loop BB106_5 Depth 3
	s_mov_b32 s34, 0
	s_branch .LBB106_4
.LBB106_3:                              ;   in Loop: Header=BB106_4 Depth=2
	s_or_b64 exec, exec, s[22:23]
	s_waitcnt lgkmcnt(0)
	v_add_u32_e32 v4, v20, v4
	ds_bpermute_b32 v4, v17, v4
	ds_read_b32 v21, v11 offset:8204
	s_add_i32 s22, s34, 4
	s_cmp_lt_u32 s34, 60
	s_mov_b32 s34, s22
	s_waitcnt lgkmcnt(1)
	v_cndmask_b32_e64 v4, v4, v20, s[6:7]
	s_waitcnt lgkmcnt(0)
	v_lshl_add_u32 v4, v21, 16, v4
	v_add_u32_e32 v5, v4, v5
	v_add_u32_e32 v6, v5, v6
	;; [unrolled: 1-line block ×7, first 2 shown]
	ds_write2_b64 v12, v[4:5], v[6:7] offset1:1
	ds_write2_b64 v12, v[20:21], v[1:2] offset0:2 offset1:3
	s_waitcnt lgkmcnt(0)
	s_barrier
	s_cbranch_scc0 .LBB106_1
.LBB106_4:                              ;   Parent Loop BB106_2 Depth=1
                                        ; =>  This Loop Header: Depth=2
                                        ;       Child Loop BB106_5 Depth 3
	s_mov_b64 s[24:25], 0
	v_mov_b32_e32 v1, v14
	v_mov_b32_e32 v2, v13
.LBB106_5:                              ;   Parent Loop BB106_2 Depth=1
                                        ;     Parent Loop BB106_4 Depth=2
                                        ; =>    This Inner Loop Header: Depth=3
	v_add_u32_e32 v1, 0x100, v1
	v_cmp_lt_u32_e64 s[22:23], s30, v1
	ds_write_b32 v2, v11
	s_or_b64 s[24:25], s[22:23], s[24:25]
	v_add_u32_e32 v2, 0x400, v2
	s_andn2_b64 exec, exec, s[24:25]
	s_cbranch_execnz .LBB106_5
; %bb.6:                                ;   in Loop: Header=BB106_4 Depth=2
	s_or_b64 exec, exec, s[24:25]
	s_sub_i32 s22, 60, s34
	v_lshlrev_b64 v[1:2], s22, v[9:10]
	v_lshrrev_b32_e32 v1, 20, v2
	v_lshrrev_b32_e32 v2, 30, v2
	v_and_or_b32 v1, v1, s31, v0
	v_and_b32_e32 v2, 2, v2
	v_lshl_or_b32 v19, v1, 2, v2
	ds_read_u16 v18, v19
	s_waitcnt lgkmcnt(0)
	v_add_u16_e32 v1, 1, v18
	ds_write_b16 v19, v1
	s_waitcnt lgkmcnt(0)
	s_barrier
	ds_read2_b64 v[5:8], v12 offset1:1
	ds_read2_b64 v[1:4], v12 offset0:2 offset1:3
	s_waitcnt lgkmcnt(1)
	v_add_u32_e32 v20, v6, v5
	v_add3_u32 v20, v20, v7, v8
	s_waitcnt lgkmcnt(0)
	v_add3_u32 v20, v20, v1, v2
	v_add3_u32 v4, v20, v3, v4
	s_nop 1
	v_mov_b32_dpp v20, v4 row_shr:1 row_mask:0xf bank_mask:0xf
	v_cndmask_b32_e64 v20, v20, 0, s[8:9]
	v_add_u32_e32 v4, v20, v4
	s_nop 1
	v_mov_b32_dpp v20, v4 row_shr:2 row_mask:0xf bank_mask:0xf
	v_cndmask_b32_e64 v20, 0, v20, s[10:11]
	v_add_u32_e32 v4, v4, v20
	;; [unrolled: 4-line block ×4, first 2 shown]
	s_nop 1
	v_mov_b32_dpp v20, v4 row_bcast:15 row_mask:0xf bank_mask:0xf
	v_cndmask_b32_e64 v20, v20, 0, s[16:17]
	v_add_u32_e32 v4, v4, v20
	s_nop 1
	v_mov_b32_dpp v20, v4 row_bcast:31 row_mask:0xf bank_mask:0xf
	v_cndmask_b32_e64 v20, 0, v20, s[2:3]
	v_add_u32_e32 v4, v4, v20
	s_and_saveexec_b64 s[22:23], s[4:5]
	s_xor_b64 s[22:23], exec, s[22:23]
; %bb.7:                                ;   in Loop: Header=BB106_4 Depth=2
	ds_write_b32 v15, v4 offset:8192
; %bb.8:                                ;   in Loop: Header=BB106_4 Depth=2
	s_or_b64 exec, exec, s[22:23]
	s_waitcnt lgkmcnt(0)
	s_barrier
	s_and_saveexec_b64 s[22:23], vcc
	s_cbranch_execz .LBB106_10
; %bb.9:                                ;   in Loop: Header=BB106_4 Depth=2
	ds_read_b32 v20, v16 offset:8192
	s_waitcnt lgkmcnt(0)
	s_nop 0
	v_mov_b32_dpp v21, v20 row_shr:1 row_mask:0xf bank_mask:0xf
	v_cndmask_b32_e64 v21, v21, 0, s[18:19]
	v_add_u32_e32 v20, v21, v20
	s_nop 1
	v_mov_b32_dpp v21, v20 row_shr:2 row_mask:0xf bank_mask:0xf
	v_cndmask_b32_e64 v21, 0, v21, s[20:21]
	v_add_u32_e32 v20, v20, v21
	ds_write_b32 v16, v20 offset:8192
.LBB106_10:                             ;   in Loop: Header=BB106_4 Depth=2
	s_or_b64 exec, exec, s[22:23]
	v_mov_b32_e32 v20, 0
	s_waitcnt lgkmcnt(0)
	s_barrier
	s_and_saveexec_b64 s[22:23], s[0:1]
	s_cbranch_execz .LBB106_3
; %bb.11:                               ;   in Loop: Header=BB106_4 Depth=2
	ds_read_b32 v20, v15 offset:8188
	s_branch .LBB106_3
.LBB106_12:
	ds_read_u16 v1, v19
	s_lshl_b64 s[0:1], s[28:29], 2
	s_add_u32 s0, s26, s0
	s_addc_u32 s1, s27, s1
	v_lshlrev_b32_e32 v0, 2, v0
	s_waitcnt lgkmcnt(0)
	v_add_u32_sdwa v1, v1, v18 dst_sel:DWORD dst_unused:UNUSED_PAD src0_sel:DWORD src1_sel:WORD_0
	global_store_dword v0, v1, s[0:1]
	s_endpgm
	.section	.rodata,"a",@progbits
	.p2align	6, 0x0
	.amdhsa_kernel _Z11rank_kernelIxLj4ELb0EL18RadixRankAlgorithm1ELj256ELj1ELj10EEvPKT_Pi
		.amdhsa_group_segment_fixed_size 8208
		.amdhsa_private_segment_fixed_size 0
		.amdhsa_kernarg_size 16
		.amdhsa_user_sgpr_count 6
		.amdhsa_user_sgpr_private_segment_buffer 1
		.amdhsa_user_sgpr_dispatch_ptr 0
		.amdhsa_user_sgpr_queue_ptr 0
		.amdhsa_user_sgpr_kernarg_segment_ptr 1
		.amdhsa_user_sgpr_dispatch_id 0
		.amdhsa_user_sgpr_flat_scratch_init 0
		.amdhsa_user_sgpr_private_segment_size 0
		.amdhsa_uses_dynamic_stack 0
		.amdhsa_system_sgpr_private_segment_wavefront_offset 0
		.amdhsa_system_sgpr_workgroup_id_x 1
		.amdhsa_system_sgpr_workgroup_id_y 0
		.amdhsa_system_sgpr_workgroup_id_z 0
		.amdhsa_system_sgpr_workgroup_info 0
		.amdhsa_system_vgpr_workitem_id 0
		.amdhsa_next_free_vgpr 33
		.amdhsa_next_free_sgpr 77
		.amdhsa_reserve_vcc 1
		.amdhsa_reserve_flat_scratch 0
		.amdhsa_float_round_mode_32 0
		.amdhsa_float_round_mode_16_64 0
		.amdhsa_float_denorm_mode_32 3
		.amdhsa_float_denorm_mode_16_64 3
		.amdhsa_dx10_clamp 1
		.amdhsa_ieee_mode 1
		.amdhsa_fp16_overflow 0
		.amdhsa_exception_fp_ieee_invalid_op 0
		.amdhsa_exception_fp_denorm_src 0
		.amdhsa_exception_fp_ieee_div_zero 0
		.amdhsa_exception_fp_ieee_overflow 0
		.amdhsa_exception_fp_ieee_underflow 0
		.amdhsa_exception_fp_ieee_inexact 0
		.amdhsa_exception_int_div_zero 0
	.end_amdhsa_kernel
	.section	.text._Z11rank_kernelIxLj4ELb0EL18RadixRankAlgorithm1ELj256ELj1ELj10EEvPKT_Pi,"axG",@progbits,_Z11rank_kernelIxLj4ELb0EL18RadixRankAlgorithm1ELj256ELj1ELj10EEvPKT_Pi,comdat
.Lfunc_end106:
	.size	_Z11rank_kernelIxLj4ELb0EL18RadixRankAlgorithm1ELj256ELj1ELj10EEvPKT_Pi, .Lfunc_end106-_Z11rank_kernelIxLj4ELb0EL18RadixRankAlgorithm1ELj256ELj1ELj10EEvPKT_Pi
                                        ; -- End function
	.set _Z11rank_kernelIxLj4ELb0EL18RadixRankAlgorithm1ELj256ELj1ELj10EEvPKT_Pi.num_vgpr, 22
	.set _Z11rank_kernelIxLj4ELb0EL18RadixRankAlgorithm1ELj256ELj1ELj10EEvPKT_Pi.num_agpr, 0
	.set _Z11rank_kernelIxLj4ELb0EL18RadixRankAlgorithm1ELj256ELj1ELj10EEvPKT_Pi.numbered_sgpr, 35
	.set _Z11rank_kernelIxLj4ELb0EL18RadixRankAlgorithm1ELj256ELj1ELj10EEvPKT_Pi.num_named_barrier, 0
	.set _Z11rank_kernelIxLj4ELb0EL18RadixRankAlgorithm1ELj256ELj1ELj10EEvPKT_Pi.private_seg_size, 0
	.set _Z11rank_kernelIxLj4ELb0EL18RadixRankAlgorithm1ELj256ELj1ELj10EEvPKT_Pi.uses_vcc, 1
	.set _Z11rank_kernelIxLj4ELb0EL18RadixRankAlgorithm1ELj256ELj1ELj10EEvPKT_Pi.uses_flat_scratch, 0
	.set _Z11rank_kernelIxLj4ELb0EL18RadixRankAlgorithm1ELj256ELj1ELj10EEvPKT_Pi.has_dyn_sized_stack, 0
	.set _Z11rank_kernelIxLj4ELb0EL18RadixRankAlgorithm1ELj256ELj1ELj10EEvPKT_Pi.has_recursion, 0
	.set _Z11rank_kernelIxLj4ELb0EL18RadixRankAlgorithm1ELj256ELj1ELj10EEvPKT_Pi.has_indirect_call, 0
	.section	.AMDGPU.csdata,"",@progbits
; Kernel info:
; codeLenInByte = 916
; TotalNumSgprs: 39
; NumVgprs: 22
; ScratchSize: 0
; MemoryBound: 0
; FloatMode: 240
; IeeeMode: 1
; LDSByteSize: 8208 bytes/workgroup (compile time only)
; SGPRBlocks: 10
; VGPRBlocks: 8
; NumSGPRsForWavesPerEU: 81
; NumVGPRsForWavesPerEU: 33
; Occupancy: 7
; WaveLimiterHint : 0
; COMPUTE_PGM_RSRC2:SCRATCH_EN: 0
; COMPUTE_PGM_RSRC2:USER_SGPR: 6
; COMPUTE_PGM_RSRC2:TRAP_HANDLER: 0
; COMPUTE_PGM_RSRC2:TGID_X_EN: 1
; COMPUTE_PGM_RSRC2:TGID_Y_EN: 0
; COMPUTE_PGM_RSRC2:TGID_Z_EN: 0
; COMPUTE_PGM_RSRC2:TIDIG_COMP_CNT: 0
	.section	.text._Z11rank_kernelIxLj4ELb0EL18RadixRankAlgorithm2ELj256ELj1ELj10EEvPKT_Pi,"axG",@progbits,_Z11rank_kernelIxLj4ELb0EL18RadixRankAlgorithm2ELj256ELj1ELj10EEvPKT_Pi,comdat
	.protected	_Z11rank_kernelIxLj4ELb0EL18RadixRankAlgorithm2ELj256ELj1ELj10EEvPKT_Pi ; -- Begin function _Z11rank_kernelIxLj4ELb0EL18RadixRankAlgorithm2ELj256ELj1ELj10EEvPKT_Pi
	.globl	_Z11rank_kernelIxLj4ELb0EL18RadixRankAlgorithm2ELj256ELj1ELj10EEvPKT_Pi
	.p2align	8
	.type	_Z11rank_kernelIxLj4ELb0EL18RadixRankAlgorithm2ELj256ELj1ELj10EEvPKT_Pi,@function
_Z11rank_kernelIxLj4ELb0EL18RadixRankAlgorithm2ELj256ELj1ELj10EEvPKT_Pi: ; @_Z11rank_kernelIxLj4ELb0EL18RadixRankAlgorithm2ELj256ELj1ELj10EEvPKT_Pi
; %bb.0:
	s_load_dwordx4 s[24:27], s[4:5], 0x0
	s_load_dword s20, s[4:5], 0x1c
	s_lshl_b32 s28, s6, 8
	s_mov_b32 s29, 0
	s_lshl_b64 s[0:1], s[28:29], 3
	s_waitcnt lgkmcnt(0)
	s_add_u32 s0, s24, s0
	s_addc_u32 s1, s25, s1
	v_lshlrev_b32_e32 v3, 3, v0
	global_load_dwordx2 v[3:4], v3, s[0:1]
	s_lshr_b32 s21, s20, 16
	s_and_b32 s20, s20, 0xffff
	v_mad_u32_u24 v1, v2, s21, v1
	v_mbcnt_lo_u32_b32 v6, -1, 0
	v_mad_u64_u32 v[1:2], s[20:21], v1, s20, v[0:1]
	v_mbcnt_hi_u32_b32 v6, -1, v6
	v_subrev_co_u32_e64 v12, s[6:7], 1, v6
	v_and_b32_e32 v13, 64, v6
	v_or_b32_e32 v8, 63, v0
	v_lshrrev_b32_e32 v9, 4, v0
	v_cmp_lt_i32_e64 s[18:19], v12, v13
	v_and_b32_e32 v10, 15, v6
	v_and_b32_e32 v11, 16, v6
	v_cmp_lt_u32_e64 s[2:3], 31, v6
	v_cmp_eq_u32_e64 s[4:5], v0, v8
	v_and_b32_e32 v8, 12, v9
	v_and_b32_e32 v9, 3, v6
	v_cndmask_b32_e64 v6, v12, v6, s[18:19]
	v_lshrrev_b32_e32 v1, 4, v1
	v_mov_b32_e32 v5, 0
	v_lshlrev_b32_e32 v7, 2, v0
	v_cmp_gt_u32_e32 vcc, 4, v0
	v_cmp_lt_u32_e64 s[0:1], 63, v0
	v_cmp_eq_u32_e64 s[8:9], 0, v10
	v_cmp_lt_u32_e64 s[10:11], 1, v10
	v_cmp_lt_u32_e64 s[12:13], 3, v10
	;; [unrolled: 1-line block ×3, first 2 shown]
	v_cmp_eq_u32_e64 s[16:17], 0, v11
	v_cmp_eq_u32_e64 s[18:19], 0, v9
	v_cmp_lt_u32_e64 s[20:21], 1, v9
	v_add_u32_e32 v9, -4, v8
	v_lshlrev_b32_e32 v10, 2, v6
	v_and_b32_e32 v11, 0xffffffc, v1
	s_mov_b32 s33, s29
	s_waitcnt vmcnt(0)
	v_xor_b32_e32 v4, 0x80000000, v4
	s_branch .LBB107_2
.LBB107_1:                              ;   in Loop: Header=BB107_2 Depth=1
	s_add_i32 s33, s33, 1
	s_cmp_eq_u32 s33, 10
	s_cbranch_scc1 .LBB107_12
.LBB107_2:                              ; =>This Loop Header: Depth=1
                                        ;     Child Loop BB107_4 Depth 2
	s_mov_b64 s[30:31], 60
	s_mov_b32 s34, -4
	s_branch .LBB107_4
.LBB107_3:                              ;   in Loop: Header=BB107_4 Depth=2
	s_or_b64 exec, exec, s[22:23]
	s_waitcnt lgkmcnt(0)
	v_add_u32_e32 v1, v2, v1
	ds_bpermute_b32 v1, v10, v1
	s_add_i32 s34, s34, 4
	s_add_u32 s30, s30, -4
	s_addc_u32 s31, s31, -1
	s_cmp_lt_u32 s34, 60
	s_waitcnt lgkmcnt(0)
	v_cndmask_b32_e64 v1, v1, v2, s[6:7]
	ds_write_b32 v7, v1 offset:16
	s_waitcnt lgkmcnt(0)
	s_barrier
	s_cbranch_scc0 .LBB107_1
.LBB107_4:                              ;   Parent Loop BB107_2 Depth=1
                                        ; =>  This Inner Loop Header: Depth=2
	v_lshlrev_b64 v[1:2], s30, v[3:4]
	ds_write_b32 v7, v5 offset:16
	v_bfe_u32 v6, v2, 28, 1
	v_add_co_u32_e64 v14, s[22:23], -1, v6
	v_addc_co_u32_e64 v15, s[22:23], 0, -1, s[22:23]
	v_cmp_ne_u32_e64 s[22:23], 0, v6
	v_lshrrev_b32_e32 v13, 28, v2
	v_xor_b32_e32 v6, s23, v15
	v_and_b32_e32 v15, exec_hi, v6
	v_lshlrev_b32_e32 v6, 30, v13
	v_xor_b32_e32 v14, s22, v14
	v_cmp_gt_i64_e64 s[22:23], 0, v[5:6]
	v_not_b32_e32 v6, v6
	v_ashrrev_i32_e32 v6, 31, v6
	v_and_b32_e32 v14, exec_lo, v14
	v_xor_b32_e32 v16, s23, v6
	v_xor_b32_e32 v6, s22, v6
	v_and_b32_e32 v14, v14, v6
	v_lshlrev_b32_e32 v6, 29, v13
	v_cmp_gt_i64_e64 s[22:23], 0, v[5:6]
	v_not_b32_e32 v6, v6
	v_ashrrev_i32_e32 v6, 31, v6
	v_mul_u32_u24_e32 v12, 20, v13
	v_xor_b32_e32 v13, s23, v6
	v_xor_b32_e32 v6, s22, v6
	v_cmp_gt_i64_e64 s[22:23], 0, v[1:2]
	v_not_b32_e32 v1, v2
	v_ashrrev_i32_e32 v1, 31, v1
	v_and_b32_e32 v15, v15, v16
	v_and_b32_e32 v6, v14, v6
	v_xor_b32_e32 v2, s23, v1
	v_xor_b32_e32 v1, s22, v1
	v_and_b32_e32 v13, v15, v13
	v_and_b32_e32 v1, v6, v1
	v_and_b32_e32 v2, v13, v2
	v_mbcnt_lo_u32_b32 v6, v1, 0
	v_mbcnt_hi_u32_b32 v6, v2, v6
	v_cmp_ne_u64_e64 s[22:23], 0, v[1:2]
	v_cmp_eq_u32_e64 s[24:25], 0, v6
	s_and_b64 s[24:25], s[22:23], s[24:25]
	s_waitcnt lgkmcnt(0)
	s_barrier
	; wave barrier
	s_and_saveexec_b64 s[22:23], s[24:25]
; %bb.5:                                ;   in Loop: Header=BB107_4 Depth=2
	v_bcnt_u32_b32 v1, v1, 0
	v_bcnt_u32_b32 v1, v2, v1
	v_add_u32_e32 v2, v11, v12
	ds_write_b32 v2, v1 offset:16
; %bb.6:                                ;   in Loop: Header=BB107_4 Depth=2
	s_or_b64 exec, exec, s[22:23]
	; wave barrier
	s_waitcnt lgkmcnt(0)
	s_barrier
	ds_read_b32 v1, v7 offset:16
	s_waitcnt lgkmcnt(0)
	s_nop 0
	v_mov_b32_dpp v2, v1 row_shr:1 row_mask:0xf bank_mask:0xf
	v_cndmask_b32_e64 v2, v2, 0, s[8:9]
	v_add_u32_e32 v1, v2, v1
	s_nop 1
	v_mov_b32_dpp v2, v1 row_shr:2 row_mask:0xf bank_mask:0xf
	v_cndmask_b32_e64 v2, 0, v2, s[10:11]
	v_add_u32_e32 v1, v1, v2
	;; [unrolled: 4-line block ×4, first 2 shown]
	s_nop 1
	v_mov_b32_dpp v2, v1 row_bcast:15 row_mask:0xf bank_mask:0xf
	v_cndmask_b32_e64 v2, v2, 0, s[16:17]
	v_add_u32_e32 v1, v1, v2
	s_nop 1
	v_mov_b32_dpp v2, v1 row_bcast:31 row_mask:0xf bank_mask:0xf
	v_cndmask_b32_e64 v2, 0, v2, s[2:3]
	v_add_u32_e32 v1, v1, v2
	s_and_saveexec_b64 s[22:23], s[4:5]
; %bb.7:                                ;   in Loop: Header=BB107_4 Depth=2
	ds_write_b32 v8, v1
; %bb.8:                                ;   in Loop: Header=BB107_4 Depth=2
	s_or_b64 exec, exec, s[22:23]
	s_waitcnt lgkmcnt(0)
	s_barrier
	s_and_saveexec_b64 s[22:23], vcc
	s_cbranch_execz .LBB107_10
; %bb.9:                                ;   in Loop: Header=BB107_4 Depth=2
	ds_read_b32 v2, v7
	s_waitcnt lgkmcnt(0)
	s_nop 0
	v_mov_b32_dpp v13, v2 row_shr:1 row_mask:0xf bank_mask:0xf
	v_cndmask_b32_e64 v13, v13, 0, s[18:19]
	v_add_u32_e32 v2, v13, v2
	s_nop 1
	v_mov_b32_dpp v13, v2 row_shr:2 row_mask:0xf bank_mask:0xf
	v_cndmask_b32_e64 v13, 0, v13, s[20:21]
	v_add_u32_e32 v2, v2, v13
	ds_write_b32 v7, v2
.LBB107_10:                             ;   in Loop: Header=BB107_4 Depth=2
	s_or_b64 exec, exec, s[22:23]
	v_mov_b32_e32 v2, 0
	s_waitcnt lgkmcnt(0)
	s_barrier
	s_and_saveexec_b64 s[22:23], s[0:1]
	s_cbranch_execz .LBB107_3
; %bb.11:                               ;   in Loop: Header=BB107_4 Depth=2
	ds_read_b32 v2, v9
	s_branch .LBB107_3
.LBB107_12:
	v_add_u32_e32 v1, v11, v12
	ds_read_b32 v1, v1 offset:16
	s_lshl_b64 s[0:1], s[28:29], 2
	s_add_u32 s0, s26, s0
	s_addc_u32 s1, s27, s1
	v_lshlrev_b32_e32 v0, 2, v0
	s_waitcnt lgkmcnt(0)
	v_add_u32_e32 v1, v1, v6
	global_store_dword v0, v1, s[0:1]
	s_endpgm
	.section	.rodata,"a",@progbits
	.p2align	6, 0x0
	.amdhsa_kernel _Z11rank_kernelIxLj4ELb0EL18RadixRankAlgorithm2ELj256ELj1ELj10EEvPKT_Pi
		.amdhsa_group_segment_fixed_size 1040
		.amdhsa_private_segment_fixed_size 0
		.amdhsa_kernarg_size 272
		.amdhsa_user_sgpr_count 6
		.amdhsa_user_sgpr_private_segment_buffer 1
		.amdhsa_user_sgpr_dispatch_ptr 0
		.amdhsa_user_sgpr_queue_ptr 0
		.amdhsa_user_sgpr_kernarg_segment_ptr 1
		.amdhsa_user_sgpr_dispatch_id 0
		.amdhsa_user_sgpr_flat_scratch_init 0
		.amdhsa_user_sgpr_private_segment_size 0
		.amdhsa_uses_dynamic_stack 0
		.amdhsa_system_sgpr_private_segment_wavefront_offset 0
		.amdhsa_system_sgpr_workgroup_id_x 1
		.amdhsa_system_sgpr_workgroup_id_y 0
		.amdhsa_system_sgpr_workgroup_id_z 0
		.amdhsa_system_sgpr_workgroup_info 0
		.amdhsa_system_vgpr_workitem_id 2
		.amdhsa_next_free_vgpr 17
		.amdhsa_next_free_sgpr 35
		.amdhsa_reserve_vcc 1
		.amdhsa_reserve_flat_scratch 0
		.amdhsa_float_round_mode_32 0
		.amdhsa_float_round_mode_16_64 0
		.amdhsa_float_denorm_mode_32 3
		.amdhsa_float_denorm_mode_16_64 3
		.amdhsa_dx10_clamp 1
		.amdhsa_ieee_mode 1
		.amdhsa_fp16_overflow 0
		.amdhsa_exception_fp_ieee_invalid_op 0
		.amdhsa_exception_fp_denorm_src 0
		.amdhsa_exception_fp_ieee_div_zero 0
		.amdhsa_exception_fp_ieee_overflow 0
		.amdhsa_exception_fp_ieee_underflow 0
		.amdhsa_exception_fp_ieee_inexact 0
		.amdhsa_exception_int_div_zero 0
	.end_amdhsa_kernel
	.section	.text._Z11rank_kernelIxLj4ELb0EL18RadixRankAlgorithm2ELj256ELj1ELj10EEvPKT_Pi,"axG",@progbits,_Z11rank_kernelIxLj4ELb0EL18RadixRankAlgorithm2ELj256ELj1ELj10EEvPKT_Pi,comdat
.Lfunc_end107:
	.size	_Z11rank_kernelIxLj4ELb0EL18RadixRankAlgorithm2ELj256ELj1ELj10EEvPKT_Pi, .Lfunc_end107-_Z11rank_kernelIxLj4ELb0EL18RadixRankAlgorithm2ELj256ELj1ELj10EEvPKT_Pi
                                        ; -- End function
	.set _Z11rank_kernelIxLj4ELb0EL18RadixRankAlgorithm2ELj256ELj1ELj10EEvPKT_Pi.num_vgpr, 17
	.set _Z11rank_kernelIxLj4ELb0EL18RadixRankAlgorithm2ELj256ELj1ELj10EEvPKT_Pi.num_agpr, 0
	.set _Z11rank_kernelIxLj4ELb0EL18RadixRankAlgorithm2ELj256ELj1ELj10EEvPKT_Pi.numbered_sgpr, 35
	.set _Z11rank_kernelIxLj4ELb0EL18RadixRankAlgorithm2ELj256ELj1ELj10EEvPKT_Pi.num_named_barrier, 0
	.set _Z11rank_kernelIxLj4ELb0EL18RadixRankAlgorithm2ELj256ELj1ELj10EEvPKT_Pi.private_seg_size, 0
	.set _Z11rank_kernelIxLj4ELb0EL18RadixRankAlgorithm2ELj256ELj1ELj10EEvPKT_Pi.uses_vcc, 1
	.set _Z11rank_kernelIxLj4ELb0EL18RadixRankAlgorithm2ELj256ELj1ELj10EEvPKT_Pi.uses_flat_scratch, 0
	.set _Z11rank_kernelIxLj4ELb0EL18RadixRankAlgorithm2ELj256ELj1ELj10EEvPKT_Pi.has_dyn_sized_stack, 0
	.set _Z11rank_kernelIxLj4ELb0EL18RadixRankAlgorithm2ELj256ELj1ELj10EEvPKT_Pi.has_recursion, 0
	.set _Z11rank_kernelIxLj4ELb0EL18RadixRankAlgorithm2ELj256ELj1ELj10EEvPKT_Pi.has_indirect_call, 0
	.section	.AMDGPU.csdata,"",@progbits
; Kernel info:
; codeLenInByte = 976
; TotalNumSgprs: 39
; NumVgprs: 17
; ScratchSize: 0
; MemoryBound: 0
; FloatMode: 240
; IeeeMode: 1
; LDSByteSize: 1040 bytes/workgroup (compile time only)
; SGPRBlocks: 4
; VGPRBlocks: 4
; NumSGPRsForWavesPerEU: 39
; NumVGPRsForWavesPerEU: 17
; Occupancy: 10
; WaveLimiterHint : 0
; COMPUTE_PGM_RSRC2:SCRATCH_EN: 0
; COMPUTE_PGM_RSRC2:USER_SGPR: 6
; COMPUTE_PGM_RSRC2:TRAP_HANDLER: 0
; COMPUTE_PGM_RSRC2:TGID_X_EN: 1
; COMPUTE_PGM_RSRC2:TGID_Y_EN: 0
; COMPUTE_PGM_RSRC2:TGID_Z_EN: 0
; COMPUTE_PGM_RSRC2:TIDIG_COMP_CNT: 2
	.section	.text._Z11rank_kernelIxLj4ELb0EL18RadixRankAlgorithm0ELj256ELj4ELj10EEvPKT_Pi,"axG",@progbits,_Z11rank_kernelIxLj4ELb0EL18RadixRankAlgorithm0ELj256ELj4ELj10EEvPKT_Pi,comdat
	.protected	_Z11rank_kernelIxLj4ELb0EL18RadixRankAlgorithm0ELj256ELj4ELj10EEvPKT_Pi ; -- Begin function _Z11rank_kernelIxLj4ELb0EL18RadixRankAlgorithm0ELj256ELj4ELj10EEvPKT_Pi
	.globl	_Z11rank_kernelIxLj4ELb0EL18RadixRankAlgorithm0ELj256ELj4ELj10EEvPKT_Pi
	.p2align	8
	.type	_Z11rank_kernelIxLj4ELb0EL18RadixRankAlgorithm0ELj256ELj4ELj10EEvPKT_Pi,@function
_Z11rank_kernelIxLj4ELb0EL18RadixRankAlgorithm0ELj256ELj4ELj10EEvPKT_Pi: ; @_Z11rank_kernelIxLj4ELb0EL18RadixRankAlgorithm0ELj256ELj4ELj10EEvPKT_Pi
; %bb.0:
	s_load_dwordx4 s[24:27], s[4:5], 0x0
	s_lshl_b32 s28, s6, 10
	s_mov_b32 s29, 0
	s_lshl_b64 s[0:1], s[28:29], 3
	v_lshlrev_b32_e32 v9, 5, v0
	s_waitcnt lgkmcnt(0)
	s_add_u32 s0, s24, s0
	s_addc_u32 s1, s25, s1
	global_load_dwordx4 v[1:4], v9, s[0:1]
	global_load_dwordx4 v[5:8], v9, s[0:1] offset:16
	v_mbcnt_lo_u32_b32 v12, -1, 0
	v_mbcnt_hi_u32_b32 v15, -1, v12
	v_subrev_co_u32_e64 v19, s[6:7], 1, v15
	v_and_b32_e32 v20, 64, v15
	v_cmp_lt_i32_e64 s[18:19], v19, v20
	v_or_b32_e32 v13, 63, v0
	v_lshrrev_b32_e32 v14, 4, v0
	v_mul_i32_i24_e32 v16, 0xffffffe4, v0
	v_and_b32_e32 v17, 15, v15
	v_and_b32_e32 v18, 16, v15
	v_cmp_lt_u32_e64 s[2:3], 31, v15
	v_and_b32_e32 v21, 3, v15
	v_cndmask_b32_e64 v15, v19, v15, s[18:19]
	v_mov_b32_e32 v10, 0
	s_movk_i32 s30, 0x6ff
	s_movk_i32 s31, 0x700
	v_lshlrev_b32_e32 v11, 2, v0
	v_cmp_gt_u32_e32 vcc, 4, v0
	v_cmp_lt_u32_e64 s[0:1], 63, v0
	v_or_b32_e32 v12, 0xffffff00, v0
	v_cmp_eq_u32_e64 s[4:5], v0, v13
	v_and_b32_e32 v13, 12, v14
	v_add_u32_e32 v14, v9, v16
	v_cmp_eq_u32_e64 s[8:9], 0, v17
	v_cmp_lt_u32_e64 s[10:11], 1, v17
	v_cmp_lt_u32_e64 s[12:13], 3, v17
	;; [unrolled: 1-line block ×3, first 2 shown]
	v_cmp_eq_u32_e64 s[16:17], 0, v18
	v_cmp_eq_u32_e64 s[18:19], 0, v21
	v_cmp_lt_u32_e64 s[20:21], 1, v21
	v_lshlrev_b32_e32 v15, 2, v15
	s_mov_b32 s33, s29
	s_waitcnt vmcnt(1)
	v_xor_b32_e32 v2, 0x80000000, v2
	v_xor_b32_e32 v4, 0x80000000, v4
	s_waitcnt vmcnt(0)
	v_xor_b32_e32 v6, 0x80000000, v6
	v_xor_b32_e32 v8, 0x80000000, v8
	s_branch .LBB108_2
.LBB108_1:                              ;   in Loop: Header=BB108_2 Depth=1
	s_add_i32 s33, s33, 1
	s_cmp_eq_u32 s33, 10
	s_cbranch_scc1 .LBB108_12
.LBB108_2:                              ; =>This Loop Header: Depth=1
                                        ;     Child Loop BB108_4 Depth 2
                                        ;       Child Loop BB108_5 Depth 3
	s_mov_b32 s34, 0
	s_branch .LBB108_4
.LBB108_3:                              ;   in Loop: Header=BB108_4 Depth=2
	s_or_b64 exec, exec, s[22:23]
	s_waitcnt lgkmcnt(0)
	v_add_u32_e32 v24, v25, v24
	ds_bpermute_b32 v24, v15, v24
	ds_read_b32 v32, v10 offset:8204
	ds_read2_b64 v[26:29], v9 offset1:1
	ds_read_b64 v[30:31], v9 offset:16
	ds_read_b32 v33, v9 offset:24
	s_add_i32 s22, s34, 4
	s_cmp_lt_u32 s34, 60
	s_mov_b32 s34, s22
	s_waitcnt lgkmcnt(4)
	v_cndmask_b32_e64 v24, v24, v25, s[6:7]
	s_waitcnt lgkmcnt(3)
	v_lshl_add_u32 v24, v32, 16, v24
	s_waitcnt lgkmcnt(2)
	v_add_u32_e32 v25, v24, v26
	v_add_u32_e32 v26, v27, v25
	;; [unrolled: 1-line block ×3, first 2 shown]
	ds_write2_b64 v9, v[24:25], v[26:27] offset1:1
	v_add_u32_e32 v24, v29, v27
	s_waitcnt lgkmcnt(2)
	v_add_u32_e32 v25, v30, v24
	v_add_u32_e32 v26, v31, v25
	s_waitcnt lgkmcnt(1)
	v_add_u32_e32 v27, v33, v26
	ds_write2_b64 v9, v[24:25], v[26:27] offset0:2 offset1:3
	s_waitcnt lgkmcnt(0)
	s_barrier
	s_cbranch_scc0 .LBB108_1
.LBB108_4:                              ;   Parent Loop BB108_2 Depth=1
                                        ; =>  This Loop Header: Depth=2
                                        ;       Child Loop BB108_5 Depth 3
	s_mov_b64 s[24:25], 0
	v_mov_b32_e32 v16, v12
	v_mov_b32_e32 v17, v11
.LBB108_5:                              ;   Parent Loop BB108_2 Depth=1
                                        ;     Parent Loop BB108_4 Depth=2
                                        ; =>    This Inner Loop Header: Depth=3
	v_add_u32_e32 v16, 0x100, v16
	v_cmp_lt_u32_e64 s[22:23], s30, v16
	ds_write_b32 v17, v10
	s_or_b64 s[24:25], s[22:23], s[24:25]
	v_add_u32_e32 v17, 0x400, v17
	s_andn2_b64 exec, exec, s[24:25]
	s_cbranch_execnz .LBB108_5
; %bb.6:                                ;   in Loop: Header=BB108_4 Depth=2
	s_or_b64 exec, exec, s[24:25]
	s_sub_i32 s22, 60, s34
	v_lshlrev_b64 v[16:17], s22, v[1:2]
	v_lshlrev_b64 v[18:19], s22, v[3:4]
	v_lshrrev_b32_e32 v16, 20, v17
	v_lshrrev_b32_e32 v17, 30, v17
	v_and_or_b32 v16, v16, s31, v0
	v_and_b32_e32 v17, 2, v17
	v_lshl_or_b32 v17, v16, 2, v17
	ds_read_u16 v16, v17
	v_lshrrev_b32_e32 v18, 20, v19
	v_lshrrev_b32_e32 v19, 30, v19
	v_and_or_b32 v18, v18, s31, v0
	v_and_b32_e32 v19, 2, v19
	s_waitcnt lgkmcnt(0)
	v_add_u16_e32 v20, 1, v16
	ds_write_b16 v17, v20
	v_lshl_or_b32 v19, v18, 2, v19
	ds_read_u16 v18, v19
	v_lshlrev_b64 v[20:21], s22, v[5:6]
	v_lshlrev_b64 v[22:23], s22, v[7:8]
	v_lshrrev_b32_e32 v22, 20, v23
	s_waitcnt lgkmcnt(0)
	v_add_u16_e32 v20, 1, v18
	ds_write_b16 v19, v20
	v_lshrrev_b32_e32 v20, 20, v21
	v_lshrrev_b32_e32 v21, 30, v21
	v_and_or_b32 v20, v20, s31, v0
	v_and_b32_e32 v21, 2, v21
	v_lshl_or_b32 v21, v20, 2, v21
	ds_read_u16 v20, v21
	v_lshrrev_b32_e32 v23, 30, v23
	v_and_or_b32 v22, v22, s31, v0
	v_and_b32_e32 v23, 2, v23
	v_lshl_or_b32 v23, v22, 2, v23
	s_waitcnt lgkmcnt(0)
	v_add_u16_e32 v24, 1, v20
	ds_write_b16 v21, v24
	ds_read_u16 v22, v23
	s_waitcnt lgkmcnt(0)
	v_add_u16_e32 v24, 1, v22
	ds_write_b16 v23, v24
	s_waitcnt lgkmcnt(0)
	s_barrier
	ds_read2_b64 v[24:27], v9 offset1:1
	ds_read2_b64 v[28:31], v9 offset0:2 offset1:3
	s_waitcnt lgkmcnt(1)
	v_add_u32_e32 v24, v25, v24
	v_add3_u32 v24, v24, v26, v27
	s_waitcnt lgkmcnt(0)
	v_add3_u32 v24, v24, v28, v29
	v_add3_u32 v24, v24, v30, v31
	s_nop 1
	v_mov_b32_dpp v25, v24 row_shr:1 row_mask:0xf bank_mask:0xf
	v_cndmask_b32_e64 v25, v25, 0, s[8:9]
	v_add_u32_e32 v24, v25, v24
	s_nop 1
	v_mov_b32_dpp v25, v24 row_shr:2 row_mask:0xf bank_mask:0xf
	v_cndmask_b32_e64 v25, 0, v25, s[10:11]
	v_add_u32_e32 v24, v24, v25
	;; [unrolled: 4-line block ×4, first 2 shown]
	s_nop 1
	v_mov_b32_dpp v25, v24 row_bcast:15 row_mask:0xf bank_mask:0xf
	v_cndmask_b32_e64 v25, v25, 0, s[16:17]
	v_add_u32_e32 v24, v24, v25
	s_nop 1
	v_mov_b32_dpp v25, v24 row_bcast:31 row_mask:0xf bank_mask:0xf
	v_cndmask_b32_e64 v25, 0, v25, s[2:3]
	v_add_u32_e32 v24, v24, v25
	s_and_saveexec_b64 s[22:23], s[4:5]
; %bb.7:                                ;   in Loop: Header=BB108_4 Depth=2
	ds_write_b32 v13, v24 offset:8192
; %bb.8:                                ;   in Loop: Header=BB108_4 Depth=2
	s_or_b64 exec, exec, s[22:23]
	s_waitcnt lgkmcnt(0)
	s_barrier
	s_and_saveexec_b64 s[22:23], vcc
	s_cbranch_execz .LBB108_10
; %bb.9:                                ;   in Loop: Header=BB108_4 Depth=2
	ds_read_b32 v25, v14 offset:8192
	s_waitcnt lgkmcnt(0)
	s_nop 0
	v_mov_b32_dpp v26, v25 row_shr:1 row_mask:0xf bank_mask:0xf
	v_cndmask_b32_e64 v26, v26, 0, s[18:19]
	v_add_u32_e32 v25, v26, v25
	s_nop 1
	v_mov_b32_dpp v26, v25 row_shr:2 row_mask:0xf bank_mask:0xf
	v_cndmask_b32_e64 v26, 0, v26, s[20:21]
	v_add_u32_e32 v25, v25, v26
	ds_write_b32 v14, v25 offset:8192
.LBB108_10:                             ;   in Loop: Header=BB108_4 Depth=2
	s_or_b64 exec, exec, s[22:23]
	v_mov_b32_e32 v25, 0
	s_waitcnt lgkmcnt(0)
	s_barrier
	s_and_saveexec_b64 s[22:23], s[0:1]
	s_cbranch_execz .LBB108_3
; %bb.11:                               ;   in Loop: Header=BB108_4 Depth=2
	ds_read_b32 v25, v13 offset:8188
	s_branch .LBB108_3
.LBB108_12:
	ds_read_u16 v0, v17
	ds_read_u16 v1, v19
	;; [unrolled: 1-line block ×4, first 2 shown]
	s_lshl_b64 s[0:1], s[28:29], 2
	s_add_u32 s0, s26, s0
	s_waitcnt lgkmcnt(3)
	v_add_u32_sdwa v0, v0, v16 dst_sel:DWORD dst_unused:UNUSED_PAD src0_sel:DWORD src1_sel:WORD_0
	s_waitcnt lgkmcnt(2)
	v_add_u32_sdwa v1, v1, v18 dst_sel:DWORD dst_unused:UNUSED_PAD src0_sel:DWORD src1_sel:WORD_0
	;; [unrolled: 2-line block ×4, first 2 shown]
	s_addc_u32 s1, s27, s1
	v_lshlrev_b32_e32 v4, 2, v11
	global_store_dwordx4 v4, v[0:3], s[0:1]
	s_endpgm
	.section	.rodata,"a",@progbits
	.p2align	6, 0x0
	.amdhsa_kernel _Z11rank_kernelIxLj4ELb0EL18RadixRankAlgorithm0ELj256ELj4ELj10EEvPKT_Pi
		.amdhsa_group_segment_fixed_size 8208
		.amdhsa_private_segment_fixed_size 0
		.amdhsa_kernarg_size 16
		.amdhsa_user_sgpr_count 6
		.amdhsa_user_sgpr_private_segment_buffer 1
		.amdhsa_user_sgpr_dispatch_ptr 0
		.amdhsa_user_sgpr_queue_ptr 0
		.amdhsa_user_sgpr_kernarg_segment_ptr 1
		.amdhsa_user_sgpr_dispatch_id 0
		.amdhsa_user_sgpr_flat_scratch_init 0
		.amdhsa_user_sgpr_private_segment_size 0
		.amdhsa_uses_dynamic_stack 0
		.amdhsa_system_sgpr_private_segment_wavefront_offset 0
		.amdhsa_system_sgpr_workgroup_id_x 1
		.amdhsa_system_sgpr_workgroup_id_y 0
		.amdhsa_system_sgpr_workgroup_id_z 0
		.amdhsa_system_sgpr_workgroup_info 0
		.amdhsa_system_vgpr_workitem_id 0
		.amdhsa_next_free_vgpr 34
		.amdhsa_next_free_sgpr 77
		.amdhsa_reserve_vcc 1
		.amdhsa_reserve_flat_scratch 0
		.amdhsa_float_round_mode_32 0
		.amdhsa_float_round_mode_16_64 0
		.amdhsa_float_denorm_mode_32 3
		.amdhsa_float_denorm_mode_16_64 3
		.amdhsa_dx10_clamp 1
		.amdhsa_ieee_mode 1
		.amdhsa_fp16_overflow 0
		.amdhsa_exception_fp_ieee_invalid_op 0
		.amdhsa_exception_fp_denorm_src 0
		.amdhsa_exception_fp_ieee_div_zero 0
		.amdhsa_exception_fp_ieee_overflow 0
		.amdhsa_exception_fp_ieee_underflow 0
		.amdhsa_exception_fp_ieee_inexact 0
		.amdhsa_exception_int_div_zero 0
	.end_amdhsa_kernel
	.section	.text._Z11rank_kernelIxLj4ELb0EL18RadixRankAlgorithm0ELj256ELj4ELj10EEvPKT_Pi,"axG",@progbits,_Z11rank_kernelIxLj4ELb0EL18RadixRankAlgorithm0ELj256ELj4ELj10EEvPKT_Pi,comdat
.Lfunc_end108:
	.size	_Z11rank_kernelIxLj4ELb0EL18RadixRankAlgorithm0ELj256ELj4ELj10EEvPKT_Pi, .Lfunc_end108-_Z11rank_kernelIxLj4ELb0EL18RadixRankAlgorithm0ELj256ELj4ELj10EEvPKT_Pi
                                        ; -- End function
	.set _Z11rank_kernelIxLj4ELb0EL18RadixRankAlgorithm0ELj256ELj4ELj10EEvPKT_Pi.num_vgpr, 34
	.set _Z11rank_kernelIxLj4ELb0EL18RadixRankAlgorithm0ELj256ELj4ELj10EEvPKT_Pi.num_agpr, 0
	.set _Z11rank_kernelIxLj4ELb0EL18RadixRankAlgorithm0ELj256ELj4ELj10EEvPKT_Pi.numbered_sgpr, 35
	.set _Z11rank_kernelIxLj4ELb0EL18RadixRankAlgorithm0ELj256ELj4ELj10EEvPKT_Pi.num_named_barrier, 0
	.set _Z11rank_kernelIxLj4ELb0EL18RadixRankAlgorithm0ELj256ELj4ELj10EEvPKT_Pi.private_seg_size, 0
	.set _Z11rank_kernelIxLj4ELb0EL18RadixRankAlgorithm0ELj256ELj4ELj10EEvPKT_Pi.uses_vcc, 1
	.set _Z11rank_kernelIxLj4ELb0EL18RadixRankAlgorithm0ELj256ELj4ELj10EEvPKT_Pi.uses_flat_scratch, 0
	.set _Z11rank_kernelIxLj4ELb0EL18RadixRankAlgorithm0ELj256ELj4ELj10EEvPKT_Pi.has_dyn_sized_stack, 0
	.set _Z11rank_kernelIxLj4ELb0EL18RadixRankAlgorithm0ELj256ELj4ELj10EEvPKT_Pi.has_recursion, 0
	.set _Z11rank_kernelIxLj4ELb0EL18RadixRankAlgorithm0ELj256ELj4ELj10EEvPKT_Pi.has_indirect_call, 0
	.section	.AMDGPU.csdata,"",@progbits
; Kernel info:
; codeLenInByte = 1220
; TotalNumSgprs: 39
; NumVgprs: 34
; ScratchSize: 0
; MemoryBound: 0
; FloatMode: 240
; IeeeMode: 1
; LDSByteSize: 8208 bytes/workgroup (compile time only)
; SGPRBlocks: 10
; VGPRBlocks: 8
; NumSGPRsForWavesPerEU: 81
; NumVGPRsForWavesPerEU: 34
; Occupancy: 7
; WaveLimiterHint : 0
; COMPUTE_PGM_RSRC2:SCRATCH_EN: 0
; COMPUTE_PGM_RSRC2:USER_SGPR: 6
; COMPUTE_PGM_RSRC2:TRAP_HANDLER: 0
; COMPUTE_PGM_RSRC2:TGID_X_EN: 1
; COMPUTE_PGM_RSRC2:TGID_Y_EN: 0
; COMPUTE_PGM_RSRC2:TGID_Z_EN: 0
; COMPUTE_PGM_RSRC2:TIDIG_COMP_CNT: 0
	.section	.text._Z11rank_kernelIxLj4ELb0EL18RadixRankAlgorithm1ELj256ELj4ELj10EEvPKT_Pi,"axG",@progbits,_Z11rank_kernelIxLj4ELb0EL18RadixRankAlgorithm1ELj256ELj4ELj10EEvPKT_Pi,comdat
	.protected	_Z11rank_kernelIxLj4ELb0EL18RadixRankAlgorithm1ELj256ELj4ELj10EEvPKT_Pi ; -- Begin function _Z11rank_kernelIxLj4ELb0EL18RadixRankAlgorithm1ELj256ELj4ELj10EEvPKT_Pi
	.globl	_Z11rank_kernelIxLj4ELb0EL18RadixRankAlgorithm1ELj256ELj4ELj10EEvPKT_Pi
	.p2align	8
	.type	_Z11rank_kernelIxLj4ELb0EL18RadixRankAlgorithm1ELj256ELj4ELj10EEvPKT_Pi,@function
_Z11rank_kernelIxLj4ELb0EL18RadixRankAlgorithm1ELj256ELj4ELj10EEvPKT_Pi: ; @_Z11rank_kernelIxLj4ELb0EL18RadixRankAlgorithm1ELj256ELj4ELj10EEvPKT_Pi
; %bb.0:
	s_load_dwordx4 s[24:27], s[4:5], 0x0
	s_lshl_b32 s28, s6, 10
	s_mov_b32 s29, 0
	s_lshl_b64 s[0:1], s[28:29], 3
	v_lshlrev_b32_e32 v17, 5, v0
	s_waitcnt lgkmcnt(0)
	s_add_u32 s0, s24, s0
	s_addc_u32 s1, s25, s1
	global_load_dwordx4 v[1:4], v17, s[0:1]
	global_load_dwordx4 v[5:8], v17, s[0:1] offset:16
	v_mbcnt_lo_u32_b32 v9, -1, 0
	v_mbcnt_hi_u32_b32 v9, -1, v9
	v_or_b32_e32 v10, 63, v0
	v_cmp_eq_u32_e64 s[4:5], v0, v10
	v_subrev_co_u32_e64 v10, s[6:7], 1, v9
	v_and_b32_e32 v15, 64, v9
	v_lshrrev_b32_e32 v11, 4, v0
	v_cmp_lt_i32_e64 s[18:19], v10, v15
	v_mul_i32_i24_e32 v12, 0xffffffe4, v0
	v_and_b32_e32 v13, 15, v9
	v_and_b32_e32 v14, 16, v9
	v_cmp_lt_u32_e64 s[2:3], 31, v9
	v_and_b32_e32 v21, 12, v11
	v_and_b32_e32 v11, 3, v9
	v_cndmask_b32_e64 v9, v10, v9, s[18:19]
	v_mov_b32_e32 v18, 0
	s_movk_i32 s30, 0x6ff
	s_movk_i32 s31, 0x700
	v_lshlrev_b32_e32 v19, 2, v0
	v_cmp_gt_u32_e32 vcc, 4, v0
	v_cmp_lt_u32_e64 s[0:1], 63, v0
	v_or_b32_e32 v20, 0xffffff00, v0
	v_add_u32_e32 v22, v17, v12
	v_cmp_eq_u32_e64 s[8:9], 0, v13
	v_cmp_lt_u32_e64 s[10:11], 1, v13
	v_cmp_lt_u32_e64 s[12:13], 3, v13
	;; [unrolled: 1-line block ×3, first 2 shown]
	v_cmp_eq_u32_e64 s[16:17], 0, v14
	v_cmp_eq_u32_e64 s[18:19], 0, v11
	v_cmp_lt_u32_e64 s[20:21], 1, v11
	v_lshlrev_b32_e32 v23, 2, v9
	s_mov_b32 s33, s29
	s_waitcnt vmcnt(1)
	v_xor_b32_e32 v2, 0x80000000, v2
	v_xor_b32_e32 v4, 0x80000000, v4
	s_waitcnt vmcnt(0)
	v_xor_b32_e32 v6, 0x80000000, v6
	v_xor_b32_e32 v8, 0x80000000, v8
	s_branch .LBB109_2
.LBB109_1:                              ;   in Loop: Header=BB109_2 Depth=1
	s_add_i32 s33, s33, 1
	s_cmp_eq_u32 s33, 10
	s_cbranch_scc1 .LBB109_12
.LBB109_2:                              ; =>This Loop Header: Depth=1
                                        ;     Child Loop BB109_4 Depth 2
                                        ;       Child Loop BB109_5 Depth 3
	s_mov_b32 s34, 0
	s_branch .LBB109_4
.LBB109_3:                              ;   in Loop: Header=BB109_4 Depth=2
	s_or_b64 exec, exec, s[22:23]
	s_waitcnt lgkmcnt(0)
	v_add_u32_e32 v12, v32, v12
	ds_bpermute_b32 v12, v23, v12
	ds_read_b32 v33, v18 offset:8204
	s_add_i32 s22, s34, 4
	s_cmp_lt_u32 s34, 60
	s_mov_b32 s34, s22
	s_waitcnt lgkmcnt(1)
	v_cndmask_b32_e64 v12, v12, v32, s[6:7]
	s_waitcnt lgkmcnt(0)
	v_lshl_add_u32 v12, v33, 16, v12
	v_add_u32_e32 v13, v12, v13
	v_add_u32_e32 v14, v13, v14
	;; [unrolled: 1-line block ×7, first 2 shown]
	ds_write2_b64 v17, v[12:13], v[14:15] offset1:1
	ds_write2_b64 v17, v[32:33], v[9:10] offset0:2 offset1:3
	s_waitcnt lgkmcnt(0)
	s_barrier
	s_cbranch_scc0 .LBB109_1
.LBB109_4:                              ;   Parent Loop BB109_2 Depth=1
                                        ; =>  This Loop Header: Depth=2
                                        ;       Child Loop BB109_5 Depth 3
	s_mov_b64 s[24:25], 0
	v_mov_b32_e32 v9, v20
	v_mov_b32_e32 v10, v19
.LBB109_5:                              ;   Parent Loop BB109_2 Depth=1
                                        ;     Parent Loop BB109_4 Depth=2
                                        ; =>    This Inner Loop Header: Depth=3
	v_add_u32_e32 v9, 0x100, v9
	v_cmp_lt_u32_e64 s[22:23], s30, v9
	ds_write_b32 v10, v18
	s_or_b64 s[24:25], s[22:23], s[24:25]
	v_add_u32_e32 v10, 0x400, v10
	s_andn2_b64 exec, exec, s[24:25]
	s_cbranch_execnz .LBB109_5
; %bb.6:                                ;   in Loop: Header=BB109_4 Depth=2
	s_or_b64 exec, exec, s[24:25]
	s_sub_i32 s22, 60, s34
	v_lshlrev_b64 v[9:10], s22, v[1:2]
	v_lshrrev_b32_e32 v9, 20, v10
	v_lshrrev_b32_e32 v10, 30, v10
	v_and_or_b32 v9, v9, s31, v0
	v_and_b32_e32 v10, 2, v10
	v_lshl_or_b32 v25, v9, 2, v10
	ds_read_u16 v24, v25
	v_lshlrev_b64 v[9:10], s22, v[3:4]
	v_lshrrev_b32_e32 v9, 20, v10
	v_lshrrev_b32_e32 v10, 30, v10
	v_and_or_b32 v9, v9, s31, v0
	s_waitcnt lgkmcnt(0)
	v_add_u16_e32 v11, 1, v24
	v_and_b32_e32 v10, 2, v10
	ds_write_b16 v25, v11
	v_lshl_or_b32 v27, v9, 2, v10
	ds_read_u16 v26, v27
	v_lshlrev_b64 v[9:10], s22, v[5:6]
	s_waitcnt lgkmcnt(0)
	v_add_u16_e32 v9, 1, v26
	ds_write_b16 v27, v9
	v_lshrrev_b32_e32 v9, 20, v10
	v_lshrrev_b32_e32 v10, 30, v10
	v_and_or_b32 v9, v9, s31, v0
	v_and_b32_e32 v10, 2, v10
	v_lshl_or_b32 v29, v9, 2, v10
	ds_read_u16 v28, v29
	v_lshlrev_b64 v[9:10], s22, v[7:8]
	v_lshrrev_b32_e32 v9, 20, v10
	v_lshrrev_b32_e32 v10, 30, v10
	s_waitcnt lgkmcnt(0)
	v_add_u16_e32 v11, 1, v28
	v_and_or_b32 v9, v9, s31, v0
	v_and_b32_e32 v10, 2, v10
	ds_write_b16 v29, v11
	v_lshl_or_b32 v31, v9, 2, v10
	ds_read_u16 v30, v31
	s_waitcnt lgkmcnt(0)
	v_add_u16_e32 v9, 1, v30
	ds_write_b16 v31, v9
	s_waitcnt lgkmcnt(0)
	s_barrier
	ds_read2_b64 v[13:16], v17 offset1:1
	ds_read2_b64 v[9:12], v17 offset0:2 offset1:3
	s_waitcnt lgkmcnt(1)
	v_add_u32_e32 v32, v14, v13
	v_add3_u32 v32, v32, v15, v16
	s_waitcnt lgkmcnt(0)
	v_add3_u32 v32, v32, v9, v10
	v_add3_u32 v12, v32, v11, v12
	s_nop 1
	v_mov_b32_dpp v32, v12 row_shr:1 row_mask:0xf bank_mask:0xf
	v_cndmask_b32_e64 v32, v32, 0, s[8:9]
	v_add_u32_e32 v12, v32, v12
	s_nop 1
	v_mov_b32_dpp v32, v12 row_shr:2 row_mask:0xf bank_mask:0xf
	v_cndmask_b32_e64 v32, 0, v32, s[10:11]
	v_add_u32_e32 v12, v12, v32
	;; [unrolled: 4-line block ×4, first 2 shown]
	s_nop 1
	v_mov_b32_dpp v32, v12 row_bcast:15 row_mask:0xf bank_mask:0xf
	v_cndmask_b32_e64 v32, v32, 0, s[16:17]
	v_add_u32_e32 v12, v12, v32
	s_nop 1
	v_mov_b32_dpp v32, v12 row_bcast:31 row_mask:0xf bank_mask:0xf
	v_cndmask_b32_e64 v32, 0, v32, s[2:3]
	v_add_u32_e32 v12, v12, v32
	s_and_saveexec_b64 s[22:23], s[4:5]
; %bb.7:                                ;   in Loop: Header=BB109_4 Depth=2
	ds_write_b32 v21, v12 offset:8192
; %bb.8:                                ;   in Loop: Header=BB109_4 Depth=2
	s_or_b64 exec, exec, s[22:23]
	s_waitcnt lgkmcnt(0)
	s_barrier
	s_and_saveexec_b64 s[22:23], vcc
	s_cbranch_execz .LBB109_10
; %bb.9:                                ;   in Loop: Header=BB109_4 Depth=2
	ds_read_b32 v32, v22 offset:8192
	s_waitcnt lgkmcnt(0)
	s_nop 0
	v_mov_b32_dpp v33, v32 row_shr:1 row_mask:0xf bank_mask:0xf
	v_cndmask_b32_e64 v33, v33, 0, s[18:19]
	v_add_u32_e32 v32, v33, v32
	s_nop 1
	v_mov_b32_dpp v33, v32 row_shr:2 row_mask:0xf bank_mask:0xf
	v_cndmask_b32_e64 v33, 0, v33, s[20:21]
	v_add_u32_e32 v32, v32, v33
	ds_write_b32 v22, v32 offset:8192
.LBB109_10:                             ;   in Loop: Header=BB109_4 Depth=2
	s_or_b64 exec, exec, s[22:23]
	v_mov_b32_e32 v32, 0
	s_waitcnt lgkmcnt(0)
	s_barrier
	s_and_saveexec_b64 s[22:23], s[0:1]
	s_cbranch_execz .LBB109_3
; %bb.11:                               ;   in Loop: Header=BB109_4 Depth=2
	ds_read_b32 v32, v21 offset:8188
	s_branch .LBB109_3
.LBB109_12:
	ds_read_u16 v0, v25
	ds_read_u16 v1, v27
	;; [unrolled: 1-line block ×4, first 2 shown]
	s_lshl_b64 s[0:1], s[28:29], 2
	s_add_u32 s0, s26, s0
	s_waitcnt lgkmcnt(3)
	v_add_u32_sdwa v0, v0, v24 dst_sel:DWORD dst_unused:UNUSED_PAD src0_sel:DWORD src1_sel:WORD_0
	s_waitcnt lgkmcnt(2)
	v_add_u32_sdwa v1, v1, v26 dst_sel:DWORD dst_unused:UNUSED_PAD src0_sel:DWORD src1_sel:WORD_0
	;; [unrolled: 2-line block ×4, first 2 shown]
	s_addc_u32 s1, s27, s1
	v_lshlrev_b32_e32 v4, 2, v19
	global_store_dwordx4 v4, v[0:3], s[0:1]
	s_endpgm
	.section	.rodata,"a",@progbits
	.p2align	6, 0x0
	.amdhsa_kernel _Z11rank_kernelIxLj4ELb0EL18RadixRankAlgorithm1ELj256ELj4ELj10EEvPKT_Pi
		.amdhsa_group_segment_fixed_size 8208
		.amdhsa_private_segment_fixed_size 0
		.amdhsa_kernarg_size 16
		.amdhsa_user_sgpr_count 6
		.amdhsa_user_sgpr_private_segment_buffer 1
		.amdhsa_user_sgpr_dispatch_ptr 0
		.amdhsa_user_sgpr_queue_ptr 0
		.amdhsa_user_sgpr_kernarg_segment_ptr 1
		.amdhsa_user_sgpr_dispatch_id 0
		.amdhsa_user_sgpr_flat_scratch_init 0
		.amdhsa_user_sgpr_private_segment_size 0
		.amdhsa_uses_dynamic_stack 0
		.amdhsa_system_sgpr_private_segment_wavefront_offset 0
		.amdhsa_system_sgpr_workgroup_id_x 1
		.amdhsa_system_sgpr_workgroup_id_y 0
		.amdhsa_system_sgpr_workgroup_id_z 0
		.amdhsa_system_sgpr_workgroup_info 0
		.amdhsa_system_vgpr_workitem_id 0
		.amdhsa_next_free_vgpr 34
		.amdhsa_next_free_sgpr 77
		.amdhsa_reserve_vcc 1
		.amdhsa_reserve_flat_scratch 0
		.amdhsa_float_round_mode_32 0
		.amdhsa_float_round_mode_16_64 0
		.amdhsa_float_denorm_mode_32 3
		.amdhsa_float_denorm_mode_16_64 3
		.amdhsa_dx10_clamp 1
		.amdhsa_ieee_mode 1
		.amdhsa_fp16_overflow 0
		.amdhsa_exception_fp_ieee_invalid_op 0
		.amdhsa_exception_fp_denorm_src 0
		.amdhsa_exception_fp_ieee_div_zero 0
		.amdhsa_exception_fp_ieee_overflow 0
		.amdhsa_exception_fp_ieee_underflow 0
		.amdhsa_exception_fp_ieee_inexact 0
		.amdhsa_exception_int_div_zero 0
	.end_amdhsa_kernel
	.section	.text._Z11rank_kernelIxLj4ELb0EL18RadixRankAlgorithm1ELj256ELj4ELj10EEvPKT_Pi,"axG",@progbits,_Z11rank_kernelIxLj4ELb0EL18RadixRankAlgorithm1ELj256ELj4ELj10EEvPKT_Pi,comdat
.Lfunc_end109:
	.size	_Z11rank_kernelIxLj4ELb0EL18RadixRankAlgorithm1ELj256ELj4ELj10EEvPKT_Pi, .Lfunc_end109-_Z11rank_kernelIxLj4ELb0EL18RadixRankAlgorithm1ELj256ELj4ELj10EEvPKT_Pi
                                        ; -- End function
	.set _Z11rank_kernelIxLj4ELb0EL18RadixRankAlgorithm1ELj256ELj4ELj10EEvPKT_Pi.num_vgpr, 34
	.set _Z11rank_kernelIxLj4ELb0EL18RadixRankAlgorithm1ELj256ELj4ELj10EEvPKT_Pi.num_agpr, 0
	.set _Z11rank_kernelIxLj4ELb0EL18RadixRankAlgorithm1ELj256ELj4ELj10EEvPKT_Pi.numbered_sgpr, 35
	.set _Z11rank_kernelIxLj4ELb0EL18RadixRankAlgorithm1ELj256ELj4ELj10EEvPKT_Pi.num_named_barrier, 0
	.set _Z11rank_kernelIxLj4ELb0EL18RadixRankAlgorithm1ELj256ELj4ELj10EEvPKT_Pi.private_seg_size, 0
	.set _Z11rank_kernelIxLj4ELb0EL18RadixRankAlgorithm1ELj256ELj4ELj10EEvPKT_Pi.uses_vcc, 1
	.set _Z11rank_kernelIxLj4ELb0EL18RadixRankAlgorithm1ELj256ELj4ELj10EEvPKT_Pi.uses_flat_scratch, 0
	.set _Z11rank_kernelIxLj4ELb0EL18RadixRankAlgorithm1ELj256ELj4ELj10EEvPKT_Pi.has_dyn_sized_stack, 0
	.set _Z11rank_kernelIxLj4ELb0EL18RadixRankAlgorithm1ELj256ELj4ELj10EEvPKT_Pi.has_recursion, 0
	.set _Z11rank_kernelIxLj4ELb0EL18RadixRankAlgorithm1ELj256ELj4ELj10EEvPKT_Pi.has_indirect_call, 0
	.section	.AMDGPU.csdata,"",@progbits
; Kernel info:
; codeLenInByte = 1184
; TotalNumSgprs: 39
; NumVgprs: 34
; ScratchSize: 0
; MemoryBound: 0
; FloatMode: 240
; IeeeMode: 1
; LDSByteSize: 8208 bytes/workgroup (compile time only)
; SGPRBlocks: 10
; VGPRBlocks: 8
; NumSGPRsForWavesPerEU: 81
; NumVGPRsForWavesPerEU: 34
; Occupancy: 7
; WaveLimiterHint : 0
; COMPUTE_PGM_RSRC2:SCRATCH_EN: 0
; COMPUTE_PGM_RSRC2:USER_SGPR: 6
; COMPUTE_PGM_RSRC2:TRAP_HANDLER: 0
; COMPUTE_PGM_RSRC2:TGID_X_EN: 1
; COMPUTE_PGM_RSRC2:TGID_Y_EN: 0
; COMPUTE_PGM_RSRC2:TGID_Z_EN: 0
; COMPUTE_PGM_RSRC2:TIDIG_COMP_CNT: 0
	.section	.text._Z11rank_kernelIxLj4ELb0EL18RadixRankAlgorithm2ELj256ELj4ELj10EEvPKT_Pi,"axG",@progbits,_Z11rank_kernelIxLj4ELb0EL18RadixRankAlgorithm2ELj256ELj4ELj10EEvPKT_Pi,comdat
	.protected	_Z11rank_kernelIxLj4ELb0EL18RadixRankAlgorithm2ELj256ELj4ELj10EEvPKT_Pi ; -- Begin function _Z11rank_kernelIxLj4ELb0EL18RadixRankAlgorithm2ELj256ELj4ELj10EEvPKT_Pi
	.globl	_Z11rank_kernelIxLj4ELb0EL18RadixRankAlgorithm2ELj256ELj4ELj10EEvPKT_Pi
	.p2align	8
	.type	_Z11rank_kernelIxLj4ELb0EL18RadixRankAlgorithm2ELj256ELj4ELj10EEvPKT_Pi,@function
_Z11rank_kernelIxLj4ELb0EL18RadixRankAlgorithm2ELj256ELj4ELj10EEvPKT_Pi: ; @_Z11rank_kernelIxLj4ELb0EL18RadixRankAlgorithm2ELj256ELj4ELj10EEvPKT_Pi
; %bb.0:
	s_load_dwordx4 s[24:27], s[4:5], 0x0
	s_load_dword s20, s[4:5], 0x1c
	s_lshl_b32 s28, s6, 10
	s_mov_b32 s29, 0
	s_lshl_b64 s[0:1], s[28:29], 3
	s_waitcnt lgkmcnt(0)
	s_add_u32 s0, s24, s0
	s_addc_u32 s1, s25, s1
	v_lshlrev_b32_e32 v11, 5, v0
	global_load_dwordx4 v[3:6], v11, s[0:1]
	global_load_dwordx4 v[7:10], v11, s[0:1] offset:16
	s_lshr_b32 s21, s20, 16
	v_or_b32_e32 v14, 63, v0
	s_and_b32 s20, s20, 0xffff
	v_mad_u32_u24 v1, v2, s21, v1
	v_mbcnt_lo_u32_b32 v12, -1, 0
	v_lshlrev_b32_e32 v13, 2, v0
	v_cmp_gt_u32_e32 vcc, 4, v0
	v_cmp_lt_u32_e64 s[0:1], 63, v0
	v_lshrrev_b32_e32 v15, 4, v0
	v_cmp_eq_u32_e64 s[4:5], v0, v14
	v_mad_u64_u32 v[0:1], s[20:21], v1, s20, v[0:1]
	v_mbcnt_hi_u32_b32 v12, -1, v12
	v_subrev_co_u32_e64 v18, s[6:7], 1, v12
	v_and_b32_e32 v19, 64, v12
	v_cmp_lt_i32_e64 s[18:19], v18, v19
	v_and_b32_e32 v16, 15, v12
	v_and_b32_e32 v17, 16, v12
	v_cmp_lt_u32_e64 s[2:3], 31, v12
	v_and_b32_e32 v14, 12, v15
	v_and_b32_e32 v15, 3, v12
	v_cndmask_b32_e64 v12, v18, v12, s[18:19]
	v_lshrrev_b32_e32 v0, 4, v0
	v_mov_b32_e32 v11, 0
	v_cmp_eq_u32_e64 s[8:9], 0, v16
	v_cmp_lt_u32_e64 s[10:11], 1, v16
	v_cmp_lt_u32_e64 s[12:13], 3, v16
	;; [unrolled: 1-line block ×3, first 2 shown]
	v_cmp_eq_u32_e64 s[16:17], 0, v17
	v_cmp_eq_u32_e64 s[18:19], 0, v15
	v_cmp_lt_u32_e64 s[20:21], 1, v15
	v_add_u32_e32 v15, -4, v14
	v_lshlrev_b32_e32 v16, 2, v12
	v_and_b32_e32 v2, 0xffffffc, v0
	s_mov_b32 s33, s29
	s_waitcnt vmcnt(1)
	v_xor_b32_e32 v4, 0x80000000, v4
	v_xor_b32_e32 v6, 0x80000000, v6
	s_waitcnt vmcnt(0)
	v_xor_b32_e32 v8, 0x80000000, v8
	v_xor_b32_e32 v10, 0x80000000, v10
	s_branch .LBB110_2
.LBB110_1:                              ;   in Loop: Header=BB110_2 Depth=1
	s_add_i32 s33, s33, 1
	s_cmp_eq_u32 s33, 10
	s_cbranch_scc1 .LBB110_18
.LBB110_2:                              ; =>This Loop Header: Depth=1
                                        ;     Child Loop BB110_4 Depth 2
	s_mov_b64 s[30:31], 60
	s_mov_b32 s34, -4
	s_branch .LBB110_4
.LBB110_3:                              ;   in Loop: Header=BB110_4 Depth=2
	s_or_b64 exec, exec, s[22:23]
	s_waitcnt lgkmcnt(0)
	v_add_u32_e32 v0, v1, v0
	ds_bpermute_b32 v0, v16, v0
	s_add_i32 s34, s34, 4
	s_add_u32 s30, s30, -4
	s_addc_u32 s31, s31, -1
	s_cmp_lt_u32 s34, 60
	s_waitcnt lgkmcnt(0)
	v_cndmask_b32_e64 v0, v0, v1, s[6:7]
	ds_write_b32 v13, v0 offset:16
	s_waitcnt lgkmcnt(0)
	s_barrier
	s_cbranch_scc0 .LBB110_1
.LBB110_4:                              ;   Parent Loop BB110_2 Depth=1
                                        ; =>  This Inner Loop Header: Depth=2
	v_lshlrev_b64 v[0:1], s30, v[3:4]
	ds_write_b32 v13, v11 offset:16
	v_bfe_u32 v12, v1, 28, 1
	v_add_co_u32_e64 v19, s[22:23], -1, v12
	v_addc_co_u32_e64 v20, s[22:23], 0, -1, s[22:23]
	v_cmp_ne_u32_e64 s[22:23], 0, v12
	v_lshrrev_b32_e32 v18, 28, v1
	v_xor_b32_e32 v12, s23, v20
	v_and_b32_e32 v20, exec_hi, v12
	v_lshlrev_b32_e32 v12, 30, v18
	v_xor_b32_e32 v19, s22, v19
	v_cmp_gt_i64_e64 s[22:23], 0, v[11:12]
	v_not_b32_e32 v12, v12
	v_ashrrev_i32_e32 v12, 31, v12
	v_and_b32_e32 v19, exec_lo, v19
	v_xor_b32_e32 v21, s23, v12
	v_xor_b32_e32 v12, s22, v12
	v_and_b32_e32 v19, v19, v12
	v_lshlrev_b32_e32 v12, 29, v18
	v_cmp_gt_i64_e64 s[22:23], 0, v[11:12]
	v_not_b32_e32 v12, v12
	v_ashrrev_i32_e32 v12, 31, v12
	v_mul_u32_u24_e32 v17, 20, v18
	v_xor_b32_e32 v18, s23, v12
	v_xor_b32_e32 v12, s22, v12
	v_cmp_gt_i64_e64 s[22:23], 0, v[0:1]
	v_not_b32_e32 v0, v1
	v_ashrrev_i32_e32 v0, 31, v0
	v_and_b32_e32 v20, v20, v21
	v_and_b32_e32 v12, v19, v12
	v_xor_b32_e32 v1, s23, v0
	v_xor_b32_e32 v0, s22, v0
	v_and_b32_e32 v18, v20, v18
	v_and_b32_e32 v0, v12, v0
	;; [unrolled: 1-line block ×3, first 2 shown]
	v_mbcnt_lo_u32_b32 v12, v0, 0
	v_mbcnt_hi_u32_b32 v18, v1, v12
	v_cmp_ne_u64_e64 s[22:23], 0, v[0:1]
	v_cmp_eq_u32_e64 s[24:25], 0, v18
	s_and_b64 s[24:25], s[22:23], s[24:25]
	s_waitcnt lgkmcnt(0)
	s_barrier
	; wave barrier
	s_and_saveexec_b64 s[22:23], s[24:25]
; %bb.5:                                ;   in Loop: Header=BB110_4 Depth=2
	v_bcnt_u32_b32 v0, v0, 0
	v_bcnt_u32_b32 v0, v1, v0
	v_add_u32_e32 v1, v2, v17
	ds_write_b32 v1, v0 offset:16
; %bb.6:                                ;   in Loop: Header=BB110_4 Depth=2
	s_or_b64 exec, exec, s[22:23]
	v_lshlrev_b64 v[0:1], s30, v[5:6]
	v_lshrrev_b32_e32 v21, 28, v1
	v_mad_u32_u24 v12, v21, 20, v2
	; wave barrier
	ds_read_b32 v19, v12 offset:16
	v_bfe_u32 v12, v1, 28, 1
	v_add_co_u32_e64 v22, s[22:23], -1, v12
	v_addc_co_u32_e64 v23, s[22:23], 0, -1, s[22:23]
	v_cmp_ne_u32_e64 s[22:23], 0, v12
	v_xor_b32_e32 v12, s23, v23
	v_and_b32_e32 v23, exec_hi, v12
	v_lshlrev_b32_e32 v12, 30, v21
	v_xor_b32_e32 v22, s22, v22
	v_cmp_gt_i64_e64 s[22:23], 0, v[11:12]
	v_not_b32_e32 v12, v12
	v_ashrrev_i32_e32 v12, 31, v12
	v_and_b32_e32 v22, exec_lo, v22
	v_xor_b32_e32 v24, s23, v12
	v_xor_b32_e32 v12, s22, v12
	v_and_b32_e32 v22, v22, v12
	v_lshlrev_b32_e32 v12, 29, v21
	v_cmp_gt_i64_e64 s[22:23], 0, v[11:12]
	v_not_b32_e32 v12, v12
	v_ashrrev_i32_e32 v12, 31, v12
	v_mul_u32_u24_e32 v20, 20, v21
	v_xor_b32_e32 v21, s23, v12
	v_xor_b32_e32 v12, s22, v12
	v_cmp_gt_i64_e64 s[22:23], 0, v[0:1]
	v_not_b32_e32 v0, v1
	v_ashrrev_i32_e32 v0, 31, v0
	v_and_b32_e32 v23, v23, v24
	v_and_b32_e32 v12, v22, v12
	v_xor_b32_e32 v1, s23, v0
	v_xor_b32_e32 v0, s22, v0
	v_and_b32_e32 v21, v23, v21
	v_and_b32_e32 v0, v12, v0
	;; [unrolled: 1-line block ×3, first 2 shown]
	v_mbcnt_lo_u32_b32 v12, v0, 0
	v_mbcnt_hi_u32_b32 v21, v1, v12
	v_cmp_ne_u64_e64 s[22:23], 0, v[0:1]
	v_cmp_eq_u32_e64 s[24:25], 0, v21
	s_and_b64 s[24:25], s[22:23], s[24:25]
	; wave barrier
	s_and_saveexec_b64 s[22:23], s[24:25]
	s_cbranch_execz .LBB110_8
; %bb.7:                                ;   in Loop: Header=BB110_4 Depth=2
	v_bcnt_u32_b32 v0, v0, 0
	v_bcnt_u32_b32 v0, v1, v0
	s_waitcnt lgkmcnt(0)
	v_add_u32_e32 v0, v19, v0
	v_add_u32_e32 v1, v2, v20
	ds_write_b32 v1, v0 offset:16
.LBB110_8:                              ;   in Loop: Header=BB110_4 Depth=2
	s_or_b64 exec, exec, s[22:23]
	v_lshlrev_b64 v[0:1], s30, v[7:8]
	v_lshrrev_b32_e32 v24, 28, v1
	v_mad_u32_u24 v12, v24, 20, v2
	; wave barrier
	ds_read_b32 v22, v12 offset:16
	v_bfe_u32 v12, v1, 28, 1
	v_add_co_u32_e64 v25, s[22:23], -1, v12
	v_addc_co_u32_e64 v26, s[22:23], 0, -1, s[22:23]
	v_cmp_ne_u32_e64 s[22:23], 0, v12
	v_xor_b32_e32 v12, s23, v26
	v_and_b32_e32 v26, exec_hi, v12
	v_lshlrev_b32_e32 v12, 30, v24
	v_xor_b32_e32 v25, s22, v25
	v_cmp_gt_i64_e64 s[22:23], 0, v[11:12]
	v_not_b32_e32 v12, v12
	v_ashrrev_i32_e32 v12, 31, v12
	v_and_b32_e32 v25, exec_lo, v25
	v_xor_b32_e32 v27, s23, v12
	v_xor_b32_e32 v12, s22, v12
	v_and_b32_e32 v25, v25, v12
	v_lshlrev_b32_e32 v12, 29, v24
	v_cmp_gt_i64_e64 s[22:23], 0, v[11:12]
	v_not_b32_e32 v12, v12
	v_ashrrev_i32_e32 v12, 31, v12
	v_mul_u32_u24_e32 v23, 20, v24
	v_xor_b32_e32 v24, s23, v12
	v_xor_b32_e32 v12, s22, v12
	v_cmp_gt_i64_e64 s[22:23], 0, v[0:1]
	v_not_b32_e32 v0, v1
	v_ashrrev_i32_e32 v0, 31, v0
	v_and_b32_e32 v26, v26, v27
	v_and_b32_e32 v12, v25, v12
	v_xor_b32_e32 v1, s23, v0
	v_xor_b32_e32 v0, s22, v0
	v_and_b32_e32 v24, v26, v24
	v_and_b32_e32 v0, v12, v0
	;; [unrolled: 1-line block ×3, first 2 shown]
	v_mbcnt_lo_u32_b32 v12, v0, 0
	v_mbcnt_hi_u32_b32 v24, v1, v12
	v_cmp_ne_u64_e64 s[22:23], 0, v[0:1]
	v_cmp_eq_u32_e64 s[24:25], 0, v24
	s_and_b64 s[24:25], s[22:23], s[24:25]
	; wave barrier
	s_and_saveexec_b64 s[22:23], s[24:25]
	s_cbranch_execz .LBB110_10
; %bb.9:                                ;   in Loop: Header=BB110_4 Depth=2
	v_bcnt_u32_b32 v0, v0, 0
	v_bcnt_u32_b32 v0, v1, v0
	s_waitcnt lgkmcnt(0)
	v_add_u32_e32 v0, v22, v0
	v_add_u32_e32 v1, v2, v23
	ds_write_b32 v1, v0 offset:16
.LBB110_10:                             ;   in Loop: Header=BB110_4 Depth=2
	s_or_b64 exec, exec, s[22:23]
	v_lshlrev_b64 v[0:1], s30, v[9:10]
	v_lshrrev_b32_e32 v27, 28, v1
	v_mad_u32_u24 v12, v27, 20, v2
	; wave barrier
	ds_read_b32 v25, v12 offset:16
	v_bfe_u32 v12, v1, 28, 1
	v_add_co_u32_e64 v28, s[22:23], -1, v12
	v_addc_co_u32_e64 v29, s[22:23], 0, -1, s[22:23]
	v_cmp_ne_u32_e64 s[22:23], 0, v12
	v_xor_b32_e32 v12, s23, v29
	v_and_b32_e32 v29, exec_hi, v12
	v_lshlrev_b32_e32 v12, 30, v27
	v_xor_b32_e32 v28, s22, v28
	v_cmp_gt_i64_e64 s[22:23], 0, v[11:12]
	v_not_b32_e32 v12, v12
	v_ashrrev_i32_e32 v12, 31, v12
	v_and_b32_e32 v28, exec_lo, v28
	v_xor_b32_e32 v30, s23, v12
	v_xor_b32_e32 v12, s22, v12
	v_and_b32_e32 v28, v28, v12
	v_lshlrev_b32_e32 v12, 29, v27
	v_cmp_gt_i64_e64 s[22:23], 0, v[11:12]
	v_not_b32_e32 v12, v12
	v_ashrrev_i32_e32 v12, 31, v12
	v_mul_u32_u24_e32 v26, 20, v27
	v_xor_b32_e32 v27, s23, v12
	v_xor_b32_e32 v12, s22, v12
	v_cmp_gt_i64_e64 s[22:23], 0, v[0:1]
	v_not_b32_e32 v0, v1
	v_ashrrev_i32_e32 v0, 31, v0
	v_and_b32_e32 v29, v29, v30
	v_and_b32_e32 v12, v28, v12
	v_xor_b32_e32 v1, s23, v0
	v_xor_b32_e32 v0, s22, v0
	v_and_b32_e32 v27, v29, v27
	v_and_b32_e32 v0, v12, v0
	;; [unrolled: 1-line block ×3, first 2 shown]
	v_mbcnt_lo_u32_b32 v12, v0, 0
	v_mbcnt_hi_u32_b32 v12, v1, v12
	v_cmp_ne_u64_e64 s[22:23], 0, v[0:1]
	v_cmp_eq_u32_e64 s[24:25], 0, v12
	s_and_b64 s[24:25], s[22:23], s[24:25]
	; wave barrier
	s_and_saveexec_b64 s[22:23], s[24:25]
	s_cbranch_execz .LBB110_12
; %bb.11:                               ;   in Loop: Header=BB110_4 Depth=2
	v_bcnt_u32_b32 v0, v0, 0
	v_bcnt_u32_b32 v0, v1, v0
	s_waitcnt lgkmcnt(0)
	v_add_u32_e32 v0, v25, v0
	v_add_u32_e32 v1, v2, v26
	ds_write_b32 v1, v0 offset:16
.LBB110_12:                             ;   in Loop: Header=BB110_4 Depth=2
	s_or_b64 exec, exec, s[22:23]
	; wave barrier
	s_waitcnt lgkmcnt(0)
	s_barrier
	ds_read_b32 v0, v13 offset:16
	s_waitcnt lgkmcnt(0)
	s_nop 0
	v_mov_b32_dpp v1, v0 row_shr:1 row_mask:0xf bank_mask:0xf
	v_cndmask_b32_e64 v1, v1, 0, s[8:9]
	v_add_u32_e32 v0, v1, v0
	s_nop 1
	v_mov_b32_dpp v1, v0 row_shr:2 row_mask:0xf bank_mask:0xf
	v_cndmask_b32_e64 v1, 0, v1, s[10:11]
	v_add_u32_e32 v0, v0, v1
	;; [unrolled: 4-line block ×4, first 2 shown]
	s_nop 1
	v_mov_b32_dpp v1, v0 row_bcast:15 row_mask:0xf bank_mask:0xf
	v_cndmask_b32_e64 v1, v1, 0, s[16:17]
	v_add_u32_e32 v0, v0, v1
	s_nop 1
	v_mov_b32_dpp v1, v0 row_bcast:31 row_mask:0xf bank_mask:0xf
	v_cndmask_b32_e64 v1, 0, v1, s[2:3]
	v_add_u32_e32 v0, v0, v1
	s_and_saveexec_b64 s[22:23], s[4:5]
; %bb.13:                               ;   in Loop: Header=BB110_4 Depth=2
	ds_write_b32 v14, v0
; %bb.14:                               ;   in Loop: Header=BB110_4 Depth=2
	s_or_b64 exec, exec, s[22:23]
	s_waitcnt lgkmcnt(0)
	s_barrier
	s_and_saveexec_b64 s[22:23], vcc
	s_cbranch_execz .LBB110_16
; %bb.15:                               ;   in Loop: Header=BB110_4 Depth=2
	ds_read_b32 v1, v13
	s_waitcnt lgkmcnt(0)
	s_nop 0
	v_mov_b32_dpp v27, v1 row_shr:1 row_mask:0xf bank_mask:0xf
	v_cndmask_b32_e64 v27, v27, 0, s[18:19]
	v_add_u32_e32 v1, v27, v1
	s_nop 1
	v_mov_b32_dpp v27, v1 row_shr:2 row_mask:0xf bank_mask:0xf
	v_cndmask_b32_e64 v27, 0, v27, s[20:21]
	v_add_u32_e32 v1, v1, v27
	ds_write_b32 v13, v1
.LBB110_16:                             ;   in Loop: Header=BB110_4 Depth=2
	s_or_b64 exec, exec, s[22:23]
	v_mov_b32_e32 v1, 0
	s_waitcnt lgkmcnt(0)
	s_barrier
	s_and_saveexec_b64 s[22:23], s[0:1]
	s_cbranch_execz .LBB110_3
; %bb.17:                               ;   in Loop: Header=BB110_4 Depth=2
	ds_read_b32 v1, v15
	s_branch .LBB110_3
.LBB110_18:
	v_add_u32_e32 v0, v2, v26
	v_add_u32_e32 v1, v2, v23
	v_add_u32_e32 v3, v2, v20
	v_add_u32_e32 v2, v2, v17
	ds_read_b32 v2, v2 offset:16
	ds_read_b32 v3, v3 offset:16
	;; [unrolled: 1-line block ×4, first 2 shown]
	s_lshl_b64 s[0:1], s[28:29], 2
	s_add_u32 s0, s26, s0
	s_waitcnt lgkmcnt(3)
	v_add_u32_e32 v0, v2, v18
	s_waitcnt lgkmcnt(2)
	v_add3_u32 v1, v21, v19, v3
	s_waitcnt lgkmcnt(1)
	v_add3_u32 v2, v24, v22, v4
	;; [unrolled: 2-line block ×3, first 2 shown]
	s_addc_u32 s1, s27, s1
	v_lshlrev_b32_e32 v4, 2, v13
	global_store_dwordx4 v4, v[0:3], s[0:1]
	s_endpgm
	.section	.rodata,"a",@progbits
	.p2align	6, 0x0
	.amdhsa_kernel _Z11rank_kernelIxLj4ELb0EL18RadixRankAlgorithm2ELj256ELj4ELj10EEvPKT_Pi
		.amdhsa_group_segment_fixed_size 1040
		.amdhsa_private_segment_fixed_size 0
		.amdhsa_kernarg_size 272
		.amdhsa_user_sgpr_count 6
		.amdhsa_user_sgpr_private_segment_buffer 1
		.amdhsa_user_sgpr_dispatch_ptr 0
		.amdhsa_user_sgpr_queue_ptr 0
		.amdhsa_user_sgpr_kernarg_segment_ptr 1
		.amdhsa_user_sgpr_dispatch_id 0
		.amdhsa_user_sgpr_flat_scratch_init 0
		.amdhsa_user_sgpr_private_segment_size 0
		.amdhsa_uses_dynamic_stack 0
		.amdhsa_system_sgpr_private_segment_wavefront_offset 0
		.amdhsa_system_sgpr_workgroup_id_x 1
		.amdhsa_system_sgpr_workgroup_id_y 0
		.amdhsa_system_sgpr_workgroup_id_z 0
		.amdhsa_system_sgpr_workgroup_info 0
		.amdhsa_system_vgpr_workitem_id 2
		.amdhsa_next_free_vgpr 31
		.amdhsa_next_free_sgpr 35
		.amdhsa_reserve_vcc 1
		.amdhsa_reserve_flat_scratch 0
		.amdhsa_float_round_mode_32 0
		.amdhsa_float_round_mode_16_64 0
		.amdhsa_float_denorm_mode_32 3
		.amdhsa_float_denorm_mode_16_64 3
		.amdhsa_dx10_clamp 1
		.amdhsa_ieee_mode 1
		.amdhsa_fp16_overflow 0
		.amdhsa_exception_fp_ieee_invalid_op 0
		.amdhsa_exception_fp_denorm_src 0
		.amdhsa_exception_fp_ieee_div_zero 0
		.amdhsa_exception_fp_ieee_overflow 0
		.amdhsa_exception_fp_ieee_underflow 0
		.amdhsa_exception_fp_ieee_inexact 0
		.amdhsa_exception_int_div_zero 0
	.end_amdhsa_kernel
	.section	.text._Z11rank_kernelIxLj4ELb0EL18RadixRankAlgorithm2ELj256ELj4ELj10EEvPKT_Pi,"axG",@progbits,_Z11rank_kernelIxLj4ELb0EL18RadixRankAlgorithm2ELj256ELj4ELj10EEvPKT_Pi,comdat
.Lfunc_end110:
	.size	_Z11rank_kernelIxLj4ELb0EL18RadixRankAlgorithm2ELj256ELj4ELj10EEvPKT_Pi, .Lfunc_end110-_Z11rank_kernelIxLj4ELb0EL18RadixRankAlgorithm2ELj256ELj4ELj10EEvPKT_Pi
                                        ; -- End function
	.set _Z11rank_kernelIxLj4ELb0EL18RadixRankAlgorithm2ELj256ELj4ELj10EEvPKT_Pi.num_vgpr, 31
	.set _Z11rank_kernelIxLj4ELb0EL18RadixRankAlgorithm2ELj256ELj4ELj10EEvPKT_Pi.num_agpr, 0
	.set _Z11rank_kernelIxLj4ELb0EL18RadixRankAlgorithm2ELj256ELj4ELj10EEvPKT_Pi.numbered_sgpr, 35
	.set _Z11rank_kernelIxLj4ELb0EL18RadixRankAlgorithm2ELj256ELj4ELj10EEvPKT_Pi.num_named_barrier, 0
	.set _Z11rank_kernelIxLj4ELb0EL18RadixRankAlgorithm2ELj256ELj4ELj10EEvPKT_Pi.private_seg_size, 0
	.set _Z11rank_kernelIxLj4ELb0EL18RadixRankAlgorithm2ELj256ELj4ELj10EEvPKT_Pi.uses_vcc, 1
	.set _Z11rank_kernelIxLj4ELb0EL18RadixRankAlgorithm2ELj256ELj4ELj10EEvPKT_Pi.uses_flat_scratch, 0
	.set _Z11rank_kernelIxLj4ELb0EL18RadixRankAlgorithm2ELj256ELj4ELj10EEvPKT_Pi.has_dyn_sized_stack, 0
	.set _Z11rank_kernelIxLj4ELb0EL18RadixRankAlgorithm2ELj256ELj4ELj10EEvPKT_Pi.has_recursion, 0
	.set _Z11rank_kernelIxLj4ELb0EL18RadixRankAlgorithm2ELj256ELj4ELj10EEvPKT_Pi.has_indirect_call, 0
	.section	.AMDGPU.csdata,"",@progbits
; Kernel info:
; codeLenInByte = 1888
; TotalNumSgprs: 39
; NumVgprs: 31
; ScratchSize: 0
; MemoryBound: 0
; FloatMode: 240
; IeeeMode: 1
; LDSByteSize: 1040 bytes/workgroup (compile time only)
; SGPRBlocks: 4
; VGPRBlocks: 7
; NumSGPRsForWavesPerEU: 39
; NumVGPRsForWavesPerEU: 31
; Occupancy: 8
; WaveLimiterHint : 0
; COMPUTE_PGM_RSRC2:SCRATCH_EN: 0
; COMPUTE_PGM_RSRC2:USER_SGPR: 6
; COMPUTE_PGM_RSRC2:TRAP_HANDLER: 0
; COMPUTE_PGM_RSRC2:TGID_X_EN: 1
; COMPUTE_PGM_RSRC2:TGID_Y_EN: 0
; COMPUTE_PGM_RSRC2:TGID_Z_EN: 0
; COMPUTE_PGM_RSRC2:TIDIG_COMP_CNT: 2
	.section	.text._Z11rank_kernelIxLj4ELb0EL18RadixRankAlgorithm0ELj256ELj8ELj10EEvPKT_Pi,"axG",@progbits,_Z11rank_kernelIxLj4ELb0EL18RadixRankAlgorithm0ELj256ELj8ELj10EEvPKT_Pi,comdat
	.protected	_Z11rank_kernelIxLj4ELb0EL18RadixRankAlgorithm0ELj256ELj8ELj10EEvPKT_Pi ; -- Begin function _Z11rank_kernelIxLj4ELb0EL18RadixRankAlgorithm0ELj256ELj8ELj10EEvPKT_Pi
	.globl	_Z11rank_kernelIxLj4ELb0EL18RadixRankAlgorithm0ELj256ELj8ELj10EEvPKT_Pi
	.p2align	8
	.type	_Z11rank_kernelIxLj4ELb0EL18RadixRankAlgorithm0ELj256ELj8ELj10EEvPKT_Pi,@function
_Z11rank_kernelIxLj4ELb0EL18RadixRankAlgorithm0ELj256ELj8ELj10EEvPKT_Pi: ; @_Z11rank_kernelIxLj4ELb0EL18RadixRankAlgorithm0ELj256ELj8ELj10EEvPKT_Pi
; %bb.0:
	s_load_dwordx4 s[24:27], s[4:5], 0x0
	s_lshl_b32 s28, s6, 11
	s_mov_b32 s29, 0
	s_lshl_b64 s[0:1], s[28:29], 3
	v_lshlrev_b32_e32 v17, 6, v0
	s_waitcnt lgkmcnt(0)
	s_add_u32 s0, s24, s0
	s_addc_u32 s1, s25, s1
	global_load_dwordx4 v[1:4], v17, s[0:1]
	global_load_dwordx4 v[5:8], v17, s[0:1] offset:16
	global_load_dwordx4 v[9:12], v17, s[0:1] offset:32
	;; [unrolled: 1-line block ×3, first 2 shown]
	v_mbcnt_lo_u32_b32 v20, -1, 0
	v_mbcnt_hi_u32_b32 v24, -1, v20
	v_subrev_co_u32_e64 v28, s[6:7], 1, v24
	v_and_b32_e32 v29, 64, v24
	v_cmp_lt_i32_e64 s[18:19], v28, v29
	v_lshlrev_b32_e32 v19, 5, v0
	v_or_b32_e32 v22, 63, v0
	v_lshrrev_b32_e32 v23, 4, v0
	v_mul_i32_i24_e32 v25, 0xffffffe4, v0
	v_and_b32_e32 v26, 15, v24
	v_and_b32_e32 v27, 16, v24
	v_cmp_lt_u32_e64 s[2:3], 31, v24
	v_and_b32_e32 v30, 3, v24
	v_cndmask_b32_e64 v24, v28, v24, s[18:19]
	v_mov_b32_e32 v17, 0
	s_movk_i32 s30, 0x6ff
	s_movk_i32 s31, 0x700
	v_lshlrev_b32_e32 v18, 3, v0
	v_cmp_gt_u32_e32 vcc, 4, v0
	v_cmp_lt_u32_e64 s[0:1], 63, v0
	v_lshlrev_b32_e32 v20, 2, v0
	v_or_b32_e32 v21, 0xffffff00, v0
	v_cmp_eq_u32_e64 s[4:5], v0, v22
	v_and_b32_e32 v22, 12, v23
	v_add_u32_e32 v23, v19, v25
	v_cmp_eq_u32_e64 s[8:9], 0, v26
	v_cmp_lt_u32_e64 s[10:11], 1, v26
	v_cmp_lt_u32_e64 s[12:13], 3, v26
	;; [unrolled: 1-line block ×3, first 2 shown]
	v_cmp_eq_u32_e64 s[16:17], 0, v27
	v_cmp_eq_u32_e64 s[18:19], 0, v30
	v_cmp_lt_u32_e64 s[20:21], 1, v30
	v_lshlrev_b32_e32 v24, 2, v24
	s_mov_b32 s33, s29
	s_waitcnt vmcnt(3)
	v_xor_b32_e32 v2, 0x80000000, v2
	v_xor_b32_e32 v4, 0x80000000, v4
	s_waitcnt vmcnt(2)
	v_xor_b32_e32 v6, 0x80000000, v6
	v_xor_b32_e32 v8, 0x80000000, v8
	;; [unrolled: 3-line block ×4, first 2 shown]
	s_branch .LBB111_2
.LBB111_1:                              ;   in Loop: Header=BB111_2 Depth=1
	s_add_i32 s33, s33, 1
	s_cmp_eq_u32 s33, 10
	s_cbranch_scc1 .LBB111_12
.LBB111_2:                              ; =>This Loop Header: Depth=1
                                        ;     Child Loop BB111_4 Depth 2
                                        ;       Child Loop BB111_5 Depth 3
	s_mov_b32 s34, 0
	s_branch .LBB111_4
.LBB111_3:                              ;   in Loop: Header=BB111_4 Depth=2
	s_or_b64 exec, exec, s[22:23]
	s_waitcnt lgkmcnt(0)
	v_add_u32_e32 v41, v42, v41
	ds_bpermute_b32 v41, v24, v41
	s_add_i32 s22, s34, 4
	s_cmp_lt_u32 s34, 60
	s_mov_b32 s34, s22
	s_waitcnt lgkmcnt(0)
	v_cndmask_b32_e64 v41, v41, v42, s[6:7]
	ds_read_b32 v42, v17 offset:8204
	s_waitcnt lgkmcnt(0)
	v_lshl_add_u32 v45, v42, 16, v41
	ds_read2_b64 v[41:44], v19 offset1:1
	s_waitcnt lgkmcnt(0)
	v_add_u32_e32 v46, v45, v41
	v_add_u32_e32 v41, v42, v46
	;; [unrolled: 1-line block ×3, first 2 shown]
	ds_write2_b64 v19, v[45:46], v[41:42] offset1:1
	v_add_u32_e32 v41, v44, v42
	ds_read_b64 v[42:43], v19 offset:16
	ds_read_b32 v44, v19 offset:24
	s_waitcnt lgkmcnt(1)
	v_add_u32_e32 v42, v42, v41
	v_add_u32_e32 v43, v43, v42
	s_waitcnt lgkmcnt(0)
	v_add_u32_e32 v44, v44, v43
	ds_write2_b64 v19, v[41:42], v[43:44] offset0:2 offset1:3
	s_waitcnt lgkmcnt(0)
	s_barrier
	s_cbranch_scc0 .LBB111_1
.LBB111_4:                              ;   Parent Loop BB111_2 Depth=1
                                        ; =>  This Loop Header: Depth=2
                                        ;       Child Loop BB111_5 Depth 3
	s_mov_b64 s[24:25], 0
	v_mov_b32_e32 v25, v21
	v_mov_b32_e32 v26, v20
.LBB111_5:                              ;   Parent Loop BB111_2 Depth=1
                                        ;     Parent Loop BB111_4 Depth=2
                                        ; =>    This Inner Loop Header: Depth=3
	v_add_u32_e32 v25, 0x100, v25
	v_cmp_lt_u32_e64 s[22:23], s30, v25
	ds_write_b32 v26, v17
	s_or_b64 s[24:25], s[22:23], s[24:25]
	v_add_u32_e32 v26, 0x400, v26
	s_andn2_b64 exec, exec, s[24:25]
	s_cbranch_execnz .LBB111_5
; %bb.6:                                ;   in Loop: Header=BB111_4 Depth=2
	s_or_b64 exec, exec, s[24:25]
	s_sub_i32 s22, 60, s34
	v_lshlrev_b64 v[25:26], s22, v[1:2]
	v_lshlrev_b64 v[27:28], s22, v[3:4]
	v_lshrrev_b32_e32 v25, 20, v26
	v_lshrrev_b32_e32 v26, 30, v26
	v_and_or_b32 v25, v25, s31, v0
	v_and_b32_e32 v26, 2, v26
	v_lshl_or_b32 v26, v25, 2, v26
	ds_read_u16 v25, v26
	v_lshrrev_b32_e32 v27, 20, v28
	v_lshrrev_b32_e32 v28, 30, v28
	v_and_or_b32 v27, v27, s31, v0
	v_and_b32_e32 v28, 2, v28
	s_waitcnt lgkmcnt(0)
	v_add_u16_e32 v29, 1, v25
	ds_write_b16 v26, v29
	v_lshl_or_b32 v28, v27, 2, v28
	ds_read_u16 v27, v28
	v_lshlrev_b64 v[29:30], s22, v[5:6]
	v_lshlrev_b64 v[31:32], s22, v[7:8]
	v_lshrrev_b32_e32 v31, 20, v32
	s_waitcnt lgkmcnt(0)
	v_add_u16_e32 v29, 1, v27
	ds_write_b16 v28, v29
	v_lshrrev_b32_e32 v29, 20, v30
	v_lshrrev_b32_e32 v30, 30, v30
	v_and_or_b32 v29, v29, s31, v0
	v_and_b32_e32 v30, 2, v30
	v_lshl_or_b32 v30, v29, 2, v30
	ds_read_u16 v29, v30
	v_lshrrev_b32_e32 v32, 30, v32
	v_and_or_b32 v31, v31, s31, v0
	v_and_b32_e32 v32, 2, v32
	v_lshl_or_b32 v32, v31, 2, v32
	s_waitcnt lgkmcnt(0)
	v_add_u16_e32 v33, 1, v29
	ds_write_b16 v30, v33
	ds_read_u16 v31, v32
	v_lshlrev_b64 v[33:34], s22, v[9:10]
	v_lshrrev_b32_e32 v33, 20, v34
	v_lshrrev_b32_e32 v34, 30, v34
	s_waitcnt lgkmcnt(0)
	v_add_u16_e32 v35, 1, v31
	v_and_or_b32 v33, v33, s31, v0
	v_and_b32_e32 v34, 2, v34
	ds_write_b16 v32, v35
	v_lshl_or_b32 v34, v33, 2, v34
	ds_read_u16 v33, v34
	s_waitcnt lgkmcnt(0)
	v_add_u16_e32 v35, 1, v33
	ds_write_b16 v34, v35
	v_lshlrev_b64 v[35:36], s22, v[11:12]
	v_lshrrev_b32_e32 v35, 20, v36
	v_lshrrev_b32_e32 v36, 30, v36
	v_and_or_b32 v35, v35, s31, v0
	v_and_b32_e32 v36, 2, v36
	v_lshl_or_b32 v36, v35, 2, v36
	ds_read_u16 v35, v36
	s_waitcnt lgkmcnt(0)
	v_add_u16_e32 v37, 1, v35
	ds_write_b16 v36, v37
	v_lshlrev_b64 v[37:38], s22, v[13:14]
	v_lshrrev_b32_e32 v37, 20, v38
	v_lshrrev_b32_e32 v38, 30, v38
	v_and_or_b32 v37, v37, s31, v0
	v_and_b32_e32 v38, 2, v38
	;; [unrolled: 10-line block ×3, first 2 shown]
	v_lshl_or_b32 v40, v39, 2, v40
	ds_read_u16 v39, v40
	s_waitcnt lgkmcnt(0)
	v_add_u16_e32 v41, 1, v39
	ds_write_b16 v40, v41
	s_waitcnt lgkmcnt(0)
	s_barrier
	ds_read2_b64 v[41:44], v19 offset1:1
	s_waitcnt lgkmcnt(0)
	v_add_u32_e32 v41, v42, v41
	v_add3_u32 v45, v41, v43, v44
	ds_read2_b64 v[41:44], v19 offset0:2 offset1:3
	s_waitcnt lgkmcnt(0)
	v_add3_u32 v41, v45, v41, v42
	v_add3_u32 v41, v41, v43, v44
	s_nop 1
	v_mov_b32_dpp v42, v41 row_shr:1 row_mask:0xf bank_mask:0xf
	v_cndmask_b32_e64 v42, v42, 0, s[8:9]
	v_add_u32_e32 v41, v42, v41
	s_nop 1
	v_mov_b32_dpp v42, v41 row_shr:2 row_mask:0xf bank_mask:0xf
	v_cndmask_b32_e64 v42, 0, v42, s[10:11]
	v_add_u32_e32 v41, v41, v42
	;; [unrolled: 4-line block ×4, first 2 shown]
	s_nop 1
	v_mov_b32_dpp v42, v41 row_bcast:15 row_mask:0xf bank_mask:0xf
	v_cndmask_b32_e64 v42, v42, 0, s[16:17]
	v_add_u32_e32 v41, v41, v42
	s_nop 1
	v_mov_b32_dpp v42, v41 row_bcast:31 row_mask:0xf bank_mask:0xf
	v_cndmask_b32_e64 v42, 0, v42, s[2:3]
	v_add_u32_e32 v41, v41, v42
	s_and_saveexec_b64 s[22:23], s[4:5]
; %bb.7:                                ;   in Loop: Header=BB111_4 Depth=2
	ds_write_b32 v22, v41 offset:8192
; %bb.8:                                ;   in Loop: Header=BB111_4 Depth=2
	s_or_b64 exec, exec, s[22:23]
	s_waitcnt lgkmcnt(0)
	s_barrier
	s_and_saveexec_b64 s[22:23], vcc
	s_cbranch_execz .LBB111_10
; %bb.9:                                ;   in Loop: Header=BB111_4 Depth=2
	ds_read_b32 v42, v23 offset:8192
	s_waitcnt lgkmcnt(0)
	s_nop 0
	v_mov_b32_dpp v43, v42 row_shr:1 row_mask:0xf bank_mask:0xf
	v_cndmask_b32_e64 v43, v43, 0, s[18:19]
	v_add_u32_e32 v42, v43, v42
	s_nop 1
	v_mov_b32_dpp v43, v42 row_shr:2 row_mask:0xf bank_mask:0xf
	v_cndmask_b32_e64 v43, 0, v43, s[20:21]
	v_add_u32_e32 v42, v42, v43
	ds_write_b32 v23, v42 offset:8192
.LBB111_10:                             ;   in Loop: Header=BB111_4 Depth=2
	s_or_b64 exec, exec, s[22:23]
	v_mov_b32_e32 v42, 0
	s_waitcnt lgkmcnt(0)
	s_barrier
	s_and_saveexec_b64 s[22:23], s[0:1]
	s_cbranch_execz .LBB111_3
; %bb.11:                               ;   in Loop: Header=BB111_4 Depth=2
	ds_read_b32 v42, v22 offset:8188
	s_branch .LBB111_3
.LBB111_12:
	ds_read_u16 v3, v32
	ds_read_u16 v2, v30
	;; [unrolled: 1-line block ×8, first 2 shown]
	s_lshl_b64 s[0:1], s[28:29], 2
	s_add_u32 s0, s26, s0
	s_waitcnt lgkmcnt(4)
	v_add_u32_sdwa v0, v0, v25 dst_sel:DWORD dst_unused:UNUSED_PAD src0_sel:DWORD src1_sel:WORD_0
	v_add_u32_sdwa v1, v1, v27 dst_sel:DWORD dst_unused:UNUSED_PAD src0_sel:DWORD src1_sel:WORD_0
	;; [unrolled: 1-line block ×4, first 2 shown]
	s_addc_u32 s1, s27, s1
	v_lshlrev_b32_e32 v8, 2, v18
	s_waitcnt lgkmcnt(0)
	v_add_u32_sdwa v4, v4, v33 dst_sel:DWORD dst_unused:UNUSED_PAD src0_sel:DWORD src1_sel:WORD_0
	v_add_u32_sdwa v5, v5, v35 dst_sel:DWORD dst_unused:UNUSED_PAD src0_sel:DWORD src1_sel:WORD_0
	;; [unrolled: 1-line block ×4, first 2 shown]
	global_store_dwordx4 v8, v[0:3], s[0:1]
	global_store_dwordx4 v8, v[4:7], s[0:1] offset:16
	s_endpgm
	.section	.rodata,"a",@progbits
	.p2align	6, 0x0
	.amdhsa_kernel _Z11rank_kernelIxLj4ELb0EL18RadixRankAlgorithm0ELj256ELj8ELj10EEvPKT_Pi
		.amdhsa_group_segment_fixed_size 8208
		.amdhsa_private_segment_fixed_size 0
		.amdhsa_kernarg_size 16
		.amdhsa_user_sgpr_count 6
		.amdhsa_user_sgpr_private_segment_buffer 1
		.amdhsa_user_sgpr_dispatch_ptr 0
		.amdhsa_user_sgpr_queue_ptr 0
		.amdhsa_user_sgpr_kernarg_segment_ptr 1
		.amdhsa_user_sgpr_dispatch_id 0
		.amdhsa_user_sgpr_flat_scratch_init 0
		.amdhsa_user_sgpr_private_segment_size 0
		.amdhsa_uses_dynamic_stack 0
		.amdhsa_system_sgpr_private_segment_wavefront_offset 0
		.amdhsa_system_sgpr_workgroup_id_x 1
		.amdhsa_system_sgpr_workgroup_id_y 0
		.amdhsa_system_sgpr_workgroup_id_z 0
		.amdhsa_system_sgpr_workgroup_info 0
		.amdhsa_system_vgpr_workitem_id 0
		.amdhsa_next_free_vgpr 47
		.amdhsa_next_free_sgpr 77
		.amdhsa_reserve_vcc 1
		.amdhsa_reserve_flat_scratch 0
		.amdhsa_float_round_mode_32 0
		.amdhsa_float_round_mode_16_64 0
		.amdhsa_float_denorm_mode_32 3
		.amdhsa_float_denorm_mode_16_64 3
		.amdhsa_dx10_clamp 1
		.amdhsa_ieee_mode 1
		.amdhsa_fp16_overflow 0
		.amdhsa_exception_fp_ieee_invalid_op 0
		.amdhsa_exception_fp_denorm_src 0
		.amdhsa_exception_fp_ieee_div_zero 0
		.amdhsa_exception_fp_ieee_overflow 0
		.amdhsa_exception_fp_ieee_underflow 0
		.amdhsa_exception_fp_ieee_inexact 0
		.amdhsa_exception_int_div_zero 0
	.end_amdhsa_kernel
	.section	.text._Z11rank_kernelIxLj4ELb0EL18RadixRankAlgorithm0ELj256ELj8ELj10EEvPKT_Pi,"axG",@progbits,_Z11rank_kernelIxLj4ELb0EL18RadixRankAlgorithm0ELj256ELj8ELj10EEvPKT_Pi,comdat
.Lfunc_end111:
	.size	_Z11rank_kernelIxLj4ELb0EL18RadixRankAlgorithm0ELj256ELj8ELj10EEvPKT_Pi, .Lfunc_end111-_Z11rank_kernelIxLj4ELb0EL18RadixRankAlgorithm0ELj256ELj8ELj10EEvPKT_Pi
                                        ; -- End function
	.set _Z11rank_kernelIxLj4ELb0EL18RadixRankAlgorithm0ELj256ELj8ELj10EEvPKT_Pi.num_vgpr, 47
	.set _Z11rank_kernelIxLj4ELb0EL18RadixRankAlgorithm0ELj256ELj8ELj10EEvPKT_Pi.num_agpr, 0
	.set _Z11rank_kernelIxLj4ELb0EL18RadixRankAlgorithm0ELj256ELj8ELj10EEvPKT_Pi.numbered_sgpr, 35
	.set _Z11rank_kernelIxLj4ELb0EL18RadixRankAlgorithm0ELj256ELj8ELj10EEvPKT_Pi.num_named_barrier, 0
	.set _Z11rank_kernelIxLj4ELb0EL18RadixRankAlgorithm0ELj256ELj8ELj10EEvPKT_Pi.private_seg_size, 0
	.set _Z11rank_kernelIxLj4ELb0EL18RadixRankAlgorithm0ELj256ELj8ELj10EEvPKT_Pi.uses_vcc, 1
	.set _Z11rank_kernelIxLj4ELb0EL18RadixRankAlgorithm0ELj256ELj8ELj10EEvPKT_Pi.uses_flat_scratch, 0
	.set _Z11rank_kernelIxLj4ELb0EL18RadixRankAlgorithm0ELj256ELj8ELj10EEvPKT_Pi.has_dyn_sized_stack, 0
	.set _Z11rank_kernelIxLj4ELb0EL18RadixRankAlgorithm0ELj256ELj8ELj10EEvPKT_Pi.has_recursion, 0
	.set _Z11rank_kernelIxLj4ELb0EL18RadixRankAlgorithm0ELj256ELj8ELj10EEvPKT_Pi.has_indirect_call, 0
	.section	.AMDGPU.csdata,"",@progbits
; Kernel info:
; codeLenInByte = 1588
; TotalNumSgprs: 39
; NumVgprs: 47
; ScratchSize: 0
; MemoryBound: 0
; FloatMode: 240
; IeeeMode: 1
; LDSByteSize: 8208 bytes/workgroup (compile time only)
; SGPRBlocks: 10
; VGPRBlocks: 11
; NumSGPRsForWavesPerEU: 81
; NumVGPRsForWavesPerEU: 47
; Occupancy: 5
; WaveLimiterHint : 0
; COMPUTE_PGM_RSRC2:SCRATCH_EN: 0
; COMPUTE_PGM_RSRC2:USER_SGPR: 6
; COMPUTE_PGM_RSRC2:TRAP_HANDLER: 0
; COMPUTE_PGM_RSRC2:TGID_X_EN: 1
; COMPUTE_PGM_RSRC2:TGID_Y_EN: 0
; COMPUTE_PGM_RSRC2:TGID_Z_EN: 0
; COMPUTE_PGM_RSRC2:TIDIG_COMP_CNT: 0
	.section	.text._Z11rank_kernelIxLj4ELb0EL18RadixRankAlgorithm1ELj256ELj8ELj10EEvPKT_Pi,"axG",@progbits,_Z11rank_kernelIxLj4ELb0EL18RadixRankAlgorithm1ELj256ELj8ELj10EEvPKT_Pi,comdat
	.protected	_Z11rank_kernelIxLj4ELb0EL18RadixRankAlgorithm1ELj256ELj8ELj10EEvPKT_Pi ; -- Begin function _Z11rank_kernelIxLj4ELb0EL18RadixRankAlgorithm1ELj256ELj8ELj10EEvPKT_Pi
	.globl	_Z11rank_kernelIxLj4ELb0EL18RadixRankAlgorithm1ELj256ELj8ELj10EEvPKT_Pi
	.p2align	8
	.type	_Z11rank_kernelIxLj4ELb0EL18RadixRankAlgorithm1ELj256ELj8ELj10EEvPKT_Pi,@function
_Z11rank_kernelIxLj4ELb0EL18RadixRankAlgorithm1ELj256ELj8ELj10EEvPKT_Pi: ; @_Z11rank_kernelIxLj4ELb0EL18RadixRankAlgorithm1ELj256ELj8ELj10EEvPKT_Pi
; %bb.0:
	s_load_dwordx4 s[24:27], s[4:5], 0x0
	s_lshl_b32 s28, s6, 11
	s_mov_b32 s29, 0
	s_lshl_b64 s[0:1], s[28:29], 3
	v_lshlrev_b32_e32 v17, 6, v0
	s_waitcnt lgkmcnt(0)
	s_add_u32 s0, s24, s0
	s_addc_u32 s1, s25, s1
	global_load_dwordx4 v[1:4], v17, s[0:1]
	global_load_dwordx4 v[5:8], v17, s[0:1] offset:16
	global_load_dwordx4 v[9:12], v17, s[0:1] offset:32
	;; [unrolled: 1-line block ×3, first 2 shown]
	v_mbcnt_lo_u32_b32 v17, -1, 0
	v_mbcnt_hi_u32_b32 v17, -1, v17
	v_or_b32_e32 v18, 63, v0
	v_cmp_eq_u32_e64 s[4:5], v0, v18
	v_subrev_co_u32_e64 v18, s[6:7], 1, v17
	v_and_b32_e32 v23, 64, v17
	v_lshrrev_b32_e32 v19, 4, v0
	v_cmp_lt_i32_e64 s[18:19], v18, v23
	v_lshlrev_b32_e32 v27, 5, v0
	v_mul_i32_i24_e32 v20, 0xffffffe4, v0
	v_and_b32_e32 v21, 15, v17
	v_and_b32_e32 v22, 16, v17
	v_cmp_lt_u32_e64 s[2:3], 31, v17
	v_and_b32_e32 v30, 12, v19
	v_and_b32_e32 v19, 3, v17
	v_cndmask_b32_e64 v17, v18, v17, s[18:19]
	v_mov_b32_e32 v25, 0
	s_movk_i32 s30, 0x6ff
	s_movk_i32 s31, 0x700
	v_lshlrev_b32_e32 v26, 3, v0
	v_cmp_gt_u32_e32 vcc, 4, v0
	v_cmp_lt_u32_e64 s[0:1], 63, v0
	v_lshlrev_b32_e32 v28, 2, v0
	v_or_b32_e32 v29, 0xffffff00, v0
	v_add_u32_e32 v31, v27, v20
	v_cmp_eq_u32_e64 s[8:9], 0, v21
	v_cmp_lt_u32_e64 s[10:11], 1, v21
	v_cmp_lt_u32_e64 s[12:13], 3, v21
	;; [unrolled: 1-line block ×3, first 2 shown]
	v_cmp_eq_u32_e64 s[16:17], 0, v22
	v_cmp_eq_u32_e64 s[18:19], 0, v19
	v_cmp_lt_u32_e64 s[20:21], 1, v19
	v_lshlrev_b32_e32 v32, 2, v17
	s_mov_b32 s33, s29
	s_waitcnt vmcnt(3)
	v_xor_b32_e32 v2, 0x80000000, v2
	v_xor_b32_e32 v4, 0x80000000, v4
	s_waitcnt vmcnt(2)
	v_xor_b32_e32 v6, 0x80000000, v6
	v_xor_b32_e32 v8, 0x80000000, v8
	;; [unrolled: 3-line block ×4, first 2 shown]
	s_branch .LBB112_2
.LBB112_1:                              ;   in Loop: Header=BB112_2 Depth=1
	s_add_i32 s33, s33, 1
	s_cmp_eq_u32 s33, 10
	s_cbranch_scc1 .LBB112_12
.LBB112_2:                              ; =>This Loop Header: Depth=1
                                        ;     Child Loop BB112_4 Depth 2
                                        ;       Child Loop BB112_5 Depth 3
	s_mov_b32 s34, 0
	s_branch .LBB112_4
.LBB112_3:                              ;   in Loop: Header=BB112_4 Depth=2
	s_or_b64 exec, exec, s[22:23]
	s_waitcnt lgkmcnt(0)
	v_add_u32_e32 v20, v49, v20
	ds_bpermute_b32 v20, v32, v20
	ds_read_b32 v50, v25 offset:8204
	s_add_i32 s22, s34, 4
	s_cmp_lt_u32 s34, 60
	s_mov_b32 s34, s22
	s_waitcnt lgkmcnt(1)
	v_cndmask_b32_e64 v20, v20, v49, s[6:7]
	s_waitcnt lgkmcnt(0)
	v_lshl_add_u32 v20, v50, 16, v20
	v_add_u32_e32 v21, v20, v21
	v_add_u32_e32 v22, v21, v22
	;; [unrolled: 1-line block ×7, first 2 shown]
	ds_write2_b64 v27, v[20:21], v[22:23] offset1:1
	ds_write2_b64 v27, v[49:50], v[17:18] offset0:2 offset1:3
	s_waitcnt lgkmcnt(0)
	s_barrier
	s_cbranch_scc0 .LBB112_1
.LBB112_4:                              ;   Parent Loop BB112_2 Depth=1
                                        ; =>  This Loop Header: Depth=2
                                        ;       Child Loop BB112_5 Depth 3
	s_mov_b64 s[24:25], 0
	v_mov_b32_e32 v17, v29
	v_mov_b32_e32 v18, v28
.LBB112_5:                              ;   Parent Loop BB112_2 Depth=1
                                        ;     Parent Loop BB112_4 Depth=2
                                        ; =>    This Inner Loop Header: Depth=3
	v_add_u32_e32 v17, 0x100, v17
	v_cmp_lt_u32_e64 s[22:23], s30, v17
	ds_write_b32 v18, v25
	s_or_b64 s[24:25], s[22:23], s[24:25]
	v_add_u32_e32 v18, 0x400, v18
	s_andn2_b64 exec, exec, s[24:25]
	s_cbranch_execnz .LBB112_5
; %bb.6:                                ;   in Loop: Header=BB112_4 Depth=2
	s_or_b64 exec, exec, s[24:25]
	s_sub_i32 s22, 60, s34
	v_lshlrev_b64 v[17:18], s22, v[1:2]
	v_lshrrev_b32_e32 v17, 20, v18
	v_lshrrev_b32_e32 v18, 30, v18
	v_and_or_b32 v17, v17, s31, v0
	v_and_b32_e32 v18, 2, v18
	v_lshl_or_b32 v34, v17, 2, v18
	ds_read_u16 v33, v34
	v_lshlrev_b64 v[17:18], s22, v[3:4]
	v_lshrrev_b32_e32 v17, 20, v18
	v_lshrrev_b32_e32 v18, 30, v18
	v_and_or_b32 v17, v17, s31, v0
	s_waitcnt lgkmcnt(0)
	v_add_u16_e32 v19, 1, v33
	v_and_b32_e32 v18, 2, v18
	ds_write_b16 v34, v19
	v_lshl_or_b32 v36, v17, 2, v18
	ds_read_u16 v35, v36
	v_lshlrev_b64 v[17:18], s22, v[5:6]
	s_waitcnt lgkmcnt(0)
	v_add_u16_e32 v17, 1, v35
	ds_write_b16 v36, v17
	v_lshrrev_b32_e32 v17, 20, v18
	v_lshrrev_b32_e32 v18, 30, v18
	v_and_or_b32 v17, v17, s31, v0
	v_and_b32_e32 v18, 2, v18
	v_lshl_or_b32 v38, v17, 2, v18
	ds_read_u16 v37, v38
	v_lshlrev_b64 v[17:18], s22, v[7:8]
	v_lshrrev_b32_e32 v17, 20, v18
	v_lshrrev_b32_e32 v18, 30, v18
	s_waitcnt lgkmcnt(0)
	v_add_u16_e32 v19, 1, v37
	v_and_or_b32 v17, v17, s31, v0
	v_and_b32_e32 v18, 2, v18
	ds_write_b16 v38, v19
	v_lshl_or_b32 v41, v17, 2, v18
	ds_read_u16 v39, v41
	v_lshlrev_b64 v[17:18], s22, v[9:10]
	v_lshrrev_b32_e32 v17, 20, v18
	v_lshrrev_b32_e32 v18, 30, v18
	s_waitcnt lgkmcnt(0)
	v_add_u16_e32 v19, 1, v39
	v_and_or_b32 v17, v17, s31, v0
	v_and_b32_e32 v18, 2, v18
	ds_write_b16 v41, v19
	;; [unrolled: 10-line block ×5, first 2 shown]
	v_lshl_or_b32 v48, v17, 2, v18
	ds_read_u16 v47, v48
	s_waitcnt lgkmcnt(0)
	v_add_u16_e32 v17, 1, v47
	ds_write_b16 v48, v17
	s_waitcnt lgkmcnt(0)
	s_barrier
	ds_read2_b64 v[21:24], v27 offset1:1
	ds_read2_b64 v[17:20], v27 offset0:2 offset1:3
	s_waitcnt lgkmcnt(1)
	v_add_u32_e32 v49, v22, v21
	v_add3_u32 v49, v49, v23, v24
	s_waitcnt lgkmcnt(0)
	v_add3_u32 v49, v49, v17, v18
	v_add3_u32 v20, v49, v19, v20
	s_nop 1
	v_mov_b32_dpp v49, v20 row_shr:1 row_mask:0xf bank_mask:0xf
	v_cndmask_b32_e64 v49, v49, 0, s[8:9]
	v_add_u32_e32 v20, v49, v20
	s_nop 1
	v_mov_b32_dpp v49, v20 row_shr:2 row_mask:0xf bank_mask:0xf
	v_cndmask_b32_e64 v49, 0, v49, s[10:11]
	v_add_u32_e32 v20, v20, v49
	s_nop 1
	v_mov_b32_dpp v49, v20 row_shr:4 row_mask:0xf bank_mask:0xf
	v_cndmask_b32_e64 v49, 0, v49, s[12:13]
	v_add_u32_e32 v20, v20, v49
	s_nop 1
	v_mov_b32_dpp v49, v20 row_shr:8 row_mask:0xf bank_mask:0xf
	v_cndmask_b32_e64 v49, 0, v49, s[14:15]
	v_add_u32_e32 v20, v20, v49
	s_nop 1
	v_mov_b32_dpp v49, v20 row_bcast:15 row_mask:0xf bank_mask:0xf
	v_cndmask_b32_e64 v49, v49, 0, s[16:17]
	v_add_u32_e32 v20, v20, v49
	s_nop 1
	v_mov_b32_dpp v49, v20 row_bcast:31 row_mask:0xf bank_mask:0xf
	v_cndmask_b32_e64 v49, 0, v49, s[2:3]
	v_add_u32_e32 v20, v20, v49
	s_and_saveexec_b64 s[22:23], s[4:5]
; %bb.7:                                ;   in Loop: Header=BB112_4 Depth=2
	ds_write_b32 v30, v20 offset:8192
; %bb.8:                                ;   in Loop: Header=BB112_4 Depth=2
	s_or_b64 exec, exec, s[22:23]
	s_waitcnt lgkmcnt(0)
	s_barrier
	s_and_saveexec_b64 s[22:23], vcc
	s_cbranch_execz .LBB112_10
; %bb.9:                                ;   in Loop: Header=BB112_4 Depth=2
	ds_read_b32 v49, v31 offset:8192
	s_waitcnt lgkmcnt(0)
	s_nop 0
	v_mov_b32_dpp v50, v49 row_shr:1 row_mask:0xf bank_mask:0xf
	v_cndmask_b32_e64 v50, v50, 0, s[18:19]
	v_add_u32_e32 v49, v50, v49
	s_nop 1
	v_mov_b32_dpp v50, v49 row_shr:2 row_mask:0xf bank_mask:0xf
	v_cndmask_b32_e64 v50, 0, v50, s[20:21]
	v_add_u32_e32 v49, v49, v50
	ds_write_b32 v31, v49 offset:8192
.LBB112_10:                             ;   in Loop: Header=BB112_4 Depth=2
	s_or_b64 exec, exec, s[22:23]
	v_mov_b32_e32 v49, 0
	s_waitcnt lgkmcnt(0)
	s_barrier
	s_and_saveexec_b64 s[22:23], s[0:1]
	s_cbranch_execz .LBB112_3
; %bb.11:                               ;   in Loop: Header=BB112_4 Depth=2
	ds_read_b32 v49, v30 offset:8188
	s_branch .LBB112_3
.LBB112_12:
	ds_read_u16 v3, v41
	ds_read_u16 v2, v38
	;; [unrolled: 1-line block ×8, first 2 shown]
	s_lshl_b64 s[0:1], s[28:29], 2
	s_add_u32 s0, s26, s0
	s_waitcnt lgkmcnt(4)
	v_add_u32_sdwa v0, v0, v33 dst_sel:DWORD dst_unused:UNUSED_PAD src0_sel:DWORD src1_sel:WORD_0
	v_add_u32_sdwa v1, v1, v35 dst_sel:DWORD dst_unused:UNUSED_PAD src0_sel:DWORD src1_sel:WORD_0
	;; [unrolled: 1-line block ×4, first 2 shown]
	s_addc_u32 s1, s27, s1
	v_lshlrev_b32_e32 v8, 2, v26
	s_waitcnt lgkmcnt(0)
	v_add_u32_sdwa v4, v4, v40 dst_sel:DWORD dst_unused:UNUSED_PAD src0_sel:DWORD src1_sel:WORD_0
	v_add_u32_sdwa v5, v5, v43 dst_sel:DWORD dst_unused:UNUSED_PAD src0_sel:DWORD src1_sel:WORD_0
	;; [unrolled: 1-line block ×4, first 2 shown]
	global_store_dwordx4 v8, v[0:3], s[0:1]
	global_store_dwordx4 v8, v[4:7], s[0:1] offset:16
	s_endpgm
	.section	.rodata,"a",@progbits
	.p2align	6, 0x0
	.amdhsa_kernel _Z11rank_kernelIxLj4ELb0EL18RadixRankAlgorithm1ELj256ELj8ELj10EEvPKT_Pi
		.amdhsa_group_segment_fixed_size 8208
		.amdhsa_private_segment_fixed_size 0
		.amdhsa_kernarg_size 16
		.amdhsa_user_sgpr_count 6
		.amdhsa_user_sgpr_private_segment_buffer 1
		.amdhsa_user_sgpr_dispatch_ptr 0
		.amdhsa_user_sgpr_queue_ptr 0
		.amdhsa_user_sgpr_kernarg_segment_ptr 1
		.amdhsa_user_sgpr_dispatch_id 0
		.amdhsa_user_sgpr_flat_scratch_init 0
		.amdhsa_user_sgpr_private_segment_size 0
		.amdhsa_uses_dynamic_stack 0
		.amdhsa_system_sgpr_private_segment_wavefront_offset 0
		.amdhsa_system_sgpr_workgroup_id_x 1
		.amdhsa_system_sgpr_workgroup_id_y 0
		.amdhsa_system_sgpr_workgroup_id_z 0
		.amdhsa_system_sgpr_workgroup_info 0
		.amdhsa_system_vgpr_workitem_id 0
		.amdhsa_next_free_vgpr 51
		.amdhsa_next_free_sgpr 77
		.amdhsa_reserve_vcc 1
		.amdhsa_reserve_flat_scratch 0
		.amdhsa_float_round_mode_32 0
		.amdhsa_float_round_mode_16_64 0
		.amdhsa_float_denorm_mode_32 3
		.amdhsa_float_denorm_mode_16_64 3
		.amdhsa_dx10_clamp 1
		.amdhsa_ieee_mode 1
		.amdhsa_fp16_overflow 0
		.amdhsa_exception_fp_ieee_invalid_op 0
		.amdhsa_exception_fp_denorm_src 0
		.amdhsa_exception_fp_ieee_div_zero 0
		.amdhsa_exception_fp_ieee_overflow 0
		.amdhsa_exception_fp_ieee_underflow 0
		.amdhsa_exception_fp_ieee_inexact 0
		.amdhsa_exception_int_div_zero 0
	.end_amdhsa_kernel
	.section	.text._Z11rank_kernelIxLj4ELb0EL18RadixRankAlgorithm1ELj256ELj8ELj10EEvPKT_Pi,"axG",@progbits,_Z11rank_kernelIxLj4ELb0EL18RadixRankAlgorithm1ELj256ELj8ELj10EEvPKT_Pi,comdat
.Lfunc_end112:
	.size	_Z11rank_kernelIxLj4ELb0EL18RadixRankAlgorithm1ELj256ELj8ELj10EEvPKT_Pi, .Lfunc_end112-_Z11rank_kernelIxLj4ELb0EL18RadixRankAlgorithm1ELj256ELj8ELj10EEvPKT_Pi
                                        ; -- End function
	.set _Z11rank_kernelIxLj4ELb0EL18RadixRankAlgorithm1ELj256ELj8ELj10EEvPKT_Pi.num_vgpr, 51
	.set _Z11rank_kernelIxLj4ELb0EL18RadixRankAlgorithm1ELj256ELj8ELj10EEvPKT_Pi.num_agpr, 0
	.set _Z11rank_kernelIxLj4ELb0EL18RadixRankAlgorithm1ELj256ELj8ELj10EEvPKT_Pi.numbered_sgpr, 35
	.set _Z11rank_kernelIxLj4ELb0EL18RadixRankAlgorithm1ELj256ELj8ELj10EEvPKT_Pi.num_named_barrier, 0
	.set _Z11rank_kernelIxLj4ELb0EL18RadixRankAlgorithm1ELj256ELj8ELj10EEvPKT_Pi.private_seg_size, 0
	.set _Z11rank_kernelIxLj4ELb0EL18RadixRankAlgorithm1ELj256ELj8ELj10EEvPKT_Pi.uses_vcc, 1
	.set _Z11rank_kernelIxLj4ELb0EL18RadixRankAlgorithm1ELj256ELj8ELj10EEvPKT_Pi.uses_flat_scratch, 0
	.set _Z11rank_kernelIxLj4ELb0EL18RadixRankAlgorithm1ELj256ELj8ELj10EEvPKT_Pi.has_dyn_sized_stack, 0
	.set _Z11rank_kernelIxLj4ELb0EL18RadixRankAlgorithm1ELj256ELj8ELj10EEvPKT_Pi.has_recursion, 0
	.set _Z11rank_kernelIxLj4ELb0EL18RadixRankAlgorithm1ELj256ELj8ELj10EEvPKT_Pi.has_indirect_call, 0
	.section	.AMDGPU.csdata,"",@progbits
; Kernel info:
; codeLenInByte = 1552
; TotalNumSgprs: 39
; NumVgprs: 51
; ScratchSize: 0
; MemoryBound: 0
; FloatMode: 240
; IeeeMode: 1
; LDSByteSize: 8208 bytes/workgroup (compile time only)
; SGPRBlocks: 10
; VGPRBlocks: 12
; NumSGPRsForWavesPerEU: 81
; NumVGPRsForWavesPerEU: 51
; Occupancy: 4
; WaveLimiterHint : 0
; COMPUTE_PGM_RSRC2:SCRATCH_EN: 0
; COMPUTE_PGM_RSRC2:USER_SGPR: 6
; COMPUTE_PGM_RSRC2:TRAP_HANDLER: 0
; COMPUTE_PGM_RSRC2:TGID_X_EN: 1
; COMPUTE_PGM_RSRC2:TGID_Y_EN: 0
; COMPUTE_PGM_RSRC2:TGID_Z_EN: 0
; COMPUTE_PGM_RSRC2:TIDIG_COMP_CNT: 0
	.section	.text._Z11rank_kernelIxLj4ELb0EL18RadixRankAlgorithm2ELj256ELj8ELj10EEvPKT_Pi,"axG",@progbits,_Z11rank_kernelIxLj4ELb0EL18RadixRankAlgorithm2ELj256ELj8ELj10EEvPKT_Pi,comdat
	.protected	_Z11rank_kernelIxLj4ELb0EL18RadixRankAlgorithm2ELj256ELj8ELj10EEvPKT_Pi ; -- Begin function _Z11rank_kernelIxLj4ELb0EL18RadixRankAlgorithm2ELj256ELj8ELj10EEvPKT_Pi
	.globl	_Z11rank_kernelIxLj4ELb0EL18RadixRankAlgorithm2ELj256ELj8ELj10EEvPKT_Pi
	.p2align	8
	.type	_Z11rank_kernelIxLj4ELb0EL18RadixRankAlgorithm2ELj256ELj8ELj10EEvPKT_Pi,@function
_Z11rank_kernelIxLj4ELb0EL18RadixRankAlgorithm2ELj256ELj8ELj10EEvPKT_Pi: ; @_Z11rank_kernelIxLj4ELb0EL18RadixRankAlgorithm2ELj256ELj8ELj10EEvPKT_Pi
; %bb.0:
	s_load_dwordx4 s[24:27], s[4:5], 0x0
	s_load_dword s20, s[4:5], 0x1c
	s_lshl_b32 s28, s6, 11
	s_mov_b32 s29, 0
	s_lshl_b64 s[0:1], s[28:29], 3
	s_waitcnt lgkmcnt(0)
	s_add_u32 s0, s24, s0
	s_addc_u32 s1, s25, s1
	v_lshlrev_b32_e32 v19, 6, v0
	global_load_dwordx4 v[3:6], v19, s[0:1]
	global_load_dwordx4 v[7:10], v19, s[0:1] offset:16
	global_load_dwordx4 v[11:14], v19, s[0:1] offset:32
	;; [unrolled: 1-line block ×3, first 2 shown]
	s_lshr_b32 s21, s20, 16
	v_or_b32_e32 v22, 63, v0
	s_and_b32 s20, s20, 0xffff
	v_mad_u32_u24 v1, v2, s21, v1
	v_mbcnt_lo_u32_b32 v20, -1, 0
	v_lshlrev_b32_e32 v19, 3, v0
	v_lshlrev_b32_e32 v21, 2, v0
	v_cmp_gt_u32_e32 vcc, 4, v0
	v_cmp_lt_u32_e64 s[0:1], 63, v0
	v_lshrrev_b32_e32 v23, 4, v0
	v_cmp_eq_u32_e64 s[2:3], v0, v22
	v_mad_u64_u32 v[0:1], s[20:21], v1, s20, v[0:1]
	v_mbcnt_hi_u32_b32 v20, -1, v20
	v_subrev_co_u32_e64 v26, s[4:5], 1, v20
	v_and_b32_e32 v27, 64, v20
	v_cmp_lt_i32_e64 s[18:19], v26, v27
	v_and_b32_e32 v24, 15, v20
	v_and_b32_e32 v25, 16, v20
	v_cmp_lt_u32_e64 s[6:7], 31, v20
	v_and_b32_e32 v22, 12, v23
	v_and_b32_e32 v23, 3, v20
	v_cndmask_b32_e64 v20, v26, v20, s[18:19]
	v_lshrrev_b32_e32 v0, 4, v0
	s_mov_b32 s33, s29
	v_cmp_eq_u32_e64 s[8:9], 0, v24
	v_cmp_lt_u32_e64 s[10:11], 1, v24
	v_cmp_lt_u32_e64 s[12:13], 3, v24
	;; [unrolled: 1-line block ×3, first 2 shown]
	v_cmp_eq_u32_e64 s[16:17], 0, v25
	v_cmp_eq_u32_e64 s[18:19], 0, v23
	v_cmp_lt_u32_e64 s[20:21], 1, v23
	v_add_u32_e32 v23, -4, v22
	v_lshlrev_b32_e32 v24, 2, v20
	v_and_b32_e32 v20, 0xffffffc, v0
	v_mov_b32_e32 v0, 0
	s_waitcnt vmcnt(3)
	v_xor_b32_e32 v4, 0x80000000, v4
	v_xor_b32_e32 v6, 0x80000000, v6
	s_waitcnt vmcnt(2)
	v_xor_b32_e32 v8, 0x80000000, v8
	v_xor_b32_e32 v10, 0x80000000, v10
	;; [unrolled: 3-line block ×4, first 2 shown]
	s_branch .LBB113_2
.LBB113_1:                              ;   in Loop: Header=BB113_2 Depth=1
	s_add_i32 s33, s33, 1
	s_cmp_eq_u32 s33, 10
	s_cbranch_scc1 .LBB113_26
.LBB113_2:                              ; =>This Loop Header: Depth=1
                                        ;     Child Loop BB113_4 Depth 2
	s_mov_b64 s[30:31], 60
	s_mov_b32 s34, -4
	s_branch .LBB113_4
.LBB113_3:                              ;   in Loop: Header=BB113_4 Depth=2
	s_or_b64 exec, exec, s[22:23]
	s_waitcnt lgkmcnt(0)
	v_add_u32_e32 v1, v2, v1
	ds_bpermute_b32 v1, v24, v1
	s_add_i32 s34, s34, 4
	s_add_u32 s30, s30, -4
	s_addc_u32 s31, s31, -1
	s_cmp_lt_u32 s34, 60
	s_waitcnt lgkmcnt(0)
	v_cndmask_b32_e64 v1, v1, v2, s[4:5]
	ds_write_b32 v21, v1 offset:16
	s_waitcnt lgkmcnt(0)
	s_barrier
	s_cbranch_scc0 .LBB113_1
.LBB113_4:                              ;   Parent Loop BB113_2 Depth=1
                                        ; =>  This Inner Loop Header: Depth=2
	v_lshlrev_b64 v[26:27], s30, v[3:4]
	ds_write_b32 v21, v0 offset:16
	v_bfe_u32 v1, v27, 28, 1
	v_add_co_u32_e64 v28, s[22:23], -1, v1
	v_addc_co_u32_e64 v29, s[22:23], 0, -1, s[22:23]
	v_cmp_ne_u32_e64 s[22:23], 0, v1
	v_lshrrev_b32_e32 v2, 28, v27
	v_xor_b32_e32 v1, s23, v29
	v_and_b32_e32 v29, exec_hi, v1
	v_lshlrev_b32_e32 v1, 30, v2
	v_xor_b32_e32 v28, s22, v28
	v_cmp_gt_i64_e64 s[22:23], 0, v[0:1]
	v_not_b32_e32 v1, v1
	v_ashrrev_i32_e32 v1, 31, v1
	v_and_b32_e32 v28, exec_lo, v28
	v_xor_b32_e32 v30, s23, v1
	v_xor_b32_e32 v1, s22, v1
	v_and_b32_e32 v28, v28, v1
	v_lshlrev_b32_e32 v1, 29, v2
	v_cmp_gt_i64_e64 s[22:23], 0, v[0:1]
	v_not_b32_e32 v1, v1
	v_ashrrev_i32_e32 v1, 31, v1
	v_mul_u32_u24_e32 v25, 20, v2
	v_xor_b32_e32 v2, s23, v1
	v_xor_b32_e32 v1, s22, v1
	v_cmp_gt_i64_e64 s[22:23], 0, v[26:27]
	v_not_b32_e32 v26, v27
	v_ashrrev_i32_e32 v26, 31, v26
	v_and_b32_e32 v29, v29, v30
	v_and_b32_e32 v1, v28, v1
	v_xor_b32_e32 v27, s23, v26
	v_xor_b32_e32 v26, s22, v26
	v_and_b32_e32 v2, v29, v2
	v_and_b32_e32 v1, v1, v26
	;; [unrolled: 1-line block ×3, first 2 shown]
	v_mbcnt_lo_u32_b32 v26, v1, 0
	v_mbcnt_hi_u32_b32 v26, v2, v26
	v_cmp_ne_u64_e64 s[22:23], 0, v[1:2]
	v_cmp_eq_u32_e64 s[24:25], 0, v26
	s_and_b64 s[24:25], s[22:23], s[24:25]
	s_waitcnt lgkmcnt(0)
	s_barrier
	; wave barrier
	s_and_saveexec_b64 s[22:23], s[24:25]
; %bb.5:                                ;   in Loop: Header=BB113_4 Depth=2
	v_bcnt_u32_b32 v1, v1, 0
	v_bcnt_u32_b32 v1, v2, v1
	v_add_u32_e32 v2, v20, v25
	ds_write_b32 v2, v1 offset:16
; %bb.6:                                ;   in Loop: Header=BB113_4 Depth=2
	s_or_b64 exec, exec, s[22:23]
	v_lshlrev_b64 v[29:30], s30, v[5:6]
	v_lshrrev_b32_e32 v2, 28, v30
	v_mad_u32_u24 v1, v2, 20, v20
	; wave barrier
	ds_read_b32 v27, v1 offset:16
	v_bfe_u32 v1, v30, 28, 1
	v_add_co_u32_e64 v31, s[22:23], -1, v1
	v_addc_co_u32_e64 v32, s[22:23], 0, -1, s[22:23]
	v_cmp_ne_u32_e64 s[22:23], 0, v1
	v_xor_b32_e32 v1, s23, v32
	v_and_b32_e32 v32, exec_hi, v1
	v_lshlrev_b32_e32 v1, 30, v2
	v_xor_b32_e32 v31, s22, v31
	v_cmp_gt_i64_e64 s[22:23], 0, v[0:1]
	v_not_b32_e32 v1, v1
	v_ashrrev_i32_e32 v1, 31, v1
	v_and_b32_e32 v31, exec_lo, v31
	v_xor_b32_e32 v33, s23, v1
	v_xor_b32_e32 v1, s22, v1
	v_and_b32_e32 v31, v31, v1
	v_lshlrev_b32_e32 v1, 29, v2
	v_cmp_gt_i64_e64 s[22:23], 0, v[0:1]
	v_not_b32_e32 v1, v1
	v_ashrrev_i32_e32 v1, 31, v1
	v_mul_u32_u24_e32 v28, 20, v2
	v_xor_b32_e32 v2, s23, v1
	v_xor_b32_e32 v1, s22, v1
	v_cmp_gt_i64_e64 s[22:23], 0, v[29:30]
	v_not_b32_e32 v29, v30
	v_ashrrev_i32_e32 v29, 31, v29
	v_and_b32_e32 v32, v32, v33
	v_and_b32_e32 v1, v31, v1
	v_xor_b32_e32 v30, s23, v29
	v_xor_b32_e32 v29, s22, v29
	v_and_b32_e32 v2, v32, v2
	v_and_b32_e32 v1, v1, v29
	;; [unrolled: 1-line block ×3, first 2 shown]
	v_mbcnt_lo_u32_b32 v29, v1, 0
	v_mbcnt_hi_u32_b32 v29, v2, v29
	v_cmp_ne_u64_e64 s[22:23], 0, v[1:2]
	v_cmp_eq_u32_e64 s[24:25], 0, v29
	s_and_b64 s[24:25], s[22:23], s[24:25]
	; wave barrier
	s_and_saveexec_b64 s[22:23], s[24:25]
	s_cbranch_execz .LBB113_8
; %bb.7:                                ;   in Loop: Header=BB113_4 Depth=2
	v_bcnt_u32_b32 v1, v1, 0
	v_bcnt_u32_b32 v1, v2, v1
	s_waitcnt lgkmcnt(0)
	v_add_u32_e32 v1, v27, v1
	v_add_u32_e32 v2, v20, v28
	ds_write_b32 v2, v1 offset:16
.LBB113_8:                              ;   in Loop: Header=BB113_4 Depth=2
	s_or_b64 exec, exec, s[22:23]
	v_lshlrev_b64 v[32:33], s30, v[7:8]
	v_lshrrev_b32_e32 v2, 28, v33
	v_mad_u32_u24 v1, v2, 20, v20
	; wave barrier
	ds_read_b32 v30, v1 offset:16
	v_bfe_u32 v1, v33, 28, 1
	v_add_co_u32_e64 v34, s[22:23], -1, v1
	v_addc_co_u32_e64 v35, s[22:23], 0, -1, s[22:23]
	v_cmp_ne_u32_e64 s[22:23], 0, v1
	v_xor_b32_e32 v1, s23, v35
	v_and_b32_e32 v35, exec_hi, v1
	v_lshlrev_b32_e32 v1, 30, v2
	v_xor_b32_e32 v34, s22, v34
	v_cmp_gt_i64_e64 s[22:23], 0, v[0:1]
	v_not_b32_e32 v1, v1
	v_ashrrev_i32_e32 v1, 31, v1
	v_and_b32_e32 v34, exec_lo, v34
	v_xor_b32_e32 v36, s23, v1
	v_xor_b32_e32 v1, s22, v1
	v_and_b32_e32 v34, v34, v1
	v_lshlrev_b32_e32 v1, 29, v2
	v_cmp_gt_i64_e64 s[22:23], 0, v[0:1]
	v_not_b32_e32 v1, v1
	v_ashrrev_i32_e32 v1, 31, v1
	v_mul_u32_u24_e32 v31, 20, v2
	v_xor_b32_e32 v2, s23, v1
	v_xor_b32_e32 v1, s22, v1
	v_cmp_gt_i64_e64 s[22:23], 0, v[32:33]
	v_not_b32_e32 v32, v33
	v_ashrrev_i32_e32 v32, 31, v32
	v_and_b32_e32 v35, v35, v36
	v_and_b32_e32 v1, v34, v1
	v_xor_b32_e32 v33, s23, v32
	v_xor_b32_e32 v32, s22, v32
	v_and_b32_e32 v2, v35, v2
	v_and_b32_e32 v1, v1, v32
	;; [unrolled: 1-line block ×3, first 2 shown]
	v_mbcnt_lo_u32_b32 v32, v1, 0
	v_mbcnt_hi_u32_b32 v32, v2, v32
	v_cmp_ne_u64_e64 s[22:23], 0, v[1:2]
	v_cmp_eq_u32_e64 s[24:25], 0, v32
	s_and_b64 s[24:25], s[22:23], s[24:25]
	; wave barrier
	s_and_saveexec_b64 s[22:23], s[24:25]
	s_cbranch_execz .LBB113_10
; %bb.9:                                ;   in Loop: Header=BB113_4 Depth=2
	v_bcnt_u32_b32 v1, v1, 0
	v_bcnt_u32_b32 v1, v2, v1
	s_waitcnt lgkmcnt(0)
	v_add_u32_e32 v1, v30, v1
	v_add_u32_e32 v2, v20, v31
	ds_write_b32 v2, v1 offset:16
.LBB113_10:                             ;   in Loop: Header=BB113_4 Depth=2
	s_or_b64 exec, exec, s[22:23]
	v_lshlrev_b64 v[35:36], s30, v[9:10]
	v_lshrrev_b32_e32 v2, 28, v36
	v_mad_u32_u24 v1, v2, 20, v20
	; wave barrier
	ds_read_b32 v33, v1 offset:16
	v_bfe_u32 v1, v36, 28, 1
	v_add_co_u32_e64 v37, s[22:23], -1, v1
	v_addc_co_u32_e64 v38, s[22:23], 0, -1, s[22:23]
	v_cmp_ne_u32_e64 s[22:23], 0, v1
	v_xor_b32_e32 v1, s23, v38
	v_and_b32_e32 v38, exec_hi, v1
	v_lshlrev_b32_e32 v1, 30, v2
	v_xor_b32_e32 v37, s22, v37
	v_cmp_gt_i64_e64 s[22:23], 0, v[0:1]
	v_not_b32_e32 v1, v1
	v_ashrrev_i32_e32 v1, 31, v1
	v_and_b32_e32 v37, exec_lo, v37
	v_xor_b32_e32 v39, s23, v1
	v_xor_b32_e32 v1, s22, v1
	v_and_b32_e32 v37, v37, v1
	v_lshlrev_b32_e32 v1, 29, v2
	v_cmp_gt_i64_e64 s[22:23], 0, v[0:1]
	v_not_b32_e32 v1, v1
	v_ashrrev_i32_e32 v1, 31, v1
	v_mul_u32_u24_e32 v34, 20, v2
	v_xor_b32_e32 v2, s23, v1
	v_xor_b32_e32 v1, s22, v1
	v_cmp_gt_i64_e64 s[22:23], 0, v[35:36]
	v_not_b32_e32 v35, v36
	v_ashrrev_i32_e32 v35, 31, v35
	v_and_b32_e32 v38, v38, v39
	v_and_b32_e32 v1, v37, v1
	v_xor_b32_e32 v36, s23, v35
	v_xor_b32_e32 v35, s22, v35
	v_and_b32_e32 v2, v38, v2
	v_and_b32_e32 v1, v1, v35
	v_and_b32_e32 v2, v2, v36
	v_mbcnt_lo_u32_b32 v35, v1, 0
	v_mbcnt_hi_u32_b32 v35, v2, v35
	v_cmp_ne_u64_e64 s[22:23], 0, v[1:2]
	v_cmp_eq_u32_e64 s[24:25], 0, v35
	s_and_b64 s[24:25], s[22:23], s[24:25]
	; wave barrier
	s_and_saveexec_b64 s[22:23], s[24:25]
	s_cbranch_execz .LBB113_12
; %bb.11:                               ;   in Loop: Header=BB113_4 Depth=2
	v_bcnt_u32_b32 v1, v1, 0
	v_bcnt_u32_b32 v1, v2, v1
	s_waitcnt lgkmcnt(0)
	v_add_u32_e32 v1, v33, v1
	v_add_u32_e32 v2, v20, v34
	ds_write_b32 v2, v1 offset:16
.LBB113_12:                             ;   in Loop: Header=BB113_4 Depth=2
	s_or_b64 exec, exec, s[22:23]
	v_lshlrev_b64 v[38:39], s30, v[11:12]
	v_lshrrev_b32_e32 v2, 28, v39
	v_mad_u32_u24 v1, v2, 20, v20
	; wave barrier
	ds_read_b32 v36, v1 offset:16
	v_bfe_u32 v1, v39, 28, 1
	v_add_co_u32_e64 v40, s[22:23], -1, v1
	v_addc_co_u32_e64 v41, s[22:23], 0, -1, s[22:23]
	v_cmp_ne_u32_e64 s[22:23], 0, v1
	v_xor_b32_e32 v1, s23, v41
	v_and_b32_e32 v41, exec_hi, v1
	v_lshlrev_b32_e32 v1, 30, v2
	v_xor_b32_e32 v40, s22, v40
	v_cmp_gt_i64_e64 s[22:23], 0, v[0:1]
	v_not_b32_e32 v1, v1
	v_ashrrev_i32_e32 v1, 31, v1
	v_and_b32_e32 v40, exec_lo, v40
	v_xor_b32_e32 v42, s23, v1
	v_xor_b32_e32 v1, s22, v1
	v_and_b32_e32 v40, v40, v1
	v_lshlrev_b32_e32 v1, 29, v2
	v_cmp_gt_i64_e64 s[22:23], 0, v[0:1]
	v_not_b32_e32 v1, v1
	v_ashrrev_i32_e32 v1, 31, v1
	v_mul_u32_u24_e32 v37, 20, v2
	v_xor_b32_e32 v2, s23, v1
	v_xor_b32_e32 v1, s22, v1
	v_cmp_gt_i64_e64 s[22:23], 0, v[38:39]
	v_not_b32_e32 v38, v39
	v_ashrrev_i32_e32 v38, 31, v38
	v_and_b32_e32 v41, v41, v42
	v_and_b32_e32 v1, v40, v1
	v_xor_b32_e32 v39, s23, v38
	v_xor_b32_e32 v38, s22, v38
	v_and_b32_e32 v2, v41, v2
	v_and_b32_e32 v1, v1, v38
	v_and_b32_e32 v2, v2, v39
	v_mbcnt_lo_u32_b32 v38, v1, 0
	v_mbcnt_hi_u32_b32 v38, v2, v38
	v_cmp_ne_u64_e64 s[22:23], 0, v[1:2]
	v_cmp_eq_u32_e64 s[24:25], 0, v38
	s_and_b64 s[24:25], s[22:23], s[24:25]
	; wave barrier
	s_and_saveexec_b64 s[22:23], s[24:25]
	s_cbranch_execz .LBB113_14
; %bb.13:                               ;   in Loop: Header=BB113_4 Depth=2
	v_bcnt_u32_b32 v1, v1, 0
	v_bcnt_u32_b32 v1, v2, v1
	s_waitcnt lgkmcnt(0)
	v_add_u32_e32 v1, v36, v1
	v_add_u32_e32 v2, v20, v37
	ds_write_b32 v2, v1 offset:16
.LBB113_14:                             ;   in Loop: Header=BB113_4 Depth=2
	;; [unrolled: 54-line block ×5, first 2 shown]
	s_or_b64 exec, exec, s[22:23]
	; wave barrier
	s_waitcnt lgkmcnt(0)
	s_barrier
	ds_read_b32 v1, v21 offset:16
	s_waitcnt lgkmcnt(0)
	s_nop 0
	v_mov_b32_dpp v2, v1 row_shr:1 row_mask:0xf bank_mask:0xf
	v_cndmask_b32_e64 v2, v2, 0, s[8:9]
	v_add_u32_e32 v1, v2, v1
	s_nop 1
	v_mov_b32_dpp v2, v1 row_shr:2 row_mask:0xf bank_mask:0xf
	v_cndmask_b32_e64 v2, 0, v2, s[10:11]
	v_add_u32_e32 v1, v1, v2
	;; [unrolled: 4-line block ×4, first 2 shown]
	s_nop 1
	v_mov_b32_dpp v2, v1 row_bcast:15 row_mask:0xf bank_mask:0xf
	v_cndmask_b32_e64 v2, v2, 0, s[16:17]
	v_add_u32_e32 v1, v1, v2
	s_nop 1
	v_mov_b32_dpp v2, v1 row_bcast:31 row_mask:0xf bank_mask:0xf
	v_cndmask_b32_e64 v2, 0, v2, s[6:7]
	v_add_u32_e32 v1, v1, v2
	s_and_saveexec_b64 s[22:23], s[2:3]
; %bb.21:                               ;   in Loop: Header=BB113_4 Depth=2
	ds_write_b32 v22, v1
; %bb.22:                               ;   in Loop: Header=BB113_4 Depth=2
	s_or_b64 exec, exec, s[22:23]
	s_waitcnt lgkmcnt(0)
	s_barrier
	s_and_saveexec_b64 s[22:23], vcc
	s_cbranch_execz .LBB113_24
; %bb.23:                               ;   in Loop: Header=BB113_4 Depth=2
	ds_read_b32 v2, v21
	s_waitcnt lgkmcnt(0)
	s_nop 0
	v_mov_b32_dpp v48, v2 row_shr:1 row_mask:0xf bank_mask:0xf
	v_cndmask_b32_e64 v48, v48, 0, s[18:19]
	v_add_u32_e32 v2, v48, v2
	s_nop 1
	v_mov_b32_dpp v48, v2 row_shr:2 row_mask:0xf bank_mask:0xf
	v_cndmask_b32_e64 v48, 0, v48, s[20:21]
	v_add_u32_e32 v2, v2, v48
	ds_write_b32 v21, v2
.LBB113_24:                             ;   in Loop: Header=BB113_4 Depth=2
	s_or_b64 exec, exec, s[22:23]
	v_mov_b32_e32 v2, 0
	s_waitcnt lgkmcnt(0)
	s_barrier
	s_and_saveexec_b64 s[22:23], s[0:1]
	s_cbranch_execz .LBB113_3
; %bb.25:                               ;   in Loop: Header=BB113_4 Depth=2
	ds_read_b32 v2, v23
	s_branch .LBB113_3
.LBB113_26:
	v_add_u32_e32 v0, v20, v31
	v_add_u32_e32 v1, v20, v28
	v_add_u32_e32 v2, v20, v25
	ds_read_b32 v1, v1 offset:16
	ds_read_b32 v3, v2 offset:16
	;; [unrolled: 1-line block ×3, first 2 shown]
	v_add_u32_e32 v2, v20, v34
	ds_read_b32 v4, v2 offset:16
	v_add_u32_e32 v6, v20, v40
	v_add_u32_e32 v7, v20, v37
	s_waitcnt lgkmcnt(1)
	v_add3_u32 v2, v32, v30, v0
	v_add_u32_e32 v0, v3, v26
	v_add_u32_e32 v3, v20, v46
	;; [unrolled: 1-line block ×3, first 2 shown]
	ds_read_b32 v7, v7 offset:16
	ds_read_b32 v6, v6 offset:16
	;; [unrolled: 1-line block ×4, first 2 shown]
	s_lshl_b64 s[0:1], s[28:29], 2
	s_add_u32 s0, s26, s0
	v_add3_u32 v1, v29, v27, v1
	s_waitcnt lgkmcnt(4)
	v_add3_u32 v3, v35, v33, v4
	s_waitcnt lgkmcnt(2)
	;; [unrolled: 2-line block ×3, first 2 shown]
	v_add3_u32 v6, v44, v42, v8
	s_addc_u32 s1, s27, s1
	v_lshlrev_b32_e32 v8, 2, v19
	v_add3_u32 v4, v38, v36, v7
	s_waitcnt lgkmcnt(0)
	v_add3_u32 v7, v47, v45, v9
	global_store_dwordx4 v8, v[0:3], s[0:1]
	global_store_dwordx4 v8, v[4:7], s[0:1] offset:16
	s_endpgm
	.section	.rodata,"a",@progbits
	.p2align	6, 0x0
	.amdhsa_kernel _Z11rank_kernelIxLj4ELb0EL18RadixRankAlgorithm2ELj256ELj8ELj10EEvPKT_Pi
		.amdhsa_group_segment_fixed_size 1040
		.amdhsa_private_segment_fixed_size 0
		.amdhsa_kernarg_size 272
		.amdhsa_user_sgpr_count 6
		.amdhsa_user_sgpr_private_segment_buffer 1
		.amdhsa_user_sgpr_dispatch_ptr 0
		.amdhsa_user_sgpr_queue_ptr 0
		.amdhsa_user_sgpr_kernarg_segment_ptr 1
		.amdhsa_user_sgpr_dispatch_id 0
		.amdhsa_user_sgpr_flat_scratch_init 0
		.amdhsa_user_sgpr_private_segment_size 0
		.amdhsa_uses_dynamic_stack 0
		.amdhsa_system_sgpr_private_segment_wavefront_offset 0
		.amdhsa_system_sgpr_workgroup_id_x 1
		.amdhsa_system_sgpr_workgroup_id_y 0
		.amdhsa_system_sgpr_workgroup_id_z 0
		.amdhsa_system_sgpr_workgroup_info 0
		.amdhsa_system_vgpr_workitem_id 2
		.amdhsa_next_free_vgpr 52
		.amdhsa_next_free_sgpr 35
		.amdhsa_reserve_vcc 1
		.amdhsa_reserve_flat_scratch 0
		.amdhsa_float_round_mode_32 0
		.amdhsa_float_round_mode_16_64 0
		.amdhsa_float_denorm_mode_32 3
		.amdhsa_float_denorm_mode_16_64 3
		.amdhsa_dx10_clamp 1
		.amdhsa_ieee_mode 1
		.amdhsa_fp16_overflow 0
		.amdhsa_exception_fp_ieee_invalid_op 0
		.amdhsa_exception_fp_denorm_src 0
		.amdhsa_exception_fp_ieee_div_zero 0
		.amdhsa_exception_fp_ieee_overflow 0
		.amdhsa_exception_fp_ieee_underflow 0
		.amdhsa_exception_fp_ieee_inexact 0
		.amdhsa_exception_int_div_zero 0
	.end_amdhsa_kernel
	.section	.text._Z11rank_kernelIxLj4ELb0EL18RadixRankAlgorithm2ELj256ELj8ELj10EEvPKT_Pi,"axG",@progbits,_Z11rank_kernelIxLj4ELb0EL18RadixRankAlgorithm2ELj256ELj8ELj10EEvPKT_Pi,comdat
.Lfunc_end113:
	.size	_Z11rank_kernelIxLj4ELb0EL18RadixRankAlgorithm2ELj256ELj8ELj10EEvPKT_Pi, .Lfunc_end113-_Z11rank_kernelIxLj4ELb0EL18RadixRankAlgorithm2ELj256ELj8ELj10EEvPKT_Pi
                                        ; -- End function
	.set _Z11rank_kernelIxLj4ELb0EL18RadixRankAlgorithm2ELj256ELj8ELj10EEvPKT_Pi.num_vgpr, 52
	.set _Z11rank_kernelIxLj4ELb0EL18RadixRankAlgorithm2ELj256ELj8ELj10EEvPKT_Pi.num_agpr, 0
	.set _Z11rank_kernelIxLj4ELb0EL18RadixRankAlgorithm2ELj256ELj8ELj10EEvPKT_Pi.numbered_sgpr, 35
	.set _Z11rank_kernelIxLj4ELb0EL18RadixRankAlgorithm2ELj256ELj8ELj10EEvPKT_Pi.num_named_barrier, 0
	.set _Z11rank_kernelIxLj4ELb0EL18RadixRankAlgorithm2ELj256ELj8ELj10EEvPKT_Pi.private_seg_size, 0
	.set _Z11rank_kernelIxLj4ELb0EL18RadixRankAlgorithm2ELj256ELj8ELj10EEvPKT_Pi.uses_vcc, 1
	.set _Z11rank_kernelIxLj4ELb0EL18RadixRankAlgorithm2ELj256ELj8ELj10EEvPKT_Pi.uses_flat_scratch, 0
	.set _Z11rank_kernelIxLj4ELb0EL18RadixRankAlgorithm2ELj256ELj8ELj10EEvPKT_Pi.has_dyn_sized_stack, 0
	.set _Z11rank_kernelIxLj4ELb0EL18RadixRankAlgorithm2ELj256ELj8ELj10EEvPKT_Pi.has_recursion, 0
	.set _Z11rank_kernelIxLj4ELb0EL18RadixRankAlgorithm2ELj256ELj8ELj10EEvPKT_Pi.has_indirect_call, 0
	.section	.AMDGPU.csdata,"",@progbits
; Kernel info:
; codeLenInByte = 3112
; TotalNumSgprs: 39
; NumVgprs: 52
; ScratchSize: 0
; MemoryBound: 0
; FloatMode: 240
; IeeeMode: 1
; LDSByteSize: 1040 bytes/workgroup (compile time only)
; SGPRBlocks: 4
; VGPRBlocks: 12
; NumSGPRsForWavesPerEU: 39
; NumVGPRsForWavesPerEU: 52
; Occupancy: 4
; WaveLimiterHint : 0
; COMPUTE_PGM_RSRC2:SCRATCH_EN: 0
; COMPUTE_PGM_RSRC2:USER_SGPR: 6
; COMPUTE_PGM_RSRC2:TRAP_HANDLER: 0
; COMPUTE_PGM_RSRC2:TGID_X_EN: 1
; COMPUTE_PGM_RSRC2:TGID_Y_EN: 0
; COMPUTE_PGM_RSRC2:TGID_Z_EN: 0
; COMPUTE_PGM_RSRC2:TIDIG_COMP_CNT: 2
	.section	.text._Z11rank_kernelIxLj4ELb0EL18RadixRankAlgorithm0ELj256ELj16ELj10EEvPKT_Pi,"axG",@progbits,_Z11rank_kernelIxLj4ELb0EL18RadixRankAlgorithm0ELj256ELj16ELj10EEvPKT_Pi,comdat
	.protected	_Z11rank_kernelIxLj4ELb0EL18RadixRankAlgorithm0ELj256ELj16ELj10EEvPKT_Pi ; -- Begin function _Z11rank_kernelIxLj4ELb0EL18RadixRankAlgorithm0ELj256ELj16ELj10EEvPKT_Pi
	.globl	_Z11rank_kernelIxLj4ELb0EL18RadixRankAlgorithm0ELj256ELj16ELj10EEvPKT_Pi
	.p2align	8
	.type	_Z11rank_kernelIxLj4ELb0EL18RadixRankAlgorithm0ELj256ELj16ELj10EEvPKT_Pi,@function
_Z11rank_kernelIxLj4ELb0EL18RadixRankAlgorithm0ELj256ELj16ELj10EEvPKT_Pi: ; @_Z11rank_kernelIxLj4ELb0EL18RadixRankAlgorithm0ELj256ELj16ELj10EEvPKT_Pi
; %bb.0:
	s_load_dwordx4 s[24:27], s[4:5], 0x0
	s_lshl_b32 s28, s6, 12
	s_mov_b32 s29, 0
	s_lshl_b64 s[0:1], s[28:29], 3
	v_lshlrev_b32_e32 v33, 7, v0
	s_waitcnt lgkmcnt(0)
	s_add_u32 s0, s24, s0
	s_addc_u32 s1, s25, s1
	global_load_dwordx4 v[1:4], v33, s[0:1]
	global_load_dwordx4 v[5:8], v33, s[0:1] offset:16
	global_load_dwordx4 v[9:12], v33, s[0:1] offset:32
	;; [unrolled: 1-line block ×7, first 2 shown]
	v_mbcnt_lo_u32_b32 v33, -1, 0
	v_mbcnt_hi_u32_b32 v39, -1, v33
	v_subrev_co_u32_e64 v43, s[6:7], 1, v39
	v_and_b32_e32 v44, 64, v39
	v_cmp_lt_i32_e64 s[18:19], v43, v44
	v_lshlrev_b32_e32 v35, 5, v0
	v_or_b32_e32 v37, 63, v0
	v_lshrrev_b32_e32 v38, 4, v0
	v_mul_i32_i24_e32 v40, 0xffffffe4, v0
	v_and_b32_e32 v41, 15, v39
	v_and_b32_e32 v42, 16, v39
	v_cmp_lt_u32_e64 s[4:5], 31, v39
	v_and_b32_e32 v45, 3, v39
	v_cndmask_b32_e64 v39, v43, v39, s[18:19]
	s_movk_i32 s30, 0x6ff
	s_movk_i32 s31, 0x700
	v_mov_b32_e32 v34, 0
	v_cmp_gt_u32_e32 vcc, 4, v0
	v_cmp_lt_u32_e64 s[0:1], 63, v0
	s_mov_b32 s33, s29
	v_lshlrev_b32_e32 v33, 4, v0
	v_lshlrev_b32_e32 v36, 2, v0
	v_cmp_eq_u32_e64 s[2:3], v0, v37
	v_and_b32_e32 v37, 12, v38
	v_add_u32_e32 v38, v35, v40
	v_cmp_eq_u32_e64 s[8:9], 0, v41
	v_cmp_lt_u32_e64 s[10:11], 1, v41
	v_cmp_lt_u32_e64 s[12:13], 3, v41
	;; [unrolled: 1-line block ×3, first 2 shown]
	v_cmp_eq_u32_e64 s[16:17], 0, v42
	v_cmp_eq_u32_e64 s[18:19], 0, v45
	v_cmp_lt_u32_e64 s[20:21], 1, v45
	v_lshlrev_b32_e32 v39, 2, v39
	v_or_b32_e32 v40, 0xffffff00, v0
	s_waitcnt vmcnt(7)
	v_xor_b32_e32 v2, 0x80000000, v2
	v_xor_b32_e32 v4, 0x80000000, v4
	s_waitcnt vmcnt(6)
	v_xor_b32_e32 v6, 0x80000000, v6
	v_xor_b32_e32 v8, 0x80000000, v8
	;; [unrolled: 3-line block ×8, first 2 shown]
	s_branch .LBB114_2
.LBB114_1:                              ;   in Loop: Header=BB114_2 Depth=1
	s_add_i32 s33, s33, 1
	s_cmp_eq_u32 s33, 10
	s_cbranch_scc1 .LBB114_12
.LBB114_2:                              ; =>This Loop Header: Depth=1
                                        ;     Child Loop BB114_4 Depth 2
                                        ;       Child Loop BB114_5 Depth 3
	s_mov_b32 s34, 0
	s_branch .LBB114_4
.LBB114_3:                              ;   in Loop: Header=BB114_4 Depth=2
	s_or_b64 exec, exec, s[22:23]
	s_waitcnt lgkmcnt(0)
	v_add_u32_e32 v73, v74, v73
	ds_bpermute_b32 v73, v39, v73
	ds_read_b32 v81, v34 offset:8204
	ds_read2_b64 v[75:78], v35 offset1:1
	ds_read_b64 v[79:80], v35 offset:16
	ds_read_b32 v82, v35 offset:24
	s_add_i32 s22, s34, 4
	s_cmp_lt_u32 s34, 60
	s_mov_b32 s34, s22
	s_waitcnt lgkmcnt(4)
	v_cndmask_b32_e64 v73, v73, v74, s[6:7]
	s_waitcnt lgkmcnt(3)
	v_lshl_add_u32 v73, v81, 16, v73
	s_waitcnt lgkmcnt(2)
	v_add_u32_e32 v74, v73, v75
	v_add_u32_e32 v75, v76, v74
	;; [unrolled: 1-line block ×3, first 2 shown]
	ds_write2_b64 v35, v[73:74], v[75:76] offset1:1
	v_add_u32_e32 v73, v78, v76
	s_waitcnt lgkmcnt(2)
	v_add_u32_e32 v74, v79, v73
	v_add_u32_e32 v75, v80, v74
	s_waitcnt lgkmcnt(1)
	v_add_u32_e32 v76, v82, v75
	ds_write2_b64 v35, v[73:74], v[75:76] offset0:2 offset1:3
	s_waitcnt lgkmcnt(0)
	s_barrier
	s_cbranch_scc0 .LBB114_1
.LBB114_4:                              ;   Parent Loop BB114_2 Depth=1
                                        ; =>  This Loop Header: Depth=2
                                        ;       Child Loop BB114_5 Depth 3
	s_mov_b64 s[24:25], 0
	v_mov_b32_e32 v41, v40
	v_mov_b32_e32 v42, v36
.LBB114_5:                              ;   Parent Loop BB114_2 Depth=1
                                        ;     Parent Loop BB114_4 Depth=2
                                        ; =>    This Inner Loop Header: Depth=3
	v_add_u32_e32 v41, 0x100, v41
	v_cmp_lt_u32_e64 s[22:23], s30, v41
	ds_write_b32 v42, v34
	s_or_b64 s[24:25], s[22:23], s[24:25]
	v_add_u32_e32 v42, 0x400, v42
	s_andn2_b64 exec, exec, s[24:25]
	s_cbranch_execnz .LBB114_5
; %bb.6:                                ;   in Loop: Header=BB114_4 Depth=2
	s_or_b64 exec, exec, s[24:25]
	s_sub_i32 s22, 60, s34
	v_lshlrev_b64 v[41:42], s22, v[1:2]
	v_lshlrev_b64 v[44:45], s22, v[3:4]
	v_lshrrev_b32_e32 v41, 20, v42
	v_lshrrev_b32_e32 v42, 30, v42
	v_and_or_b32 v41, v41, s31, v0
	v_and_b32_e32 v42, 2, v42
	v_lshl_or_b32 v43, v41, 2, v42
	ds_read_u16 v41, v43
	v_lshrrev_b32_e32 v42, 20, v45
	v_and_or_b32 v42, v42, s31, v0
	v_lshlrev_b64 v[46:47], s22, v[5:6]
	v_lshlrev_b64 v[48:49], s22, v[7:8]
	s_waitcnt lgkmcnt(0)
	v_add_u16_e32 v44, 1, v41
	ds_write_b16 v43, v44
	v_lshrrev_b32_e32 v44, 30, v45
	v_and_b32_e32 v44, 2, v44
	v_lshl_or_b32 v45, v42, 2, v44
	ds_read_u16 v42, v45
	v_lshrrev_b32_e32 v46, 30, v47
	v_and_b32_e32 v46, 2, v46
	v_lshrrev_b32_e32 v48, 30, v49
	v_and_b32_e32 v48, 2, v48
	s_waitcnt lgkmcnt(0)
	v_add_u16_e32 v44, 1, v42
	ds_write_b16 v45, v44
	v_lshrrev_b32_e32 v44, 20, v47
	v_and_or_b32 v44, v44, s31, v0
	v_lshl_or_b32 v47, v44, 2, v46
	ds_read_u16 v44, v47
	v_lshlrev_b64 v[50:51], s22, v[9:10]
	v_lshlrev_b64 v[52:53], s22, v[11:12]
	v_lshrrev_b32_e32 v50, 30, v51
	v_and_b32_e32 v50, 2, v50
	s_waitcnt lgkmcnt(0)
	v_add_u16_e32 v46, 1, v44
	ds_write_b16 v47, v46
	v_lshrrev_b32_e32 v46, 20, v49
	v_and_or_b32 v46, v46, s31, v0
	v_lshl_or_b32 v49, v46, 2, v48
	ds_read_u16 v46, v49
	v_lshrrev_b32_e32 v52, 30, v53
	v_and_b32_e32 v52, 2, v52
	v_lshlrev_b64 v[54:55], s22, v[13:14]
	v_lshlrev_b64 v[56:57], s22, v[15:16]
	s_waitcnt lgkmcnt(0)
	v_add_u16_e32 v48, 1, v46
	ds_write_b16 v49, v48
	v_lshrrev_b32_e32 v48, 20, v51
	v_and_or_b32 v48, v48, s31, v0
	v_lshl_or_b32 v51, v48, 2, v50
	ds_read_u16 v48, v51
	v_lshrrev_b32_e32 v54, 30, v55
	v_and_b32_e32 v54, 2, v54
	v_lshrrev_b32_e32 v56, 30, v57
	v_and_b32_e32 v56, 2, v56
	s_waitcnt lgkmcnt(0)
	v_add_u16_e32 v50, 1, v48
	ds_write_b16 v51, v50
	v_lshrrev_b32_e32 v50, 20, v53
	v_and_or_b32 v50, v50, s31, v0
	v_lshl_or_b32 v53, v50, 2, v52
	ds_read_u16 v50, v53
	v_lshlrev_b64 v[58:59], s22, v[17:18]
	v_lshlrev_b64 v[60:61], s22, v[19:20]
	v_lshrrev_b32_e32 v58, 30, v59
	v_and_b32_e32 v58, 2, v58
	s_waitcnt lgkmcnt(0)
	v_add_u16_e32 v52, 1, v50
	ds_write_b16 v53, v52
	v_lshrrev_b32_e32 v52, 20, v55
	v_and_or_b32 v52, v52, s31, v0
	v_lshl_or_b32 v55, v52, 2, v54
	ds_read_u16 v52, v55
	v_lshrrev_b32_e32 v60, 30, v61
	v_and_b32_e32 v60, 2, v60
	v_lshlrev_b64 v[62:63], s22, v[21:22]
	v_lshlrev_b64 v[64:65], s22, v[23:24]
	s_waitcnt lgkmcnt(0)
	v_add_u16_e32 v54, 1, v52
	ds_write_b16 v55, v54
	v_lshrrev_b32_e32 v54, 20, v57
	v_and_or_b32 v54, v54, s31, v0
	;; [unrolled: 33-line block ×3, first 2 shown]
	v_lshl_or_b32 v63, v60, 2, v62
	ds_read_u16 v60, v63
	v_lshrrev_b32_e32 v70, 30, v71
	v_and_b32_e32 v70, 2, v70
	v_lshrrev_b32_e32 v72, 30, v73
	v_and_b32_e32 v72, 2, v72
	s_waitcnt lgkmcnt(0)
	v_add_u16_e32 v62, 1, v60
	ds_write_b16 v63, v62
	v_lshrrev_b32_e32 v62, 20, v65
	v_and_or_b32 v62, v62, s31, v0
	v_lshl_or_b32 v65, v62, 2, v64
	ds_read_u16 v62, v65
	s_waitcnt lgkmcnt(0)
	v_add_u16_e32 v64, 1, v62
	ds_write_b16 v65, v64
	v_lshrrev_b32_e32 v64, 20, v67
	v_and_or_b32 v64, v64, s31, v0
	v_lshl_or_b32 v67, v64, 2, v66
	ds_read_u16 v64, v67
	;; [unrolled: 7-line block ×5, first 2 shown]
	s_waitcnt lgkmcnt(0)
	v_add_u16_e32 v73, 1, v70
	ds_write_b16 v72, v73
	s_waitcnt lgkmcnt(0)
	s_barrier
	ds_read2_b64 v[73:76], v35 offset1:1
	ds_read2_b64 v[77:80], v35 offset0:2 offset1:3
	s_waitcnt lgkmcnt(1)
	v_add_u32_e32 v73, v74, v73
	v_add3_u32 v73, v73, v75, v76
	s_waitcnt lgkmcnt(0)
	v_add3_u32 v73, v73, v77, v78
	v_add3_u32 v73, v73, v79, v80
	s_nop 1
	v_mov_b32_dpp v74, v73 row_shr:1 row_mask:0xf bank_mask:0xf
	v_cndmask_b32_e64 v74, v74, 0, s[8:9]
	v_add_u32_e32 v73, v74, v73
	s_nop 1
	v_mov_b32_dpp v74, v73 row_shr:2 row_mask:0xf bank_mask:0xf
	v_cndmask_b32_e64 v74, 0, v74, s[10:11]
	v_add_u32_e32 v73, v73, v74
	;; [unrolled: 4-line block ×4, first 2 shown]
	s_nop 1
	v_mov_b32_dpp v74, v73 row_bcast:15 row_mask:0xf bank_mask:0xf
	v_cndmask_b32_e64 v74, v74, 0, s[16:17]
	v_add_u32_e32 v73, v73, v74
	s_nop 1
	v_mov_b32_dpp v74, v73 row_bcast:31 row_mask:0xf bank_mask:0xf
	v_cndmask_b32_e64 v74, 0, v74, s[4:5]
	v_add_u32_e32 v73, v73, v74
	s_and_saveexec_b64 s[22:23], s[2:3]
; %bb.7:                                ;   in Loop: Header=BB114_4 Depth=2
	ds_write_b32 v37, v73 offset:8192
; %bb.8:                                ;   in Loop: Header=BB114_4 Depth=2
	s_or_b64 exec, exec, s[22:23]
	s_waitcnt lgkmcnt(0)
	s_barrier
	s_and_saveexec_b64 s[22:23], vcc
	s_cbranch_execz .LBB114_10
; %bb.9:                                ;   in Loop: Header=BB114_4 Depth=2
	ds_read_b32 v74, v38 offset:8192
	s_waitcnt lgkmcnt(0)
	s_nop 0
	v_mov_b32_dpp v75, v74 row_shr:1 row_mask:0xf bank_mask:0xf
	v_cndmask_b32_e64 v75, v75, 0, s[18:19]
	v_add_u32_e32 v74, v75, v74
	s_nop 1
	v_mov_b32_dpp v75, v74 row_shr:2 row_mask:0xf bank_mask:0xf
	v_cndmask_b32_e64 v75, 0, v75, s[20:21]
	v_add_u32_e32 v74, v74, v75
	ds_write_b32 v38, v74 offset:8192
.LBB114_10:                             ;   in Loop: Header=BB114_4 Depth=2
	s_or_b64 exec, exec, s[22:23]
	v_mov_b32_e32 v74, 0
	s_waitcnt lgkmcnt(0)
	s_barrier
	s_and_saveexec_b64 s[22:23], s[0:1]
	s_cbranch_execz .LBB114_3
; %bb.11:                               ;   in Loop: Header=BB114_4 Depth=2
	ds_read_b32 v74, v37 offset:8188
	s_branch .LBB114_3
.LBB114_12:
	ds_read_u16 v0, v72
	ds_read_u16 v1, v71
	;; [unrolled: 1-line block ×16, first 2 shown]
	s_lshl_b64 s[0:1], s[28:29], 2
	s_add_u32 s0, s26, s0
	s_waitcnt lgkmcnt(14)
	v_add_u32_sdwa v3, v0, v70 dst_sel:DWORD dst_unused:UNUSED_PAD src0_sel:DWORD src1_sel:WORD_0
	v_add_u32_sdwa v2, v1, v68 dst_sel:DWORD dst_unused:UNUSED_PAD src0_sel:DWORD src1_sel:WORD_0
	s_waitcnt lgkmcnt(13)
	v_add_u32_sdwa v1, v4, v66 dst_sel:DWORD dst_unused:UNUSED_PAD src0_sel:DWORD src1_sel:WORD_0
	s_waitcnt lgkmcnt(12)
	;; [unrolled: 2-line block ×13, first 2 shown]
	v_add_u32_sdwa v12, v18, v41 dst_sel:DWORD dst_unused:UNUSED_PAD src0_sel:DWORD src1_sel:WORD_0
	s_addc_u32 s1, s27, s1
	v_lshlrev_b32_e32 v16, 2, v33
	v_add_u32_sdwa v11, v11, v54 dst_sel:DWORD dst_unused:UNUSED_PAD src0_sel:DWORD src1_sel:WORD_0
	global_store_dwordx4 v16, v[12:15], s[0:1]
	global_store_dwordx4 v16, v[8:11], s[0:1] offset:16
	global_store_dwordx4 v16, v[4:7], s[0:1] offset:32
	;; [unrolled: 1-line block ×3, first 2 shown]
	s_endpgm
	.section	.rodata,"a",@progbits
	.p2align	6, 0x0
	.amdhsa_kernel _Z11rank_kernelIxLj4ELb0EL18RadixRankAlgorithm0ELj256ELj16ELj10EEvPKT_Pi
		.amdhsa_group_segment_fixed_size 8208
		.amdhsa_private_segment_fixed_size 0
		.amdhsa_kernarg_size 16
		.amdhsa_user_sgpr_count 6
		.amdhsa_user_sgpr_private_segment_buffer 1
		.amdhsa_user_sgpr_dispatch_ptr 0
		.amdhsa_user_sgpr_queue_ptr 0
		.amdhsa_user_sgpr_kernarg_segment_ptr 1
		.amdhsa_user_sgpr_dispatch_id 0
		.amdhsa_user_sgpr_flat_scratch_init 0
		.amdhsa_user_sgpr_private_segment_size 0
		.amdhsa_uses_dynamic_stack 0
		.amdhsa_system_sgpr_private_segment_wavefront_offset 0
		.amdhsa_system_sgpr_workgroup_id_x 1
		.amdhsa_system_sgpr_workgroup_id_y 0
		.amdhsa_system_sgpr_workgroup_id_z 0
		.amdhsa_system_sgpr_workgroup_info 0
		.amdhsa_system_vgpr_workitem_id 0
		.amdhsa_next_free_vgpr 83
		.amdhsa_next_free_sgpr 77
		.amdhsa_reserve_vcc 1
		.amdhsa_reserve_flat_scratch 0
		.amdhsa_float_round_mode_32 0
		.amdhsa_float_round_mode_16_64 0
		.amdhsa_float_denorm_mode_32 3
		.amdhsa_float_denorm_mode_16_64 3
		.amdhsa_dx10_clamp 1
		.amdhsa_ieee_mode 1
		.amdhsa_fp16_overflow 0
		.amdhsa_exception_fp_ieee_invalid_op 0
		.amdhsa_exception_fp_denorm_src 0
		.amdhsa_exception_fp_ieee_div_zero 0
		.amdhsa_exception_fp_ieee_overflow 0
		.amdhsa_exception_fp_ieee_underflow 0
		.amdhsa_exception_fp_ieee_inexact 0
		.amdhsa_exception_int_div_zero 0
	.end_amdhsa_kernel
	.section	.text._Z11rank_kernelIxLj4ELb0EL18RadixRankAlgorithm0ELj256ELj16ELj10EEvPKT_Pi,"axG",@progbits,_Z11rank_kernelIxLj4ELb0EL18RadixRankAlgorithm0ELj256ELj16ELj10EEvPKT_Pi,comdat
.Lfunc_end114:
	.size	_Z11rank_kernelIxLj4ELb0EL18RadixRankAlgorithm0ELj256ELj16ELj10EEvPKT_Pi, .Lfunc_end114-_Z11rank_kernelIxLj4ELb0EL18RadixRankAlgorithm0ELj256ELj16ELj10EEvPKT_Pi
                                        ; -- End function
	.set _Z11rank_kernelIxLj4ELb0EL18RadixRankAlgorithm0ELj256ELj16ELj10EEvPKT_Pi.num_vgpr, 83
	.set _Z11rank_kernelIxLj4ELb0EL18RadixRankAlgorithm0ELj256ELj16ELj10EEvPKT_Pi.num_agpr, 0
	.set _Z11rank_kernelIxLj4ELb0EL18RadixRankAlgorithm0ELj256ELj16ELj10EEvPKT_Pi.numbered_sgpr, 35
	.set _Z11rank_kernelIxLj4ELb0EL18RadixRankAlgorithm0ELj256ELj16ELj10EEvPKT_Pi.num_named_barrier, 0
	.set _Z11rank_kernelIxLj4ELb0EL18RadixRankAlgorithm0ELj256ELj16ELj10EEvPKT_Pi.private_seg_size, 0
	.set _Z11rank_kernelIxLj4ELb0EL18RadixRankAlgorithm0ELj256ELj16ELj10EEvPKT_Pi.uses_vcc, 1
	.set _Z11rank_kernelIxLj4ELb0EL18RadixRankAlgorithm0ELj256ELj16ELj10EEvPKT_Pi.uses_flat_scratch, 0
	.set _Z11rank_kernelIxLj4ELb0EL18RadixRankAlgorithm0ELj256ELj16ELj10EEvPKT_Pi.has_dyn_sized_stack, 0
	.set _Z11rank_kernelIxLj4ELb0EL18RadixRankAlgorithm0ELj256ELj16ELj10EEvPKT_Pi.has_recursion, 0
	.set _Z11rank_kernelIxLj4ELb0EL18RadixRankAlgorithm0ELj256ELj16ELj10EEvPKT_Pi.has_indirect_call, 0
	.section	.AMDGPU.csdata,"",@progbits
; Kernel info:
; codeLenInByte = 2372
; TotalNumSgprs: 39
; NumVgprs: 83
; ScratchSize: 0
; MemoryBound: 0
; FloatMode: 240
; IeeeMode: 1
; LDSByteSize: 8208 bytes/workgroup (compile time only)
; SGPRBlocks: 10
; VGPRBlocks: 20
; NumSGPRsForWavesPerEU: 81
; NumVGPRsForWavesPerEU: 83
; Occupancy: 3
; WaveLimiterHint : 0
; COMPUTE_PGM_RSRC2:SCRATCH_EN: 0
; COMPUTE_PGM_RSRC2:USER_SGPR: 6
; COMPUTE_PGM_RSRC2:TRAP_HANDLER: 0
; COMPUTE_PGM_RSRC2:TGID_X_EN: 1
; COMPUTE_PGM_RSRC2:TGID_Y_EN: 0
; COMPUTE_PGM_RSRC2:TGID_Z_EN: 0
; COMPUTE_PGM_RSRC2:TIDIG_COMP_CNT: 0
	.section	.text._Z11rank_kernelIxLj4ELb0EL18RadixRankAlgorithm1ELj256ELj16ELj10EEvPKT_Pi,"axG",@progbits,_Z11rank_kernelIxLj4ELb0EL18RadixRankAlgorithm1ELj256ELj16ELj10EEvPKT_Pi,comdat
	.protected	_Z11rank_kernelIxLj4ELb0EL18RadixRankAlgorithm1ELj256ELj16ELj10EEvPKT_Pi ; -- Begin function _Z11rank_kernelIxLj4ELb0EL18RadixRankAlgorithm1ELj256ELj16ELj10EEvPKT_Pi
	.globl	_Z11rank_kernelIxLj4ELb0EL18RadixRankAlgorithm1ELj256ELj16ELj10EEvPKT_Pi
	.p2align	8
	.type	_Z11rank_kernelIxLj4ELb0EL18RadixRankAlgorithm1ELj256ELj16ELj10EEvPKT_Pi,@function
_Z11rank_kernelIxLj4ELb0EL18RadixRankAlgorithm1ELj256ELj16ELj10EEvPKT_Pi: ; @_Z11rank_kernelIxLj4ELb0EL18RadixRankAlgorithm1ELj256ELj16ELj10EEvPKT_Pi
; %bb.0:
	s_load_dwordx4 s[24:27], s[4:5], 0x0
	s_lshl_b32 s28, s6, 12
	s_mov_b32 s29, 0
	s_lshl_b64 s[0:1], s[28:29], 3
	v_lshlrev_b32_e32 v33, 7, v0
	s_waitcnt lgkmcnt(0)
	s_add_u32 s0, s24, s0
	s_addc_u32 s1, s25, s1
	global_load_dwordx4 v[1:4], v33, s[0:1]
	global_load_dwordx4 v[5:8], v33, s[0:1] offset:16
	global_load_dwordx4 v[9:12], v33, s[0:1] offset:32
	global_load_dwordx4 v[13:16], v33, s[0:1] offset:48
	global_load_dwordx4 v[17:20], v33, s[0:1] offset:64
	global_load_dwordx4 v[21:24], v33, s[0:1] offset:80
	global_load_dwordx4 v[25:28], v33, s[0:1] offset:96
	global_load_dwordx4 v[29:32], v33, s[0:1] offset:112
	v_mbcnt_lo_u32_b32 v33, -1, 0
	v_mbcnt_hi_u32_b32 v33, -1, v33
	v_subrev_co_u32_e64 v38, s[6:7], 1, v33
	v_and_b32_e32 v39, 64, v33
	v_or_b32_e32 v34, 63, v0
	v_lshrrev_b32_e32 v35, 4, v0
	v_cmp_lt_i32_e64 s[18:19], v38, v39
	v_lshlrev_b32_e32 v43, 5, v0
	v_mul_i32_i24_e32 v36, 0xffffffe4, v0
	v_and_b32_e32 v37, 15, v33
	v_cmp_eq_u32_e64 s[2:3], v0, v34
	v_and_b32_e32 v34, 16, v33
	v_cmp_lt_u32_e64 s[4:5], 31, v33
	v_and_b32_e32 v45, 12, v35
	v_and_b32_e32 v35, 3, v33
	v_cndmask_b32_e64 v33, v38, v33, s[18:19]
	s_movk_i32 s30, 0x6ff
	s_movk_i32 s31, 0x700
	v_mov_b32_e32 v42, 0
	v_cmp_gt_u32_e32 vcc, 4, v0
	v_cmp_lt_u32_e64 s[0:1], 63, v0
	s_mov_b32 s33, s29
	v_lshlrev_b32_e32 v41, 4, v0
	v_lshlrev_b32_e32 v44, 2, v0
	v_add_u32_e32 v46, v43, v36
	v_cmp_eq_u32_e64 s[8:9], 0, v37
	v_cmp_lt_u32_e64 s[10:11], 1, v37
	v_cmp_lt_u32_e64 s[12:13], 3, v37
	;; [unrolled: 1-line block ×3, first 2 shown]
	v_cmp_eq_u32_e64 s[16:17], 0, v34
	v_cmp_eq_u32_e64 s[18:19], 0, v35
	v_cmp_lt_u32_e64 s[20:21], 1, v35
	v_lshlrev_b32_e32 v47, 2, v33
	v_or_b32_e32 v48, 0xffffff00, v0
	s_waitcnt vmcnt(7)
	v_xor_b32_e32 v2, 0x80000000, v2
	v_xor_b32_e32 v4, 0x80000000, v4
	s_waitcnt vmcnt(6)
	v_xor_b32_e32 v6, 0x80000000, v6
	v_xor_b32_e32 v8, 0x80000000, v8
	;; [unrolled: 3-line block ×8, first 2 shown]
	s_branch .LBB115_2
.LBB115_1:                              ;   in Loop: Header=BB115_2 Depth=1
	s_add_i32 s33, s33, 1
	s_cmp_eq_u32 s33, 10
	s_cbranch_scc1 .LBB115_12
.LBB115_2:                              ; =>This Loop Header: Depth=1
                                        ;     Child Loop BB115_4 Depth 2
                                        ;       Child Loop BB115_5 Depth 3
	s_mov_b32 s34, 0
	s_branch .LBB115_4
.LBB115_3:                              ;   in Loop: Header=BB115_4 Depth=2
	s_or_b64 exec, exec, s[22:23]
	s_waitcnt lgkmcnt(0)
	v_add_u32_e32 v36, v81, v36
	ds_bpermute_b32 v36, v47, v36
	ds_read_b32 v82, v42 offset:8204
	s_add_i32 s22, s34, 4
	s_cmp_lt_u32 s34, 60
	s_mov_b32 s34, s22
	s_waitcnt lgkmcnt(1)
	v_cndmask_b32_e64 v36, v36, v81, s[6:7]
	s_waitcnt lgkmcnt(0)
	v_lshl_add_u32 v36, v82, 16, v36
	v_add_u32_e32 v37, v36, v37
	v_add_u32_e32 v38, v37, v38
	;; [unrolled: 1-line block ×7, first 2 shown]
	ds_write2_b64 v43, v[36:37], v[38:39] offset1:1
	ds_write2_b64 v43, v[81:82], v[33:34] offset0:2 offset1:3
	s_waitcnt lgkmcnt(0)
	s_barrier
	s_cbranch_scc0 .LBB115_1
.LBB115_4:                              ;   Parent Loop BB115_2 Depth=1
                                        ; =>  This Loop Header: Depth=2
                                        ;       Child Loop BB115_5 Depth 3
	s_mov_b64 s[24:25], 0
	v_mov_b32_e32 v33, v48
	v_mov_b32_e32 v34, v44
.LBB115_5:                              ;   Parent Loop BB115_2 Depth=1
                                        ;     Parent Loop BB115_4 Depth=2
                                        ; =>    This Inner Loop Header: Depth=3
	v_add_u32_e32 v33, 0x100, v33
	v_cmp_lt_u32_e64 s[22:23], s30, v33
	ds_write_b32 v34, v42
	s_or_b64 s[24:25], s[22:23], s[24:25]
	v_add_u32_e32 v34, 0x400, v34
	s_andn2_b64 exec, exec, s[24:25]
	s_cbranch_execnz .LBB115_5
; %bb.6:                                ;   in Loop: Header=BB115_4 Depth=2
	s_or_b64 exec, exec, s[24:25]
	s_sub_i32 s22, 60, s34
	v_lshlrev_b64 v[33:34], s22, v[1:2]
	v_lshrrev_b32_e32 v33, 20, v34
	v_lshrrev_b32_e32 v34, 30, v34
	v_and_or_b32 v33, v33, s31, v0
	v_and_b32_e32 v34, 2, v34
	v_lshl_or_b32 v51, v33, 2, v34
	ds_read_u16 v49, v51
	v_lshlrev_b64 v[33:34], s22, v[3:4]
	v_lshrrev_b32_e32 v33, 20, v34
	v_lshrrev_b32_e32 v34, 30, v34
	v_and_or_b32 v33, v33, s31, v0
	s_waitcnt lgkmcnt(0)
	v_add_u16_e32 v35, 1, v49
	v_and_b32_e32 v34, 2, v34
	ds_write_b16 v51, v35
	v_lshl_or_b32 v53, v33, 2, v34
	ds_read_u16 v50, v53
	v_lshlrev_b64 v[33:34], s22, v[5:6]
	s_waitcnt lgkmcnt(0)
	v_add_u16_e32 v33, 1, v50
	ds_write_b16 v53, v33
	v_lshrrev_b32_e32 v33, 20, v34
	v_lshrrev_b32_e32 v34, 30, v34
	v_and_or_b32 v33, v33, s31, v0
	v_and_b32_e32 v34, 2, v34
	v_lshl_or_b32 v55, v33, 2, v34
	ds_read_u16 v52, v55
	v_lshlrev_b64 v[33:34], s22, v[7:8]
	v_lshrrev_b32_e32 v33, 20, v34
	v_lshrrev_b32_e32 v34, 30, v34
	s_waitcnt lgkmcnt(0)
	v_add_u16_e32 v35, 1, v52
	v_and_or_b32 v33, v33, s31, v0
	v_and_b32_e32 v34, 2, v34
	ds_write_b16 v55, v35
	v_lshl_or_b32 v57, v33, 2, v34
	ds_read_u16 v54, v57
	v_lshlrev_b64 v[33:34], s22, v[9:10]
	v_lshrrev_b32_e32 v33, 20, v34
	v_lshrrev_b32_e32 v34, 30, v34
	s_waitcnt lgkmcnt(0)
	v_add_u16_e32 v35, 1, v54
	v_and_or_b32 v33, v33, s31, v0
	v_and_b32_e32 v34, 2, v34
	ds_write_b16 v57, v35
	;; [unrolled: 10-line block ×13, first 2 shown]
	v_lshl_or_b32 v80, v33, 2, v34
	ds_read_u16 v78, v80
	s_waitcnt lgkmcnt(0)
	v_add_u16_e32 v33, 1, v78
	ds_write_b16 v80, v33
	s_waitcnt lgkmcnt(0)
	s_barrier
	ds_read2_b64 v[37:40], v43 offset1:1
	ds_read2_b64 v[33:36], v43 offset0:2 offset1:3
	s_waitcnt lgkmcnt(1)
	v_add_u32_e32 v81, v38, v37
	v_add3_u32 v81, v81, v39, v40
	s_waitcnt lgkmcnt(0)
	v_add3_u32 v81, v81, v33, v34
	v_add3_u32 v36, v81, v35, v36
	s_nop 1
	v_mov_b32_dpp v81, v36 row_shr:1 row_mask:0xf bank_mask:0xf
	v_cndmask_b32_e64 v81, v81, 0, s[8:9]
	v_add_u32_e32 v36, v81, v36
	s_nop 1
	v_mov_b32_dpp v81, v36 row_shr:2 row_mask:0xf bank_mask:0xf
	v_cndmask_b32_e64 v81, 0, v81, s[10:11]
	v_add_u32_e32 v36, v36, v81
	;; [unrolled: 4-line block ×4, first 2 shown]
	s_nop 1
	v_mov_b32_dpp v81, v36 row_bcast:15 row_mask:0xf bank_mask:0xf
	v_cndmask_b32_e64 v81, v81, 0, s[16:17]
	v_add_u32_e32 v36, v36, v81
	s_nop 1
	v_mov_b32_dpp v81, v36 row_bcast:31 row_mask:0xf bank_mask:0xf
	v_cndmask_b32_e64 v81, 0, v81, s[4:5]
	v_add_u32_e32 v36, v36, v81
	s_and_saveexec_b64 s[22:23], s[2:3]
; %bb.7:                                ;   in Loop: Header=BB115_4 Depth=2
	ds_write_b32 v45, v36 offset:8192
; %bb.8:                                ;   in Loop: Header=BB115_4 Depth=2
	s_or_b64 exec, exec, s[22:23]
	s_waitcnt lgkmcnt(0)
	s_barrier
	s_and_saveexec_b64 s[22:23], vcc
	s_cbranch_execz .LBB115_10
; %bb.9:                                ;   in Loop: Header=BB115_4 Depth=2
	ds_read_b32 v81, v46 offset:8192
	s_waitcnt lgkmcnt(0)
	s_nop 0
	v_mov_b32_dpp v82, v81 row_shr:1 row_mask:0xf bank_mask:0xf
	v_cndmask_b32_e64 v82, v82, 0, s[18:19]
	v_add_u32_e32 v81, v82, v81
	s_nop 1
	v_mov_b32_dpp v82, v81 row_shr:2 row_mask:0xf bank_mask:0xf
	v_cndmask_b32_e64 v82, 0, v82, s[20:21]
	v_add_u32_e32 v81, v81, v82
	ds_write_b32 v46, v81 offset:8192
.LBB115_10:                             ;   in Loop: Header=BB115_4 Depth=2
	s_or_b64 exec, exec, s[22:23]
	v_mov_b32_e32 v81, 0
	s_waitcnt lgkmcnt(0)
	s_barrier
	s_and_saveexec_b64 s[22:23], s[0:1]
	s_cbranch_execz .LBB115_3
; %bb.11:                               ;   in Loop: Header=BB115_4 Depth=2
	ds_read_b32 v81, v45 offset:8188
	s_branch .LBB115_3
.LBB115_12:
	ds_read_u16 v0, v80
	ds_read_u16 v1, v79
	ds_read_u16 v4, v77
	ds_read_u16 v5, v75
	ds_read_u16 v6, v73
	ds_read_u16 v8, v71
	ds_read_u16 v9, v69
	ds_read_u16 v10, v67
	ds_read_u16 v11, v65
	ds_read_u16 v12, v63
	ds_read_u16 v13, v61
	ds_read_u16 v14, v59
	ds_read_u16 v15, v57
	ds_read_u16 v16, v55
	ds_read_u16 v17, v53
	ds_read_u16 v18, v51
	s_lshl_b64 s[0:1], s[28:29], 2
	s_add_u32 s0, s26, s0
	s_waitcnt lgkmcnt(14)
	v_add_u32_sdwa v3, v0, v78 dst_sel:DWORD dst_unused:UNUSED_PAD src0_sel:DWORD src1_sel:WORD_0
	v_add_u32_sdwa v2, v1, v76 dst_sel:DWORD dst_unused:UNUSED_PAD src0_sel:DWORD src1_sel:WORD_0
	s_waitcnt lgkmcnt(13)
	v_add_u32_sdwa v1, v4, v74 dst_sel:DWORD dst_unused:UNUSED_PAD src0_sel:DWORD src1_sel:WORD_0
	s_waitcnt lgkmcnt(12)
	;; [unrolled: 2-line block ×13, first 2 shown]
	v_add_u32_sdwa v12, v18, v49 dst_sel:DWORD dst_unused:UNUSED_PAD src0_sel:DWORD src1_sel:WORD_0
	s_addc_u32 s1, s27, s1
	v_lshlrev_b32_e32 v16, 2, v41
	v_add_u32_sdwa v11, v11, v62 dst_sel:DWORD dst_unused:UNUSED_PAD src0_sel:DWORD src1_sel:WORD_0
	global_store_dwordx4 v16, v[12:15], s[0:1]
	global_store_dwordx4 v16, v[8:11], s[0:1] offset:16
	global_store_dwordx4 v16, v[4:7], s[0:1] offset:32
	;; [unrolled: 1-line block ×3, first 2 shown]
	s_endpgm
	.section	.rodata,"a",@progbits
	.p2align	6, 0x0
	.amdhsa_kernel _Z11rank_kernelIxLj4ELb0EL18RadixRankAlgorithm1ELj256ELj16ELj10EEvPKT_Pi
		.amdhsa_group_segment_fixed_size 8208
		.amdhsa_private_segment_fixed_size 0
		.amdhsa_kernarg_size 16
		.amdhsa_user_sgpr_count 6
		.amdhsa_user_sgpr_private_segment_buffer 1
		.amdhsa_user_sgpr_dispatch_ptr 0
		.amdhsa_user_sgpr_queue_ptr 0
		.amdhsa_user_sgpr_kernarg_segment_ptr 1
		.amdhsa_user_sgpr_dispatch_id 0
		.amdhsa_user_sgpr_flat_scratch_init 0
		.amdhsa_user_sgpr_private_segment_size 0
		.amdhsa_uses_dynamic_stack 0
		.amdhsa_system_sgpr_private_segment_wavefront_offset 0
		.amdhsa_system_sgpr_workgroup_id_x 1
		.amdhsa_system_sgpr_workgroup_id_y 0
		.amdhsa_system_sgpr_workgroup_id_z 0
		.amdhsa_system_sgpr_workgroup_info 0
		.amdhsa_system_vgpr_workitem_id 0
		.amdhsa_next_free_vgpr 83
		.amdhsa_next_free_sgpr 77
		.amdhsa_reserve_vcc 1
		.amdhsa_reserve_flat_scratch 0
		.amdhsa_float_round_mode_32 0
		.amdhsa_float_round_mode_16_64 0
		.amdhsa_float_denorm_mode_32 3
		.amdhsa_float_denorm_mode_16_64 3
		.amdhsa_dx10_clamp 1
		.amdhsa_ieee_mode 1
		.amdhsa_fp16_overflow 0
		.amdhsa_exception_fp_ieee_invalid_op 0
		.amdhsa_exception_fp_denorm_src 0
		.amdhsa_exception_fp_ieee_div_zero 0
		.amdhsa_exception_fp_ieee_overflow 0
		.amdhsa_exception_fp_ieee_underflow 0
		.amdhsa_exception_fp_ieee_inexact 0
		.amdhsa_exception_int_div_zero 0
	.end_amdhsa_kernel
	.section	.text._Z11rank_kernelIxLj4ELb0EL18RadixRankAlgorithm1ELj256ELj16ELj10EEvPKT_Pi,"axG",@progbits,_Z11rank_kernelIxLj4ELb0EL18RadixRankAlgorithm1ELj256ELj16ELj10EEvPKT_Pi,comdat
.Lfunc_end115:
	.size	_Z11rank_kernelIxLj4ELb0EL18RadixRankAlgorithm1ELj256ELj16ELj10EEvPKT_Pi, .Lfunc_end115-_Z11rank_kernelIxLj4ELb0EL18RadixRankAlgorithm1ELj256ELj16ELj10EEvPKT_Pi
                                        ; -- End function
	.set _Z11rank_kernelIxLj4ELb0EL18RadixRankAlgorithm1ELj256ELj16ELj10EEvPKT_Pi.num_vgpr, 83
	.set _Z11rank_kernelIxLj4ELb0EL18RadixRankAlgorithm1ELj256ELj16ELj10EEvPKT_Pi.num_agpr, 0
	.set _Z11rank_kernelIxLj4ELb0EL18RadixRankAlgorithm1ELj256ELj16ELj10EEvPKT_Pi.numbered_sgpr, 35
	.set _Z11rank_kernelIxLj4ELb0EL18RadixRankAlgorithm1ELj256ELj16ELj10EEvPKT_Pi.num_named_barrier, 0
	.set _Z11rank_kernelIxLj4ELb0EL18RadixRankAlgorithm1ELj256ELj16ELj10EEvPKT_Pi.private_seg_size, 0
	.set _Z11rank_kernelIxLj4ELb0EL18RadixRankAlgorithm1ELj256ELj16ELj10EEvPKT_Pi.uses_vcc, 1
	.set _Z11rank_kernelIxLj4ELb0EL18RadixRankAlgorithm1ELj256ELj16ELj10EEvPKT_Pi.uses_flat_scratch, 0
	.set _Z11rank_kernelIxLj4ELb0EL18RadixRankAlgorithm1ELj256ELj16ELj10EEvPKT_Pi.has_dyn_sized_stack, 0
	.set _Z11rank_kernelIxLj4ELb0EL18RadixRankAlgorithm1ELj256ELj16ELj10EEvPKT_Pi.has_recursion, 0
	.set _Z11rank_kernelIxLj4ELb0EL18RadixRankAlgorithm1ELj256ELj16ELj10EEvPKT_Pi.has_indirect_call, 0
	.section	.AMDGPU.csdata,"",@progbits
; Kernel info:
; codeLenInByte = 2336
; TotalNumSgprs: 39
; NumVgprs: 83
; ScratchSize: 0
; MemoryBound: 0
; FloatMode: 240
; IeeeMode: 1
; LDSByteSize: 8208 bytes/workgroup (compile time only)
; SGPRBlocks: 10
; VGPRBlocks: 20
; NumSGPRsForWavesPerEU: 81
; NumVGPRsForWavesPerEU: 83
; Occupancy: 3
; WaveLimiterHint : 0
; COMPUTE_PGM_RSRC2:SCRATCH_EN: 0
; COMPUTE_PGM_RSRC2:USER_SGPR: 6
; COMPUTE_PGM_RSRC2:TRAP_HANDLER: 0
; COMPUTE_PGM_RSRC2:TGID_X_EN: 1
; COMPUTE_PGM_RSRC2:TGID_Y_EN: 0
; COMPUTE_PGM_RSRC2:TGID_Z_EN: 0
; COMPUTE_PGM_RSRC2:TIDIG_COMP_CNT: 0
	.section	.text._Z11rank_kernelIxLj4ELb0EL18RadixRankAlgorithm2ELj256ELj16ELj10EEvPKT_Pi,"axG",@progbits,_Z11rank_kernelIxLj4ELb0EL18RadixRankAlgorithm2ELj256ELj16ELj10EEvPKT_Pi,comdat
	.protected	_Z11rank_kernelIxLj4ELb0EL18RadixRankAlgorithm2ELj256ELj16ELj10EEvPKT_Pi ; -- Begin function _Z11rank_kernelIxLj4ELb0EL18RadixRankAlgorithm2ELj256ELj16ELj10EEvPKT_Pi
	.globl	_Z11rank_kernelIxLj4ELb0EL18RadixRankAlgorithm2ELj256ELj16ELj10EEvPKT_Pi
	.p2align	8
	.type	_Z11rank_kernelIxLj4ELb0EL18RadixRankAlgorithm2ELj256ELj16ELj10EEvPKT_Pi,@function
_Z11rank_kernelIxLj4ELb0EL18RadixRankAlgorithm2ELj256ELj16ELj10EEvPKT_Pi: ; @_Z11rank_kernelIxLj4ELb0EL18RadixRankAlgorithm2ELj256ELj16ELj10EEvPKT_Pi
; %bb.0:
	s_load_dwordx4 s[24:27], s[4:5], 0x0
	s_load_dword s20, s[4:5], 0x1c
	s_lshl_b32 s28, s6, 12
	s_mov_b32 s29, 0
	s_lshl_b64 s[0:1], s[28:29], 3
	s_waitcnt lgkmcnt(0)
	s_add_u32 s0, s24, s0
	s_addc_u32 s1, s25, s1
	v_lshlrev_b32_e32 v35, 7, v0
	global_load_dwordx4 v[3:6], v35, s[0:1]
	global_load_dwordx4 v[7:10], v35, s[0:1] offset:16
	global_load_dwordx4 v[11:14], v35, s[0:1] offset:32
	;; [unrolled: 1-line block ×7, first 2 shown]
	s_lshr_b32 s21, s20, 16
	v_or_b32_e32 v38, 63, v0
	s_and_b32 s20, s20, 0xffff
	v_mad_u32_u24 v1, v2, s21, v1
	v_mbcnt_lo_u32_b32 v36, -1, 0
	v_lshlrev_b32_e32 v35, 4, v0
	v_lshlrev_b32_e32 v37, 2, v0
	v_cmp_gt_u32_e32 vcc, 4, v0
	v_cmp_lt_u32_e64 s[0:1], 63, v0
	v_lshrrev_b32_e32 v39, 4, v0
	v_cmp_eq_u32_e64 s[2:3], v0, v38
	v_mad_u64_u32 v[0:1], s[20:21], v1, s20, v[0:1]
	v_mbcnt_hi_u32_b32 v36, -1, v36
	v_subrev_co_u32_e64 v38, s[4:5], 1, v36
	v_and_b32_e32 v42, 64, v36
	v_cmp_lt_i32_e64 s[18:19], v38, v42
	v_and_b32_e32 v40, 15, v36
	v_and_b32_e32 v41, 16, v36
	v_cmp_lt_u32_e64 s[6:7], 31, v36
	v_and_b32_e32 v39, 12, v39
	v_and_b32_e32 v43, 3, v36
	v_cndmask_b32_e64 v36, v38, v36, s[18:19]
	v_lshrrev_b32_e32 v0, 4, v0
	s_mov_b32 s33, s29
	v_cmp_eq_u32_e64 s[8:9], 0, v40
	v_cmp_lt_u32_e64 s[10:11], 1, v40
	v_cmp_lt_u32_e64 s[12:13], 3, v40
	;; [unrolled: 1-line block ×3, first 2 shown]
	v_cmp_eq_u32_e64 s[16:17], 0, v41
	v_cmp_eq_u32_e64 s[18:19], 0, v43
	v_cmp_lt_u32_e64 s[20:21], 1, v43
	v_add_u32_e32 v40, -4, v39
	v_lshlrev_b32_e32 v41, 2, v36
	v_and_b32_e32 v36, 0xffffffc, v0
	v_mov_b32_e32 v0, 0
	s_waitcnt vmcnt(7)
	v_xor_b32_e32 v4, 0x80000000, v4
	v_xor_b32_e32 v6, 0x80000000, v6
	s_waitcnt vmcnt(6)
	v_xor_b32_e32 v8, 0x80000000, v8
	v_xor_b32_e32 v10, 0x80000000, v10
	;; [unrolled: 3-line block ×8, first 2 shown]
	s_branch .LBB116_2
.LBB116_1:                              ;   in Loop: Header=BB116_2 Depth=1
	s_add_i32 s33, s33, 1
	s_cmp_eq_u32 s33, 10
	s_cbranch_scc1 .LBB116_42
.LBB116_2:                              ; =>This Loop Header: Depth=1
                                        ;     Child Loop BB116_4 Depth 2
	s_mov_b64 s[30:31], 60
	s_mov_b32 s34, -4
	s_branch .LBB116_4
.LBB116_3:                              ;   in Loop: Header=BB116_4 Depth=2
	s_or_b64 exec, exec, s[22:23]
	s_waitcnt lgkmcnt(0)
	v_add_u32_e32 v1, v2, v1
	ds_bpermute_b32 v1, v41, v1
	s_add_i32 s34, s34, 4
	s_add_u32 s30, s30, -4
	s_addc_u32 s31, s31, -1
	s_cmp_lt_u32 s34, 60
	s_waitcnt lgkmcnt(0)
	v_cndmask_b32_e64 v1, v1, v2, s[4:5]
	ds_write_b32 v37, v1 offset:16
	s_waitcnt lgkmcnt(0)
	s_barrier
	s_cbranch_scc0 .LBB116_1
.LBB116_4:                              ;   Parent Loop BB116_2 Depth=1
                                        ; =>  This Inner Loop Header: Depth=2
	v_lshlrev_b64 v[42:43], s30, v[3:4]
	ds_write_b32 v37, v0 offset:16
	v_bfe_u32 v1, v43, 28, 1
	v_add_co_u32_e64 v44, s[22:23], -1, v1
	v_addc_co_u32_e64 v45, s[22:23], 0, -1, s[22:23]
	v_cmp_ne_u32_e64 s[22:23], 0, v1
	v_lshrrev_b32_e32 v2, 28, v43
	v_xor_b32_e32 v1, s23, v45
	v_and_b32_e32 v45, exec_hi, v1
	v_lshlrev_b32_e32 v1, 30, v2
	v_xor_b32_e32 v44, s22, v44
	v_cmp_gt_i64_e64 s[22:23], 0, v[0:1]
	v_not_b32_e32 v1, v1
	v_ashrrev_i32_e32 v1, 31, v1
	v_and_b32_e32 v44, exec_lo, v44
	v_xor_b32_e32 v46, s23, v1
	v_xor_b32_e32 v1, s22, v1
	v_and_b32_e32 v44, v44, v1
	v_lshlrev_b32_e32 v1, 29, v2
	v_cmp_gt_i64_e64 s[22:23], 0, v[0:1]
	v_not_b32_e32 v1, v1
	v_ashrrev_i32_e32 v1, 31, v1
	v_mul_u32_u24_e32 v38, 20, v2
	v_xor_b32_e32 v2, s23, v1
	v_xor_b32_e32 v1, s22, v1
	v_cmp_gt_i64_e64 s[22:23], 0, v[42:43]
	v_not_b32_e32 v42, v43
	v_ashrrev_i32_e32 v42, 31, v42
	v_and_b32_e32 v45, v45, v46
	v_and_b32_e32 v1, v44, v1
	v_xor_b32_e32 v43, s23, v42
	v_xor_b32_e32 v42, s22, v42
	v_and_b32_e32 v2, v45, v2
	v_and_b32_e32 v1, v1, v42
	v_and_b32_e32 v2, v2, v43
	v_mbcnt_lo_u32_b32 v42, v1, 0
	v_mbcnt_hi_u32_b32 v42, v2, v42
	v_cmp_ne_u64_e64 s[22:23], 0, v[1:2]
	v_cmp_eq_u32_e64 s[24:25], 0, v42
	s_and_b64 s[24:25], s[22:23], s[24:25]
	s_waitcnt lgkmcnt(0)
	s_barrier
	; wave barrier
	s_and_saveexec_b64 s[22:23], s[24:25]
; %bb.5:                                ;   in Loop: Header=BB116_4 Depth=2
	v_bcnt_u32_b32 v1, v1, 0
	v_bcnt_u32_b32 v1, v2, v1
	v_add_u32_e32 v2, v36, v38
	ds_write_b32 v2, v1 offset:16
; %bb.6:                                ;   in Loop: Header=BB116_4 Depth=2
	s_or_b64 exec, exec, s[22:23]
	v_lshlrev_b64 v[45:46], s30, v[5:6]
	v_lshrrev_b32_e32 v2, 28, v46
	v_mad_u32_u24 v1, v2, 20, v36
	; wave barrier
	ds_read_b32 v43, v1 offset:16
	v_bfe_u32 v1, v46, 28, 1
	v_add_co_u32_e64 v47, s[22:23], -1, v1
	v_addc_co_u32_e64 v48, s[22:23], 0, -1, s[22:23]
	v_cmp_ne_u32_e64 s[22:23], 0, v1
	v_xor_b32_e32 v1, s23, v48
	v_and_b32_e32 v48, exec_hi, v1
	v_lshlrev_b32_e32 v1, 30, v2
	v_xor_b32_e32 v47, s22, v47
	v_cmp_gt_i64_e64 s[22:23], 0, v[0:1]
	v_not_b32_e32 v1, v1
	v_ashrrev_i32_e32 v1, 31, v1
	v_and_b32_e32 v47, exec_lo, v47
	v_xor_b32_e32 v49, s23, v1
	v_xor_b32_e32 v1, s22, v1
	v_and_b32_e32 v47, v47, v1
	v_lshlrev_b32_e32 v1, 29, v2
	v_cmp_gt_i64_e64 s[22:23], 0, v[0:1]
	v_not_b32_e32 v1, v1
	v_ashrrev_i32_e32 v1, 31, v1
	v_mul_u32_u24_e32 v44, 20, v2
	v_xor_b32_e32 v2, s23, v1
	v_xor_b32_e32 v1, s22, v1
	v_cmp_gt_i64_e64 s[22:23], 0, v[45:46]
	v_not_b32_e32 v45, v46
	v_ashrrev_i32_e32 v45, 31, v45
	v_and_b32_e32 v48, v48, v49
	v_and_b32_e32 v1, v47, v1
	v_xor_b32_e32 v46, s23, v45
	v_xor_b32_e32 v45, s22, v45
	v_and_b32_e32 v2, v48, v2
	v_and_b32_e32 v1, v1, v45
	;; [unrolled: 1-line block ×3, first 2 shown]
	v_mbcnt_lo_u32_b32 v45, v1, 0
	v_mbcnt_hi_u32_b32 v45, v2, v45
	v_cmp_ne_u64_e64 s[22:23], 0, v[1:2]
	v_cmp_eq_u32_e64 s[24:25], 0, v45
	s_and_b64 s[24:25], s[22:23], s[24:25]
	; wave barrier
	s_and_saveexec_b64 s[22:23], s[24:25]
	s_cbranch_execz .LBB116_8
; %bb.7:                                ;   in Loop: Header=BB116_4 Depth=2
	v_bcnt_u32_b32 v1, v1, 0
	v_bcnt_u32_b32 v1, v2, v1
	s_waitcnt lgkmcnt(0)
	v_add_u32_e32 v1, v43, v1
	v_add_u32_e32 v2, v36, v44
	ds_write_b32 v2, v1 offset:16
.LBB116_8:                              ;   in Loop: Header=BB116_4 Depth=2
	s_or_b64 exec, exec, s[22:23]
	v_lshlrev_b64 v[48:49], s30, v[7:8]
	v_lshrrev_b32_e32 v2, 28, v49
	v_mad_u32_u24 v1, v2, 20, v36
	; wave barrier
	ds_read_b32 v46, v1 offset:16
	v_bfe_u32 v1, v49, 28, 1
	v_add_co_u32_e64 v50, s[22:23], -1, v1
	v_addc_co_u32_e64 v51, s[22:23], 0, -1, s[22:23]
	v_cmp_ne_u32_e64 s[22:23], 0, v1
	v_xor_b32_e32 v1, s23, v51
	v_and_b32_e32 v51, exec_hi, v1
	v_lshlrev_b32_e32 v1, 30, v2
	v_xor_b32_e32 v50, s22, v50
	v_cmp_gt_i64_e64 s[22:23], 0, v[0:1]
	v_not_b32_e32 v1, v1
	v_ashrrev_i32_e32 v1, 31, v1
	v_and_b32_e32 v50, exec_lo, v50
	v_xor_b32_e32 v52, s23, v1
	v_xor_b32_e32 v1, s22, v1
	v_and_b32_e32 v50, v50, v1
	v_lshlrev_b32_e32 v1, 29, v2
	v_cmp_gt_i64_e64 s[22:23], 0, v[0:1]
	v_not_b32_e32 v1, v1
	v_ashrrev_i32_e32 v1, 31, v1
	v_mul_u32_u24_e32 v47, 20, v2
	v_xor_b32_e32 v2, s23, v1
	v_xor_b32_e32 v1, s22, v1
	v_cmp_gt_i64_e64 s[22:23], 0, v[48:49]
	v_not_b32_e32 v48, v49
	v_ashrrev_i32_e32 v48, 31, v48
	v_and_b32_e32 v51, v51, v52
	v_and_b32_e32 v1, v50, v1
	v_xor_b32_e32 v49, s23, v48
	v_xor_b32_e32 v48, s22, v48
	v_and_b32_e32 v2, v51, v2
	v_and_b32_e32 v1, v1, v48
	v_and_b32_e32 v2, v2, v49
	v_mbcnt_lo_u32_b32 v48, v1, 0
	v_mbcnt_hi_u32_b32 v48, v2, v48
	v_cmp_ne_u64_e64 s[22:23], 0, v[1:2]
	v_cmp_eq_u32_e64 s[24:25], 0, v48
	s_and_b64 s[24:25], s[22:23], s[24:25]
	; wave barrier
	s_and_saveexec_b64 s[22:23], s[24:25]
	s_cbranch_execz .LBB116_10
; %bb.9:                                ;   in Loop: Header=BB116_4 Depth=2
	v_bcnt_u32_b32 v1, v1, 0
	v_bcnt_u32_b32 v1, v2, v1
	s_waitcnt lgkmcnt(0)
	v_add_u32_e32 v1, v46, v1
	v_add_u32_e32 v2, v36, v47
	ds_write_b32 v2, v1 offset:16
.LBB116_10:                             ;   in Loop: Header=BB116_4 Depth=2
	s_or_b64 exec, exec, s[22:23]
	v_lshlrev_b64 v[51:52], s30, v[9:10]
	v_lshrrev_b32_e32 v2, 28, v52
	v_mad_u32_u24 v1, v2, 20, v36
	; wave barrier
	ds_read_b32 v49, v1 offset:16
	v_bfe_u32 v1, v52, 28, 1
	v_add_co_u32_e64 v53, s[22:23], -1, v1
	v_addc_co_u32_e64 v54, s[22:23], 0, -1, s[22:23]
	v_cmp_ne_u32_e64 s[22:23], 0, v1
	v_xor_b32_e32 v1, s23, v54
	v_and_b32_e32 v54, exec_hi, v1
	v_lshlrev_b32_e32 v1, 30, v2
	v_xor_b32_e32 v53, s22, v53
	v_cmp_gt_i64_e64 s[22:23], 0, v[0:1]
	v_not_b32_e32 v1, v1
	v_ashrrev_i32_e32 v1, 31, v1
	v_and_b32_e32 v53, exec_lo, v53
	v_xor_b32_e32 v55, s23, v1
	v_xor_b32_e32 v1, s22, v1
	v_and_b32_e32 v53, v53, v1
	v_lshlrev_b32_e32 v1, 29, v2
	v_cmp_gt_i64_e64 s[22:23], 0, v[0:1]
	v_not_b32_e32 v1, v1
	v_ashrrev_i32_e32 v1, 31, v1
	v_mul_u32_u24_e32 v50, 20, v2
	v_xor_b32_e32 v2, s23, v1
	v_xor_b32_e32 v1, s22, v1
	v_cmp_gt_i64_e64 s[22:23], 0, v[51:52]
	v_not_b32_e32 v51, v52
	v_ashrrev_i32_e32 v51, 31, v51
	v_and_b32_e32 v54, v54, v55
	v_and_b32_e32 v1, v53, v1
	v_xor_b32_e32 v52, s23, v51
	v_xor_b32_e32 v51, s22, v51
	v_and_b32_e32 v2, v54, v2
	v_and_b32_e32 v1, v1, v51
	v_and_b32_e32 v2, v2, v52
	v_mbcnt_lo_u32_b32 v51, v1, 0
	v_mbcnt_hi_u32_b32 v51, v2, v51
	v_cmp_ne_u64_e64 s[22:23], 0, v[1:2]
	v_cmp_eq_u32_e64 s[24:25], 0, v51
	s_and_b64 s[24:25], s[22:23], s[24:25]
	; wave barrier
	s_and_saveexec_b64 s[22:23], s[24:25]
	s_cbranch_execz .LBB116_12
; %bb.11:                               ;   in Loop: Header=BB116_4 Depth=2
	v_bcnt_u32_b32 v1, v1, 0
	v_bcnt_u32_b32 v1, v2, v1
	s_waitcnt lgkmcnt(0)
	v_add_u32_e32 v1, v49, v1
	v_add_u32_e32 v2, v36, v50
	ds_write_b32 v2, v1 offset:16
.LBB116_12:                             ;   in Loop: Header=BB116_4 Depth=2
	s_or_b64 exec, exec, s[22:23]
	v_lshlrev_b64 v[54:55], s30, v[11:12]
	v_lshrrev_b32_e32 v2, 28, v55
	v_mad_u32_u24 v1, v2, 20, v36
	; wave barrier
	ds_read_b32 v52, v1 offset:16
	v_bfe_u32 v1, v55, 28, 1
	v_add_co_u32_e64 v56, s[22:23], -1, v1
	v_addc_co_u32_e64 v57, s[22:23], 0, -1, s[22:23]
	v_cmp_ne_u32_e64 s[22:23], 0, v1
	v_xor_b32_e32 v1, s23, v57
	v_and_b32_e32 v57, exec_hi, v1
	v_lshlrev_b32_e32 v1, 30, v2
	v_xor_b32_e32 v56, s22, v56
	v_cmp_gt_i64_e64 s[22:23], 0, v[0:1]
	v_not_b32_e32 v1, v1
	v_ashrrev_i32_e32 v1, 31, v1
	v_and_b32_e32 v56, exec_lo, v56
	v_xor_b32_e32 v58, s23, v1
	v_xor_b32_e32 v1, s22, v1
	v_and_b32_e32 v56, v56, v1
	v_lshlrev_b32_e32 v1, 29, v2
	v_cmp_gt_i64_e64 s[22:23], 0, v[0:1]
	v_not_b32_e32 v1, v1
	v_ashrrev_i32_e32 v1, 31, v1
	v_mul_u32_u24_e32 v53, 20, v2
	v_xor_b32_e32 v2, s23, v1
	v_xor_b32_e32 v1, s22, v1
	v_cmp_gt_i64_e64 s[22:23], 0, v[54:55]
	v_not_b32_e32 v54, v55
	v_ashrrev_i32_e32 v54, 31, v54
	v_and_b32_e32 v57, v57, v58
	v_and_b32_e32 v1, v56, v1
	v_xor_b32_e32 v55, s23, v54
	v_xor_b32_e32 v54, s22, v54
	v_and_b32_e32 v2, v57, v2
	v_and_b32_e32 v1, v1, v54
	v_and_b32_e32 v2, v2, v55
	v_mbcnt_lo_u32_b32 v54, v1, 0
	v_mbcnt_hi_u32_b32 v54, v2, v54
	v_cmp_ne_u64_e64 s[22:23], 0, v[1:2]
	v_cmp_eq_u32_e64 s[24:25], 0, v54
	s_and_b64 s[24:25], s[22:23], s[24:25]
	; wave barrier
	s_and_saveexec_b64 s[22:23], s[24:25]
	s_cbranch_execz .LBB116_14
; %bb.13:                               ;   in Loop: Header=BB116_4 Depth=2
	v_bcnt_u32_b32 v1, v1, 0
	v_bcnt_u32_b32 v1, v2, v1
	s_waitcnt lgkmcnt(0)
	v_add_u32_e32 v1, v52, v1
	v_add_u32_e32 v2, v36, v53
	ds_write_b32 v2, v1 offset:16
.LBB116_14:                             ;   in Loop: Header=BB116_4 Depth=2
	;; [unrolled: 54-line block ×5, first 2 shown]
	s_or_b64 exec, exec, s[22:23]
	v_lshlrev_b64 v[67:68], s30, v[19:20]
	v_lshrrev_b32_e32 v2, 28, v68
	v_mad_u32_u24 v1, v2, 20, v36
	; wave barrier
	ds_read_b32 v64, v1 offset:16
	v_bfe_u32 v1, v68, 28, 1
	v_add_co_u32_e64 v65, s[22:23], -1, v1
	v_addc_co_u32_e64 v69, s[22:23], 0, -1, s[22:23]
	v_cmp_ne_u32_e64 s[22:23], 0, v1
	v_xor_b32_e32 v1, s23, v69
	v_and_b32_e32 v69, exec_hi, v1
	v_lshlrev_b32_e32 v1, 30, v2
	v_xor_b32_e32 v65, s22, v65
	v_cmp_gt_i64_e64 s[22:23], 0, v[0:1]
	v_not_b32_e32 v1, v1
	v_ashrrev_i32_e32 v1, 31, v1
	v_and_b32_e32 v65, exec_lo, v65
	v_xor_b32_e32 v70, s23, v1
	v_xor_b32_e32 v1, s22, v1
	v_and_b32_e32 v65, v65, v1
	v_lshlrev_b32_e32 v1, 29, v2
	v_cmp_gt_i64_e64 s[22:23], 0, v[0:1]
	v_not_b32_e32 v1, v1
	v_ashrrev_i32_e32 v1, 31, v1
	v_mul_u32_u24_e32 v66, 20, v2
	v_xor_b32_e32 v2, s23, v1
	v_xor_b32_e32 v1, s22, v1
	v_and_b32_e32 v1, v65, v1
	v_cmp_gt_i64_e64 s[22:23], 0, v[67:68]
	v_not_b32_e32 v65, v68
	v_ashrrev_i32_e32 v65, 31, v65
	v_and_b32_e32 v69, v69, v70
	v_xor_b32_e32 v67, s23, v65
	v_xor_b32_e32 v65, s22, v65
	v_and_b32_e32 v2, v69, v2
	v_and_b32_e32 v1, v1, v65
	v_and_b32_e32 v2, v2, v67
	v_mbcnt_lo_u32_b32 v65, v1, 0
	v_mbcnt_hi_u32_b32 v65, v2, v65
	v_cmp_ne_u64_e64 s[22:23], 0, v[1:2]
	v_cmp_eq_u32_e64 s[24:25], 0, v65
	s_and_b64 s[24:25], s[22:23], s[24:25]
	; wave barrier
	s_and_saveexec_b64 s[22:23], s[24:25]
	s_cbranch_execz .LBB116_22
; %bb.21:                               ;   in Loop: Header=BB116_4 Depth=2
	v_bcnt_u32_b32 v1, v1, 0
	v_bcnt_u32_b32 v1, v2, v1
	s_waitcnt lgkmcnt(0)
	v_add_u32_e32 v1, v64, v1
	v_add_u32_e32 v2, v36, v66
	ds_write_b32 v2, v1 offset:16
.LBB116_22:                             ;   in Loop: Header=BB116_4 Depth=2
	s_or_b64 exec, exec, s[22:23]
	v_lshlrev_b64 v[69:70], s30, v[21:22]
	v_lshrrev_b32_e32 v2, 28, v70
	v_mad_u32_u24 v1, v2, 20, v36
	; wave barrier
	ds_read_b32 v67, v1 offset:16
	v_bfe_u32 v1, v70, 28, 1
	v_add_co_u32_e64 v71, s[22:23], -1, v1
	v_addc_co_u32_e64 v72, s[22:23], 0, -1, s[22:23]
	v_cmp_ne_u32_e64 s[22:23], 0, v1
	v_xor_b32_e32 v1, s23, v72
	v_and_b32_e32 v72, exec_hi, v1
	v_lshlrev_b32_e32 v1, 30, v2
	v_xor_b32_e32 v71, s22, v71
	v_cmp_gt_i64_e64 s[22:23], 0, v[0:1]
	v_not_b32_e32 v1, v1
	v_ashrrev_i32_e32 v1, 31, v1
	v_and_b32_e32 v71, exec_lo, v71
	v_xor_b32_e32 v73, s23, v1
	v_xor_b32_e32 v1, s22, v1
	v_and_b32_e32 v71, v71, v1
	v_lshlrev_b32_e32 v1, 29, v2
	v_cmp_gt_i64_e64 s[22:23], 0, v[0:1]
	v_not_b32_e32 v1, v1
	v_ashrrev_i32_e32 v1, 31, v1
	v_mul_u32_u24_e32 v68, 20, v2
	v_xor_b32_e32 v2, s23, v1
	v_xor_b32_e32 v1, s22, v1
	v_cmp_gt_i64_e64 s[22:23], 0, v[69:70]
	v_not_b32_e32 v69, v70
	v_ashrrev_i32_e32 v69, 31, v69
	v_and_b32_e32 v72, v72, v73
	v_and_b32_e32 v1, v71, v1
	v_xor_b32_e32 v70, s23, v69
	v_xor_b32_e32 v69, s22, v69
	v_and_b32_e32 v2, v72, v2
	v_and_b32_e32 v1, v1, v69
	v_and_b32_e32 v2, v2, v70
	v_mbcnt_lo_u32_b32 v69, v1, 0
	v_mbcnt_hi_u32_b32 v69, v2, v69
	v_cmp_ne_u64_e64 s[22:23], 0, v[1:2]
	v_cmp_eq_u32_e64 s[24:25], 0, v69
	s_and_b64 s[24:25], s[22:23], s[24:25]
	; wave barrier
	s_and_saveexec_b64 s[22:23], s[24:25]
	s_cbranch_execz .LBB116_24
; %bb.23:                               ;   in Loop: Header=BB116_4 Depth=2
	v_bcnt_u32_b32 v1, v1, 0
	v_bcnt_u32_b32 v1, v2, v1
	s_waitcnt lgkmcnt(0)
	v_add_u32_e32 v1, v67, v1
	v_add_u32_e32 v2, v36, v68
	ds_write_b32 v2, v1 offset:16
.LBB116_24:                             ;   in Loop: Header=BB116_4 Depth=2
	s_or_b64 exec, exec, s[22:23]
	v_lshlrev_b64 v[72:73], s30, v[23:24]
	v_lshrrev_b32_e32 v2, 28, v73
	v_mad_u32_u24 v1, v2, 20, v36
	; wave barrier
	ds_read_b32 v70, v1 offset:16
	v_bfe_u32 v1, v73, 28, 1
	v_add_co_u32_e64 v74, s[22:23], -1, v1
	v_addc_co_u32_e64 v75, s[22:23], 0, -1, s[22:23]
	v_cmp_ne_u32_e64 s[22:23], 0, v1
	v_xor_b32_e32 v1, s23, v75
	v_and_b32_e32 v75, exec_hi, v1
	v_lshlrev_b32_e32 v1, 30, v2
	v_xor_b32_e32 v74, s22, v74
	v_cmp_gt_i64_e64 s[22:23], 0, v[0:1]
	v_not_b32_e32 v1, v1
	v_ashrrev_i32_e32 v1, 31, v1
	v_and_b32_e32 v74, exec_lo, v74
	v_xor_b32_e32 v76, s23, v1
	v_xor_b32_e32 v1, s22, v1
	v_and_b32_e32 v74, v74, v1
	v_lshlrev_b32_e32 v1, 29, v2
	v_cmp_gt_i64_e64 s[22:23], 0, v[0:1]
	v_not_b32_e32 v1, v1
	v_ashrrev_i32_e32 v1, 31, v1
	v_mul_u32_u24_e32 v71, 20, v2
	v_xor_b32_e32 v2, s23, v1
	v_xor_b32_e32 v1, s22, v1
	v_cmp_gt_i64_e64 s[22:23], 0, v[72:73]
	v_not_b32_e32 v72, v73
	v_ashrrev_i32_e32 v72, 31, v72
	v_and_b32_e32 v75, v75, v76
	;; [unrolled: 54-line block ×7, first 2 shown]
	v_and_b32_e32 v1, v89, v1
	v_xor_b32_e32 v88, s23, v87
	v_xor_b32_e32 v87, s22, v87
	v_and_b32_e32 v2, v90, v2
	v_and_b32_e32 v1, v1, v87
	;; [unrolled: 1-line block ×3, first 2 shown]
	v_mbcnt_lo_u32_b32 v87, v1, 0
	v_mbcnt_hi_u32_b32 v87, v2, v87
	v_cmp_ne_u64_e64 s[22:23], 0, v[1:2]
	v_cmp_eq_u32_e64 s[24:25], 0, v87
	s_and_b64 s[24:25], s[22:23], s[24:25]
	; wave barrier
	s_and_saveexec_b64 s[22:23], s[24:25]
	s_cbranch_execz .LBB116_36
; %bb.35:                               ;   in Loop: Header=BB116_4 Depth=2
	v_bcnt_u32_b32 v1, v1, 0
	v_bcnt_u32_b32 v1, v2, v1
	s_waitcnt lgkmcnt(0)
	v_add_u32_e32 v1, v85, v1
	v_add_u32_e32 v2, v36, v86
	ds_write_b32 v2, v1 offset:16
.LBB116_36:                             ;   in Loop: Header=BB116_4 Depth=2
	s_or_b64 exec, exec, s[22:23]
	; wave barrier
	s_waitcnt lgkmcnt(0)
	s_barrier
	ds_read_b32 v1, v37 offset:16
	s_waitcnt lgkmcnt(0)
	s_nop 0
	v_mov_b32_dpp v2, v1 row_shr:1 row_mask:0xf bank_mask:0xf
	v_cndmask_b32_e64 v2, v2, 0, s[8:9]
	v_add_u32_e32 v1, v2, v1
	s_nop 1
	v_mov_b32_dpp v2, v1 row_shr:2 row_mask:0xf bank_mask:0xf
	v_cndmask_b32_e64 v2, 0, v2, s[10:11]
	v_add_u32_e32 v1, v1, v2
	;; [unrolled: 4-line block ×4, first 2 shown]
	s_nop 1
	v_mov_b32_dpp v2, v1 row_bcast:15 row_mask:0xf bank_mask:0xf
	v_cndmask_b32_e64 v2, v2, 0, s[16:17]
	v_add_u32_e32 v1, v1, v2
	s_nop 1
	v_mov_b32_dpp v2, v1 row_bcast:31 row_mask:0xf bank_mask:0xf
	v_cndmask_b32_e64 v2, 0, v2, s[6:7]
	v_add_u32_e32 v1, v1, v2
	s_and_saveexec_b64 s[22:23], s[2:3]
; %bb.37:                               ;   in Loop: Header=BB116_4 Depth=2
	ds_write_b32 v39, v1
; %bb.38:                               ;   in Loop: Header=BB116_4 Depth=2
	s_or_b64 exec, exec, s[22:23]
	s_waitcnt lgkmcnt(0)
	s_barrier
	s_and_saveexec_b64 s[22:23], vcc
	s_cbranch_execz .LBB116_40
; %bb.39:                               ;   in Loop: Header=BB116_4 Depth=2
	ds_read_b32 v2, v37
	s_waitcnt lgkmcnt(0)
	s_nop 0
	v_mov_b32_dpp v88, v2 row_shr:1 row_mask:0xf bank_mask:0xf
	v_cndmask_b32_e64 v88, v88, 0, s[18:19]
	v_add_u32_e32 v2, v88, v2
	s_nop 1
	v_mov_b32_dpp v88, v2 row_shr:2 row_mask:0xf bank_mask:0xf
	v_cndmask_b32_e64 v88, 0, v88, s[20:21]
	v_add_u32_e32 v2, v2, v88
	ds_write_b32 v37, v2
.LBB116_40:                             ;   in Loop: Header=BB116_4 Depth=2
	s_or_b64 exec, exec, s[22:23]
	v_mov_b32_e32 v2, 0
	s_waitcnt lgkmcnt(0)
	s_barrier
	s_and_saveexec_b64 s[22:23], s[0:1]
	s_cbranch_execz .LBB116_3
; %bb.41:                               ;   in Loop: Header=BB116_4 Depth=2
	ds_read_b32 v2, v40
	s_branch .LBB116_3
.LBB116_42:
	v_add_u32_e32 v0, v36, v86
	v_add_u32_e32 v1, v36, v83
	;; [unrolled: 1-line block ×8, first 2 shown]
	ds_read_b32 v0, v0 offset:16
	ds_read_b32 v1, v1 offset:16
	;; [unrolled: 1-line block ×8, first 2 shown]
	s_waitcnt lgkmcnt(7)
	v_add3_u32 v3, v87, v85, v0
	s_waitcnt lgkmcnt(6)
	v_add3_u32 v2, v84, v82, v1
	;; [unrolled: 2-line block ×5, first 2 shown]
	v_add_u32_e32 v4, v36, v62
	v_add_u32_e32 v8, v36, v59
	;; [unrolled: 1-line block ×5, first 2 shown]
	s_waitcnt lgkmcnt(2)
	v_add3_u32 v6, v72, v70, v5
	s_waitcnt lgkmcnt(1)
	v_add3_u32 v5, v69, v67, v10
	v_add_u32_e32 v10, v36, v53
	v_add_u32_e32 v14, v36, v44
	;; [unrolled: 1-line block ×3, first 2 shown]
	ds_read_b32 v16, v4 offset:16
	ds_read_b32 v8, v8 offset:16
	;; [unrolled: 1-line block ×8, first 2 shown]
	s_lshl_b64 s[0:1], s[28:29], 2
	s_add_u32 s0, s26, s0
	s_waitcnt lgkmcnt(8)
	v_add3_u32 v4, v65, v64, v11
	s_waitcnt lgkmcnt(7)
	v_add3_u32 v11, v63, v61, v16
	;; [unrolled: 2-line block ×5, first 2 shown]
	s_waitcnt lgkmcnt(0)
	v_add_u32_e32 v12, v19, v42
	s_addc_u32 s1, s27, s1
	v_lshlrev_b32_e32 v16, 2, v35
	v_add3_u32 v10, v60, v58, v8
	v_add3_u32 v9, v57, v55, v9
	;; [unrolled: 1-line block ×3, first 2 shown]
	global_store_dwordx4 v16, v[12:15], s[0:1]
	global_store_dwordx4 v16, v[8:11], s[0:1] offset:16
	global_store_dwordx4 v16, v[4:7], s[0:1] offset:32
	;; [unrolled: 1-line block ×3, first 2 shown]
	s_endpgm
	.section	.rodata,"a",@progbits
	.p2align	6, 0x0
	.amdhsa_kernel _Z11rank_kernelIxLj4ELb0EL18RadixRankAlgorithm2ELj256ELj16ELj10EEvPKT_Pi
		.amdhsa_group_segment_fixed_size 1040
		.amdhsa_private_segment_fixed_size 0
		.amdhsa_kernarg_size 272
		.amdhsa_user_sgpr_count 6
		.amdhsa_user_sgpr_private_segment_buffer 1
		.amdhsa_user_sgpr_dispatch_ptr 0
		.amdhsa_user_sgpr_queue_ptr 0
		.amdhsa_user_sgpr_kernarg_segment_ptr 1
		.amdhsa_user_sgpr_dispatch_id 0
		.amdhsa_user_sgpr_flat_scratch_init 0
		.amdhsa_user_sgpr_private_segment_size 0
		.amdhsa_uses_dynamic_stack 0
		.amdhsa_system_sgpr_private_segment_wavefront_offset 0
		.amdhsa_system_sgpr_workgroup_id_x 1
		.amdhsa_system_sgpr_workgroup_id_y 0
		.amdhsa_system_sgpr_workgroup_id_z 0
		.amdhsa_system_sgpr_workgroup_info 0
		.amdhsa_system_vgpr_workitem_id 2
		.amdhsa_next_free_vgpr 92
		.amdhsa_next_free_sgpr 35
		.amdhsa_reserve_vcc 1
		.amdhsa_reserve_flat_scratch 0
		.amdhsa_float_round_mode_32 0
		.amdhsa_float_round_mode_16_64 0
		.amdhsa_float_denorm_mode_32 3
		.amdhsa_float_denorm_mode_16_64 3
		.amdhsa_dx10_clamp 1
		.amdhsa_ieee_mode 1
		.amdhsa_fp16_overflow 0
		.amdhsa_exception_fp_ieee_invalid_op 0
		.amdhsa_exception_fp_denorm_src 0
		.amdhsa_exception_fp_ieee_div_zero 0
		.amdhsa_exception_fp_ieee_overflow 0
		.amdhsa_exception_fp_ieee_underflow 0
		.amdhsa_exception_fp_ieee_inexact 0
		.amdhsa_exception_int_div_zero 0
	.end_amdhsa_kernel
	.section	.text._Z11rank_kernelIxLj4ELb0EL18RadixRankAlgorithm2ELj256ELj16ELj10EEvPKT_Pi,"axG",@progbits,_Z11rank_kernelIxLj4ELb0EL18RadixRankAlgorithm2ELj256ELj16ELj10EEvPKT_Pi,comdat
.Lfunc_end116:
	.size	_Z11rank_kernelIxLj4ELb0EL18RadixRankAlgorithm2ELj256ELj16ELj10EEvPKT_Pi, .Lfunc_end116-_Z11rank_kernelIxLj4ELb0EL18RadixRankAlgorithm2ELj256ELj16ELj10EEvPKT_Pi
                                        ; -- End function
	.set _Z11rank_kernelIxLj4ELb0EL18RadixRankAlgorithm2ELj256ELj16ELj10EEvPKT_Pi.num_vgpr, 92
	.set _Z11rank_kernelIxLj4ELb0EL18RadixRankAlgorithm2ELj256ELj16ELj10EEvPKT_Pi.num_agpr, 0
	.set _Z11rank_kernelIxLj4ELb0EL18RadixRankAlgorithm2ELj256ELj16ELj10EEvPKT_Pi.numbered_sgpr, 35
	.set _Z11rank_kernelIxLj4ELb0EL18RadixRankAlgorithm2ELj256ELj16ELj10EEvPKT_Pi.num_named_barrier, 0
	.set _Z11rank_kernelIxLj4ELb0EL18RadixRankAlgorithm2ELj256ELj16ELj10EEvPKT_Pi.private_seg_size, 0
	.set _Z11rank_kernelIxLj4ELb0EL18RadixRankAlgorithm2ELj256ELj16ELj10EEvPKT_Pi.uses_vcc, 1
	.set _Z11rank_kernelIxLj4ELb0EL18RadixRankAlgorithm2ELj256ELj16ELj10EEvPKT_Pi.uses_flat_scratch, 0
	.set _Z11rank_kernelIxLj4ELb0EL18RadixRankAlgorithm2ELj256ELj16ELj10EEvPKT_Pi.has_dyn_sized_stack, 0
	.set _Z11rank_kernelIxLj4ELb0EL18RadixRankAlgorithm2ELj256ELj16ELj10EEvPKT_Pi.has_recursion, 0
	.set _Z11rank_kernelIxLj4ELb0EL18RadixRankAlgorithm2ELj256ELj16ELj10EEvPKT_Pi.has_indirect_call, 0
	.section	.AMDGPU.csdata,"",@progbits
; Kernel info:
; codeLenInByte = 5576
; TotalNumSgprs: 39
; NumVgprs: 92
; ScratchSize: 0
; MemoryBound: 0
; FloatMode: 240
; IeeeMode: 1
; LDSByteSize: 1040 bytes/workgroup (compile time only)
; SGPRBlocks: 4
; VGPRBlocks: 22
; NumSGPRsForWavesPerEU: 39
; NumVGPRsForWavesPerEU: 92
; Occupancy: 2
; WaveLimiterHint : 0
; COMPUTE_PGM_RSRC2:SCRATCH_EN: 0
; COMPUTE_PGM_RSRC2:USER_SGPR: 6
; COMPUTE_PGM_RSRC2:TRAP_HANDLER: 0
; COMPUTE_PGM_RSRC2:TGID_X_EN: 1
; COMPUTE_PGM_RSRC2:TGID_Y_EN: 0
; COMPUTE_PGM_RSRC2:TGID_Z_EN: 0
; COMPUTE_PGM_RSRC2:TIDIG_COMP_CNT: 2
	.section	.text._Z11rank_kernelIxLj4ELb0EL18RadixRankAlgorithm0ELj256ELj32ELj10EEvPKT_Pi,"axG",@progbits,_Z11rank_kernelIxLj4ELb0EL18RadixRankAlgorithm0ELj256ELj32ELj10EEvPKT_Pi,comdat
	.protected	_Z11rank_kernelIxLj4ELb0EL18RadixRankAlgorithm0ELj256ELj32ELj10EEvPKT_Pi ; -- Begin function _Z11rank_kernelIxLj4ELb0EL18RadixRankAlgorithm0ELj256ELj32ELj10EEvPKT_Pi
	.globl	_Z11rank_kernelIxLj4ELb0EL18RadixRankAlgorithm0ELj256ELj32ELj10EEvPKT_Pi
	.p2align	8
	.type	_Z11rank_kernelIxLj4ELb0EL18RadixRankAlgorithm0ELj256ELj32ELj10EEvPKT_Pi,@function
_Z11rank_kernelIxLj4ELb0EL18RadixRankAlgorithm0ELj256ELj32ELj10EEvPKT_Pi: ; @_Z11rank_kernelIxLj4ELb0EL18RadixRankAlgorithm0ELj256ELj32ELj10EEvPKT_Pi
; %bb.0:
	s_load_dwordx4 s[24:27], s[4:5], 0x0
	s_lshl_b32 s28, s6, 13
	s_mov_b32 s29, 0
	s_lshl_b64 s[0:1], s[28:29], 3
	v_lshlrev_b32_e32 v61, 8, v0
	s_waitcnt lgkmcnt(0)
	s_add_u32 s0, s24, s0
	s_addc_u32 s1, s25, s1
	global_load_dwordx4 v[1:4], v61, s[0:1]
	global_load_dwordx4 v[5:8], v61, s[0:1] offset:16
	global_load_dwordx4 v[9:12], v61, s[0:1] offset:32
	;; [unrolled: 1-line block ×14, first 2 shown]
	s_nop 0
	global_load_dwordx4 v[61:64], v61, s[0:1] offset:240
	v_mbcnt_lo_u32_b32 v66, -1, 0
	v_mbcnt_hi_u32_b32 v68, -1, v66
	v_subrev_co_u32_e64 v72, s[6:7], 1, v68
	v_and_b32_e32 v73, 64, v68
	v_cmp_lt_i32_e64 s[18:19], v72, v73
	v_lshlrev_b32_e32 v65, 5, v0
	v_or_b32_e32 v66, 63, v0
	v_lshrrev_b32_e32 v67, 4, v0
	v_mul_i32_i24_e32 v69, 0xffffffe4, v0
	v_and_b32_e32 v70, 15, v68
	v_and_b32_e32 v71, 16, v68
	v_cmp_lt_u32_e64 s[4:5], 31, v68
	v_and_b32_e32 v74, 3, v68
	v_cndmask_b32_e64 v68, v72, v68, s[18:19]
	s_movk_i32 s30, 0x6ff
	s_movk_i32 s31, 0x700
	v_cmp_gt_u32_e32 vcc, 4, v0
	v_cmp_lt_u32_e64 s[0:1], 63, v0
	s_mov_b32 s33, s29
	v_cmp_eq_u32_e64 s[2:3], v0, v66
	v_and_b32_e32 v66, 12, v67
	v_add_u32_e32 v67, v65, v69
	v_cmp_eq_u32_e64 s[8:9], 0, v70
	v_cmp_lt_u32_e64 s[10:11], 1, v70
	v_cmp_lt_u32_e64 s[12:13], 3, v70
	;; [unrolled: 1-line block ×3, first 2 shown]
	v_cmp_eq_u32_e64 s[16:17], 0, v71
	v_cmp_eq_u32_e64 s[18:19], 0, v74
	v_cmp_lt_u32_e64 s[20:21], 1, v74
	v_lshlrev_b32_e32 v68, 2, v68
	v_mov_b32_e32 v72, 0
	v_lshlrev_b32_e32 v73, 2, v0
	v_or_b32_e32 v74, 0xffffff00, v0
	s_waitcnt vmcnt(15)
	v_xor_b32_e32 v2, 0x80000000, v2
	v_xor_b32_e32 v4, 0x80000000, v4
	s_waitcnt vmcnt(14)
	v_xor_b32_e32 v6, 0x80000000, v6
	v_xor_b32_e32 v8, 0x80000000, v8
	;; [unrolled: 3-line block ×16, first 2 shown]
	s_branch .LBB117_2
.LBB117_1:                              ;   in Loop: Header=BB117_2 Depth=1
	s_add_i32 s33, s33, 1
	s_cmp_eq_u32 s33, 10
	s_cbranch_scc1 .LBB117_12
.LBB117_2:                              ; =>This Loop Header: Depth=1
                                        ;     Child Loop BB117_4 Depth 2
                                        ;       Child Loop BB117_5 Depth 3
	s_mov_b32 s34, 0
	s_branch .LBB117_4
.LBB117_3:                              ;   in Loop: Header=BB117_4 Depth=2
	s_or_b64 exec, exec, s[22:23]
	s_waitcnt lgkmcnt(0)
	v_add_u32_e32 v136, v137, v136
	ds_bpermute_b32 v136, v68, v136
	ds_read_b32 v144, v72 offset:8204
	ds_read2_b64 v[138:141], v65 offset1:1
	ds_read_b64 v[142:143], v65 offset:16
	ds_read_b32 v145, v65 offset:24
	s_add_i32 s22, s34, 4
	s_cmp_lt_u32 s34, 60
	s_mov_b32 s34, s22
	s_waitcnt lgkmcnt(4)
	v_cndmask_b32_e64 v136, v136, v137, s[6:7]
	s_waitcnt lgkmcnt(3)
	v_lshl_add_u32 v136, v144, 16, v136
	s_waitcnt lgkmcnt(2)
	v_add_u32_e32 v137, v136, v138
	v_add_u32_e32 v138, v139, v137
	;; [unrolled: 1-line block ×3, first 2 shown]
	ds_write2_b64 v65, v[136:137], v[138:139] offset1:1
	v_add_u32_e32 v136, v141, v139
	s_waitcnt lgkmcnt(2)
	v_add_u32_e32 v137, v142, v136
	v_add_u32_e32 v138, v143, v137
	s_waitcnt lgkmcnt(1)
	v_add_u32_e32 v139, v145, v138
	ds_write2_b64 v65, v[136:137], v[138:139] offset0:2 offset1:3
	s_waitcnt lgkmcnt(0)
	s_barrier
	s_cbranch_scc0 .LBB117_1
.LBB117_4:                              ;   Parent Loop BB117_2 Depth=1
                                        ; =>  This Loop Header: Depth=2
                                        ;       Child Loop BB117_5 Depth 3
	s_mov_b64 s[24:25], 0
	v_mov_b32_e32 v69, v74
	v_mov_b32_e32 v70, v73
.LBB117_5:                              ;   Parent Loop BB117_2 Depth=1
                                        ;     Parent Loop BB117_4 Depth=2
                                        ; =>    This Inner Loop Header: Depth=3
	v_add_u32_e32 v69, 0x100, v69
	v_cmp_lt_u32_e64 s[22:23], s30, v69
	ds_write_b32 v70, v72
	s_or_b64 s[24:25], s[22:23], s[24:25]
	v_add_u32_e32 v70, 0x400, v70
	s_andn2_b64 exec, exec, s[24:25]
	s_cbranch_execnz .LBB117_5
; %bb.6:                                ;   in Loop: Header=BB117_4 Depth=2
	s_or_b64 exec, exec, s[24:25]
	s_sub_i32 s22, 60, s34
	v_lshlrev_b64 v[69:70], s22, v[1:2]
	v_lshlrev_b64 v[78:79], s22, v[5:6]
	v_lshrrev_b32_e32 v69, 20, v70
	v_lshrrev_b32_e32 v70, 30, v70
	v_and_or_b32 v69, v69, s31, v0
	v_and_b32_e32 v70, 2, v70
	v_lshl_or_b32 v75, v69, 2, v70
	ds_read_u16 v69, v75
	v_lshlrev_b64 v[70:71], s22, v[3:4]
	v_lshlrev_b64 v[80:81], s22, v[7:8]
	v_lshrrev_b32_e32 v70, 20, v71
	v_lshrrev_b32_e32 v71, 30, v71
	v_and_or_b32 v70, v70, s31, v0
	s_waitcnt lgkmcnt(0)
	v_add_u16_e32 v76, 1, v69
	v_and_b32_e32 v71, 2, v71
	ds_write_b16 v75, v76
	v_lshl_or_b32 v77, v70, 2, v71
	ds_read_u16 v70, v77
	v_lshrrev_b32_e32 v76, 30, v79
	v_and_b32_e32 v76, 2, v76
	v_lshrrev_b32_e32 v78, 30, v81
	v_and_b32_e32 v78, 2, v78
	s_waitcnt lgkmcnt(0)
	v_add_u16_e32 v71, 1, v70
	ds_write_b16 v77, v71
	v_lshrrev_b32_e32 v71, 20, v79
	v_and_or_b32 v71, v71, s31, v0
	v_lshl_or_b32 v79, v71, 2, v76
	ds_read_u16 v71, v79
	v_lshlrev_b64 v[82:83], s22, v[9:10]
	v_lshlrev_b64 v[84:85], s22, v[11:12]
	v_lshrrev_b32_e32 v80, 30, v83
	v_and_b32_e32 v80, 2, v80
	s_waitcnt lgkmcnt(0)
	v_add_u16_e32 v76, 1, v71
	ds_write_b16 v79, v76
	v_lshrrev_b32_e32 v76, 20, v81
	v_and_or_b32 v76, v76, s31, v0
	v_lshl_or_b32 v81, v76, 2, v78
	ds_read_u16 v76, v81
	v_lshrrev_b32_e32 v82, 30, v85
	v_and_b32_e32 v82, 2, v82
	v_lshlrev_b64 v[86:87], s22, v[13:14]
	v_lshlrev_b64 v[88:89], s22, v[15:16]
	s_waitcnt lgkmcnt(0)
	v_add_u16_e32 v78, 1, v76
	ds_write_b16 v81, v78
	v_lshrrev_b32_e32 v78, 20, v83
	v_and_or_b32 v78, v78, s31, v0
	v_lshl_or_b32 v83, v78, 2, v80
	ds_read_u16 v78, v83
	v_lshrrev_b32_e32 v84, 30, v87
	v_and_b32_e32 v84, 2, v84
	v_lshrrev_b32_e32 v86, 30, v89
	v_and_b32_e32 v86, 2, v86
	s_waitcnt lgkmcnt(0)
	v_add_u16_e32 v80, 1, v78
	ds_write_b16 v83, v80
	v_lshrrev_b32_e32 v80, 20, v85
	v_and_or_b32 v80, v80, s31, v0
	v_lshl_or_b32 v85, v80, 2, v82
	ds_read_u16 v80, v85
	v_lshlrev_b64 v[90:91], s22, v[17:18]
	v_lshlrev_b64 v[92:93], s22, v[19:20]
	v_lshrrev_b32_e32 v88, 30, v91
	v_and_b32_e32 v88, 2, v88
	s_waitcnt lgkmcnt(0)
	v_add_u16_e32 v82, 1, v80
	ds_write_b16 v85, v82
	v_lshrrev_b32_e32 v82, 20, v87
	v_and_or_b32 v82, v82, s31, v0
	v_lshl_or_b32 v87, v82, 2, v84
	ds_read_u16 v82, v87
	v_lshrrev_b32_e32 v90, 30, v93
	v_and_b32_e32 v90, 2, v90
	v_lshlrev_b64 v[94:95], s22, v[21:22]
	v_lshlrev_b64 v[96:97], s22, v[23:24]
	s_waitcnt lgkmcnt(0)
	v_add_u16_e32 v84, 1, v82
	ds_write_b16 v87, v84
	v_lshrrev_b32_e32 v84, 20, v89
	v_and_or_b32 v84, v84, s31, v0
	v_lshl_or_b32 v89, v84, 2, v86
	ds_read_u16 v84, v89
	v_lshrrev_b32_e32 v92, 30, v95
	v_and_b32_e32 v92, 2, v92
	v_lshrrev_b32_e32 v94, 30, v97
	v_and_b32_e32 v94, 2, v94
	s_waitcnt lgkmcnt(0)
	v_add_u16_e32 v86, 1, v84
	ds_write_b16 v89, v86
	v_lshrrev_b32_e32 v86, 20, v91
	v_and_or_b32 v86, v86, s31, v0
	v_lshl_or_b32 v91, v86, 2, v88
	ds_read_u16 v86, v91
	v_lshlrev_b64 v[98:99], s22, v[25:26]
	v_lshlrev_b64 v[100:101], s22, v[27:28]
	v_lshrrev_b32_e32 v96, 30, v99
	v_and_b32_e32 v96, 2, v96
	s_waitcnt lgkmcnt(0)
	v_add_u16_e32 v88, 1, v86
	ds_write_b16 v91, v88
	v_lshrrev_b32_e32 v88, 20, v93
	v_and_or_b32 v88, v88, s31, v0
	v_lshl_or_b32 v93, v88, 2, v90
	ds_read_u16 v88, v93
	v_lshrrev_b32_e32 v98, 30, v101
	v_and_b32_e32 v98, 2, v98
	v_lshlrev_b64 v[102:103], s22, v[29:30]
	v_lshlrev_b64 v[104:105], s22, v[31:32]
	s_waitcnt lgkmcnt(0)
	v_add_u16_e32 v90, 1, v88
	ds_write_b16 v93, v90
	v_lshrrev_b32_e32 v90, 20, v95
	v_and_or_b32 v90, v90, s31, v0
	v_lshl_or_b32 v95, v90, 2, v92
	ds_read_u16 v90, v95
	v_lshrrev_b32_e32 v100, 30, v103
	v_and_b32_e32 v100, 2, v100
	v_lshrrev_b32_e32 v102, 30, v105
	v_and_b32_e32 v102, 2, v102
	s_waitcnt lgkmcnt(0)
	v_add_u16_e32 v92, 1, v90
	ds_write_b16 v95, v92
	v_lshrrev_b32_e32 v92, 20, v97
	v_and_or_b32 v92, v92, s31, v0
	v_lshl_or_b32 v97, v92, 2, v94
	ds_read_u16 v92, v97
	v_lshlrev_b64 v[106:107], s22, v[33:34]
	v_lshlrev_b64 v[108:109], s22, v[35:36]
	v_lshrrev_b32_e32 v104, 30, v107
	v_and_b32_e32 v104, 2, v104
	s_waitcnt lgkmcnt(0)
	v_add_u16_e32 v94, 1, v92
	ds_write_b16 v97, v94
	v_lshrrev_b32_e32 v94, 20, v99
	v_and_or_b32 v94, v94, s31, v0
	v_lshl_or_b32 v99, v94, 2, v96
	ds_read_u16 v94, v99
	v_lshrrev_b32_e32 v106, 30, v109
	v_and_b32_e32 v106, 2, v106
	v_lshlrev_b64 v[110:111], s22, v[37:38]
	v_lshlrev_b64 v[112:113], s22, v[39:40]
	s_waitcnt lgkmcnt(0)
	v_add_u16_e32 v96, 1, v94
	ds_write_b16 v99, v96
	v_lshrrev_b32_e32 v96, 20, v101
	v_and_or_b32 v96, v96, s31, v0
	v_lshl_or_b32 v101, v96, 2, v98
	ds_read_u16 v96, v101
	v_lshrrev_b32_e32 v108, 30, v111
	v_and_b32_e32 v108, 2, v108
	v_lshrrev_b32_e32 v110, 30, v113
	v_and_b32_e32 v110, 2, v110
	s_waitcnt lgkmcnt(0)
	v_add_u16_e32 v98, 1, v96
	ds_write_b16 v101, v98
	v_lshrrev_b32_e32 v98, 20, v103
	v_and_or_b32 v98, v98, s31, v0
	v_lshl_or_b32 v103, v98, 2, v100
	ds_read_u16 v98, v103
	v_lshlrev_b64 v[114:115], s22, v[41:42]
	v_lshlrev_b64 v[116:117], s22, v[43:44]
	v_lshrrev_b32_e32 v112, 30, v115
	v_and_b32_e32 v112, 2, v112
	s_waitcnt lgkmcnt(0)
	v_add_u16_e32 v100, 1, v98
	ds_write_b16 v103, v100
	v_lshrrev_b32_e32 v100, 20, v105
	v_and_or_b32 v100, v100, s31, v0
	v_lshl_or_b32 v105, v100, 2, v102
	ds_read_u16 v100, v105
	v_lshrrev_b32_e32 v114, 30, v117
	v_and_b32_e32 v114, 2, v114
	v_lshlrev_b64 v[118:119], s22, v[45:46]
	v_lshlrev_b64 v[120:121], s22, v[47:48]
	s_waitcnt lgkmcnt(0)
	v_add_u16_e32 v102, 1, v100
	ds_write_b16 v105, v102
	v_lshrrev_b32_e32 v102, 20, v107
	v_and_or_b32 v102, v102, s31, v0
	v_lshl_or_b32 v107, v102, 2, v104
	ds_read_u16 v102, v107
	v_lshrrev_b32_e32 v116, 30, v119
	v_and_b32_e32 v116, 2, v116
	v_lshrrev_b32_e32 v118, 30, v121
	v_and_b32_e32 v118, 2, v118
	s_waitcnt lgkmcnt(0)
	v_add_u16_e32 v104, 1, v102
	ds_write_b16 v107, v104
	v_lshrrev_b32_e32 v104, 20, v109
	v_and_or_b32 v104, v104, s31, v0
	v_lshl_or_b32 v109, v104, 2, v106
	ds_read_u16 v104, v109
	v_lshlrev_b64 v[122:123], s22, v[49:50]
	v_lshlrev_b64 v[124:125], s22, v[51:52]
	v_lshrrev_b32_e32 v120, 30, v123
	v_and_b32_e32 v120, 2, v120
	s_waitcnt lgkmcnt(0)
	v_add_u16_e32 v106, 1, v104
	ds_write_b16 v109, v106
	v_lshrrev_b32_e32 v106, 20, v111
	v_and_or_b32 v106, v106, s31, v0
	v_lshl_or_b32 v111, v106, 2, v108
	ds_read_u16 v106, v111
	v_lshrrev_b32_e32 v122, 30, v125
	v_and_b32_e32 v122, 2, v122
	v_lshlrev_b64 v[126:127], s22, v[53:54]
	v_lshlrev_b64 v[128:129], s22, v[55:56]
	s_waitcnt lgkmcnt(0)
	v_add_u16_e32 v108, 1, v106
	ds_write_b16 v111, v108
	v_lshrrev_b32_e32 v108, 20, v113
	v_and_or_b32 v108, v108, s31, v0
	v_lshl_or_b32 v113, v108, 2, v110
	ds_read_u16 v108, v113
	v_lshrrev_b32_e32 v124, 30, v127
	v_and_b32_e32 v124, 2, v124
	v_lshrrev_b32_e32 v126, 30, v129
	v_and_b32_e32 v126, 2, v126
	s_waitcnt lgkmcnt(0)
	v_add_u16_e32 v110, 1, v108
	ds_write_b16 v113, v110
	v_lshrrev_b32_e32 v110, 20, v115
	v_and_or_b32 v110, v110, s31, v0
	v_lshl_or_b32 v115, v110, 2, v112
	ds_read_u16 v110, v115
	v_lshlrev_b64 v[130:131], s22, v[57:58]
	v_lshlrev_b64 v[132:133], s22, v[59:60]
	v_lshrrev_b32_e32 v128, 30, v131
	v_and_b32_e32 v128, 2, v128
	s_waitcnt lgkmcnt(0)
	v_add_u16_e32 v112, 1, v110
	ds_write_b16 v115, v112
	v_lshrrev_b32_e32 v112, 20, v117
	v_and_or_b32 v112, v112, s31, v0
	v_lshl_or_b32 v117, v112, 2, v114
	ds_read_u16 v112, v117
	v_lshrrev_b32_e32 v130, 30, v133
	v_and_b32_e32 v130, 2, v130
	v_lshlrev_b64 v[134:135], s22, v[61:62]
	s_waitcnt lgkmcnt(0)
	v_add_u16_e32 v114, 1, v112
	ds_write_b16 v117, v114
	v_lshrrev_b32_e32 v114, 20, v119
	v_and_or_b32 v114, v114, s31, v0
	v_lshl_or_b32 v119, v114, 2, v116
	ds_read_u16 v114, v119
	v_lshrrev_b32_e32 v132, 30, v135
	v_and_b32_e32 v132, 2, v132
	s_waitcnt lgkmcnt(0)
	v_add_u16_e32 v116, 1, v114
	ds_write_b16 v119, v116
	v_lshrrev_b32_e32 v116, 20, v121
	v_and_or_b32 v116, v116, s31, v0
	v_lshl_or_b32 v121, v116, 2, v118
	ds_read_u16 v116, v121
	s_waitcnt lgkmcnt(0)
	v_add_u16_e32 v118, 1, v116
	ds_write_b16 v121, v118
	v_lshrrev_b32_e32 v118, 20, v123
	v_and_or_b32 v118, v118, s31, v0
	v_lshl_or_b32 v123, v118, 2, v120
	ds_read_u16 v118, v123
	s_waitcnt lgkmcnt(0)
	v_add_u16_e32 v120, 1, v118
	ds_write_b16 v123, v120
	v_lshrrev_b32_e32 v120, 20, v125
	v_and_or_b32 v120, v120, s31, v0
	v_lshl_or_b32 v125, v120, 2, v122
	ds_read_u16 v120, v125
	s_waitcnt lgkmcnt(0)
	v_add_u16_e32 v122, 1, v120
	ds_write_b16 v125, v122
	v_lshrrev_b32_e32 v122, 20, v127
	v_and_or_b32 v122, v122, s31, v0
	v_lshl_or_b32 v127, v122, 2, v124
	ds_read_u16 v122, v127
	s_waitcnt lgkmcnt(0)
	v_add_u16_e32 v124, 1, v122
	ds_write_b16 v127, v124
	v_lshrrev_b32_e32 v124, 20, v129
	v_and_or_b32 v124, v124, s31, v0
	v_lshl_or_b32 v129, v124, 2, v126
	ds_read_u16 v124, v129
	s_waitcnt lgkmcnt(0)
	v_add_u16_e32 v126, 1, v124
	ds_write_b16 v129, v126
	v_lshrrev_b32_e32 v126, 20, v131
	v_and_or_b32 v126, v126, s31, v0
	v_lshl_or_b32 v131, v126, 2, v128
	ds_read_u16 v126, v131
	s_waitcnt lgkmcnt(0)
	v_add_u16_e32 v128, 1, v126
	ds_write_b16 v131, v128
	v_lshrrev_b32_e32 v128, 20, v133
	v_and_or_b32 v128, v128, s31, v0
	v_lshl_or_b32 v133, v128, 2, v130
	ds_read_u16 v128, v133
	s_waitcnt lgkmcnt(0)
	v_add_u16_e32 v130, 1, v128
	ds_write_b16 v133, v130
	v_lshrrev_b32_e32 v130, 20, v135
	v_and_or_b32 v130, v130, s31, v0
	v_lshl_or_b32 v134, v130, 2, v132
	ds_read_u16 v130, v134
	v_lshlrev_b64 v[135:136], s22, v[63:64]
	v_lshrrev_b32_e32 v135, 30, v136
	v_and_b32_e32 v135, 2, v135
	s_waitcnt lgkmcnt(0)
	v_add_u16_e32 v132, 1, v130
	ds_write_b16 v134, v132
	v_lshrrev_b32_e32 v132, 20, v136
	v_and_or_b32 v132, v132, s31, v0
	v_lshl_or_b32 v135, v132, 2, v135
	ds_read_u16 v132, v135
	s_waitcnt lgkmcnt(0)
	v_add_u16_e32 v136, 1, v132
	ds_write_b16 v135, v136
	s_waitcnt lgkmcnt(0)
	s_barrier
	ds_read2_b64 v[136:139], v65 offset1:1
	ds_read2_b64 v[140:143], v65 offset0:2 offset1:3
	s_waitcnt lgkmcnt(1)
	v_add_u32_e32 v136, v137, v136
	v_add3_u32 v136, v136, v138, v139
	s_waitcnt lgkmcnt(0)
	v_add3_u32 v136, v136, v140, v141
	v_add3_u32 v136, v136, v142, v143
	s_nop 1
	v_mov_b32_dpp v137, v136 row_shr:1 row_mask:0xf bank_mask:0xf
	v_cndmask_b32_e64 v137, v137, 0, s[8:9]
	v_add_u32_e32 v136, v137, v136
	s_nop 1
	v_mov_b32_dpp v137, v136 row_shr:2 row_mask:0xf bank_mask:0xf
	v_cndmask_b32_e64 v137, 0, v137, s[10:11]
	v_add_u32_e32 v136, v136, v137
	;; [unrolled: 4-line block ×4, first 2 shown]
	s_nop 1
	v_mov_b32_dpp v137, v136 row_bcast:15 row_mask:0xf bank_mask:0xf
	v_cndmask_b32_e64 v137, v137, 0, s[16:17]
	v_add_u32_e32 v136, v136, v137
	s_nop 1
	v_mov_b32_dpp v137, v136 row_bcast:31 row_mask:0xf bank_mask:0xf
	v_cndmask_b32_e64 v137, 0, v137, s[4:5]
	v_add_u32_e32 v136, v136, v137
	s_and_saveexec_b64 s[22:23], s[2:3]
; %bb.7:                                ;   in Loop: Header=BB117_4 Depth=2
	ds_write_b32 v66, v136 offset:8192
; %bb.8:                                ;   in Loop: Header=BB117_4 Depth=2
	s_or_b64 exec, exec, s[22:23]
	s_waitcnt lgkmcnt(0)
	s_barrier
	s_and_saveexec_b64 s[22:23], vcc
	s_cbranch_execz .LBB117_10
; %bb.9:                                ;   in Loop: Header=BB117_4 Depth=2
	ds_read_b32 v137, v67 offset:8192
	s_waitcnt lgkmcnt(0)
	s_nop 0
	v_mov_b32_dpp v138, v137 row_shr:1 row_mask:0xf bank_mask:0xf
	v_cndmask_b32_e64 v138, v138, 0, s[18:19]
	v_add_u32_e32 v137, v138, v137
	s_nop 1
	v_mov_b32_dpp v138, v137 row_shr:2 row_mask:0xf bank_mask:0xf
	v_cndmask_b32_e64 v138, 0, v138, s[20:21]
	v_add_u32_e32 v137, v137, v138
	ds_write_b32 v67, v137 offset:8192
.LBB117_10:                             ;   in Loop: Header=BB117_4 Depth=2
	s_or_b64 exec, exec, s[22:23]
	v_mov_b32_e32 v137, 0
	s_waitcnt lgkmcnt(0)
	s_barrier
	s_and_saveexec_b64 s[22:23], s[0:1]
	s_cbranch_execz .LBB117_3
; %bb.11:                               ;   in Loop: Header=BB117_4 Depth=2
	ds_read_b32 v137, v66 offset:8188
	s_branch .LBB117_3
.LBB117_12:
	ds_read_u16 v0, v135
	ds_read_u16 v1, v134
	;; [unrolled: 1-line block ×32, first 2 shown]
	s_lshl_b64 s[0:1], s[28:29], 2
	s_add_u32 s0, s26, s0
	s_waitcnt lgkmcnt(14)
	v_add_u32_sdwa v3, v0, v132 dst_sel:DWORD dst_unused:UNUSED_PAD src0_sel:DWORD src1_sel:WORD_0
	v_add_u32_sdwa v2, v1, v130 dst_sel:DWORD dst_unused:UNUSED_PAD src0_sel:DWORD src1_sel:WORD_0
	;; [unrolled: 1-line block ×15, first 2 shown]
	s_waitcnt lgkmcnt(13)
	v_add_u32_sdwa v17, v21, v96 dst_sel:DWORD dst_unused:UNUSED_PAD src0_sel:DWORD src1_sel:WORD_0
	s_waitcnt lgkmcnt(12)
	v_add_u32_sdwa v16, v22, v94 dst_sel:DWORD dst_unused:UNUSED_PAD src0_sel:DWORD src1_sel:WORD_0
	;; [unrolled: 2-line block ×12, first 2 shown]
	s_addc_u32 s1, s27, s1
	v_lshlrev_b32_e32 v32, 2, v65
	v_add_u32_sdwa v11, v11, v116 dst_sel:DWORD dst_unused:UNUSED_PAD src0_sel:DWORD src1_sel:WORD_0
	v_add_u32_sdwa v15, v15, v108 dst_sel:DWORD dst_unused:UNUSED_PAD src0_sel:DWORD src1_sel:WORD_0
	;; [unrolled: 1-line block ×5, first 2 shown]
	global_store_dwordx4 v32, v[28:31], s[0:1]
	global_store_dwordx4 v32, v[24:27], s[0:1] offset:16
	global_store_dwordx4 v32, v[20:23], s[0:1] offset:32
	;; [unrolled: 1-line block ×7, first 2 shown]
	s_endpgm
	.section	.rodata,"a",@progbits
	.p2align	6, 0x0
	.amdhsa_kernel _Z11rank_kernelIxLj4ELb0EL18RadixRankAlgorithm0ELj256ELj32ELj10EEvPKT_Pi
		.amdhsa_group_segment_fixed_size 8208
		.amdhsa_private_segment_fixed_size 0
		.amdhsa_kernarg_size 16
		.amdhsa_user_sgpr_count 6
		.amdhsa_user_sgpr_private_segment_buffer 1
		.amdhsa_user_sgpr_dispatch_ptr 0
		.amdhsa_user_sgpr_queue_ptr 0
		.amdhsa_user_sgpr_kernarg_segment_ptr 1
		.amdhsa_user_sgpr_dispatch_id 0
		.amdhsa_user_sgpr_flat_scratch_init 0
		.amdhsa_user_sgpr_private_segment_size 0
		.amdhsa_uses_dynamic_stack 0
		.amdhsa_system_sgpr_private_segment_wavefront_offset 0
		.amdhsa_system_sgpr_workgroup_id_x 1
		.amdhsa_system_sgpr_workgroup_id_y 0
		.amdhsa_system_sgpr_workgroup_id_z 0
		.amdhsa_system_sgpr_workgroup_info 0
		.amdhsa_system_vgpr_workitem_id 0
		.amdhsa_next_free_vgpr 146
		.amdhsa_next_free_sgpr 77
		.amdhsa_reserve_vcc 1
		.amdhsa_reserve_flat_scratch 0
		.amdhsa_float_round_mode_32 0
		.amdhsa_float_round_mode_16_64 0
		.amdhsa_float_denorm_mode_32 3
		.amdhsa_float_denorm_mode_16_64 3
		.amdhsa_dx10_clamp 1
		.amdhsa_ieee_mode 1
		.amdhsa_fp16_overflow 0
		.amdhsa_exception_fp_ieee_invalid_op 0
		.amdhsa_exception_fp_denorm_src 0
		.amdhsa_exception_fp_ieee_div_zero 0
		.amdhsa_exception_fp_ieee_overflow 0
		.amdhsa_exception_fp_ieee_underflow 0
		.amdhsa_exception_fp_ieee_inexact 0
		.amdhsa_exception_int_div_zero 0
	.end_amdhsa_kernel
	.section	.text._Z11rank_kernelIxLj4ELb0EL18RadixRankAlgorithm0ELj256ELj32ELj10EEvPKT_Pi,"axG",@progbits,_Z11rank_kernelIxLj4ELb0EL18RadixRankAlgorithm0ELj256ELj32ELj10EEvPKT_Pi,comdat
.Lfunc_end117:
	.size	_Z11rank_kernelIxLj4ELb0EL18RadixRankAlgorithm0ELj256ELj32ELj10EEvPKT_Pi, .Lfunc_end117-_Z11rank_kernelIxLj4ELb0EL18RadixRankAlgorithm0ELj256ELj32ELj10EEvPKT_Pi
                                        ; -- End function
	.set _Z11rank_kernelIxLj4ELb0EL18RadixRankAlgorithm0ELj256ELj32ELj10EEvPKT_Pi.num_vgpr, 146
	.set _Z11rank_kernelIxLj4ELb0EL18RadixRankAlgorithm0ELj256ELj32ELj10EEvPKT_Pi.num_agpr, 0
	.set _Z11rank_kernelIxLj4ELb0EL18RadixRankAlgorithm0ELj256ELj32ELj10EEvPKT_Pi.numbered_sgpr, 35
	.set _Z11rank_kernelIxLj4ELb0EL18RadixRankAlgorithm0ELj256ELj32ELj10EEvPKT_Pi.num_named_barrier, 0
	.set _Z11rank_kernelIxLj4ELb0EL18RadixRankAlgorithm0ELj256ELj32ELj10EEvPKT_Pi.private_seg_size, 0
	.set _Z11rank_kernelIxLj4ELb0EL18RadixRankAlgorithm0ELj256ELj32ELj10EEvPKT_Pi.uses_vcc, 1
	.set _Z11rank_kernelIxLj4ELb0EL18RadixRankAlgorithm0ELj256ELj32ELj10EEvPKT_Pi.uses_flat_scratch, 0
	.set _Z11rank_kernelIxLj4ELb0EL18RadixRankAlgorithm0ELj256ELj32ELj10EEvPKT_Pi.has_dyn_sized_stack, 0
	.set _Z11rank_kernelIxLj4ELb0EL18RadixRankAlgorithm0ELj256ELj32ELj10EEvPKT_Pi.has_recursion, 0
	.set _Z11rank_kernelIxLj4ELb0EL18RadixRankAlgorithm0ELj256ELj32ELj10EEvPKT_Pi.has_indirect_call, 0
	.section	.AMDGPU.csdata,"",@progbits
; Kernel info:
; codeLenInByte = 3840
; TotalNumSgprs: 39
; NumVgprs: 146
; ScratchSize: 0
; MemoryBound: 1
; FloatMode: 240
; IeeeMode: 1
; LDSByteSize: 8208 bytes/workgroup (compile time only)
; SGPRBlocks: 10
; VGPRBlocks: 36
; NumSGPRsForWavesPerEU: 81
; NumVGPRsForWavesPerEU: 146
; Occupancy: 1
; WaveLimiterHint : 0
; COMPUTE_PGM_RSRC2:SCRATCH_EN: 0
; COMPUTE_PGM_RSRC2:USER_SGPR: 6
; COMPUTE_PGM_RSRC2:TRAP_HANDLER: 0
; COMPUTE_PGM_RSRC2:TGID_X_EN: 1
; COMPUTE_PGM_RSRC2:TGID_Y_EN: 0
; COMPUTE_PGM_RSRC2:TGID_Z_EN: 0
; COMPUTE_PGM_RSRC2:TIDIG_COMP_CNT: 0
	.section	.text._Z11rank_kernelIxLj4ELb0EL18RadixRankAlgorithm1ELj256ELj32ELj10EEvPKT_Pi,"axG",@progbits,_Z11rank_kernelIxLj4ELb0EL18RadixRankAlgorithm1ELj256ELj32ELj10EEvPKT_Pi,comdat
	.protected	_Z11rank_kernelIxLj4ELb0EL18RadixRankAlgorithm1ELj256ELj32ELj10EEvPKT_Pi ; -- Begin function _Z11rank_kernelIxLj4ELb0EL18RadixRankAlgorithm1ELj256ELj32ELj10EEvPKT_Pi
	.globl	_Z11rank_kernelIxLj4ELb0EL18RadixRankAlgorithm1ELj256ELj32ELj10EEvPKT_Pi
	.p2align	8
	.type	_Z11rank_kernelIxLj4ELb0EL18RadixRankAlgorithm1ELj256ELj32ELj10EEvPKT_Pi,@function
_Z11rank_kernelIxLj4ELb0EL18RadixRankAlgorithm1ELj256ELj32ELj10EEvPKT_Pi: ; @_Z11rank_kernelIxLj4ELb0EL18RadixRankAlgorithm1ELj256ELj32ELj10EEvPKT_Pi
; %bb.0:
	s_load_dwordx4 s[24:27], s[4:5], 0x0
	s_lshl_b32 s28, s6, 13
	s_mov_b32 s29, 0
	s_lshl_b64 s[0:1], s[28:29], 3
	v_lshlrev_b32_e32 v61, 8, v0
	s_waitcnt lgkmcnt(0)
	s_add_u32 s0, s24, s0
	s_addc_u32 s1, s25, s1
	global_load_dwordx4 v[1:4], v61, s[0:1]
	global_load_dwordx4 v[5:8], v61, s[0:1] offset:16
	global_load_dwordx4 v[9:12], v61, s[0:1] offset:32
	;; [unrolled: 1-line block ×14, first 2 shown]
	s_nop 0
	global_load_dwordx4 v[61:64], v61, s[0:1] offset:240
	v_mbcnt_lo_u32_b32 v65, -1, 0
	v_mbcnt_hi_u32_b32 v65, -1, v65
	v_subrev_co_u32_e64 v70, s[6:7], 1, v65
	v_and_b32_e32 v71, 64, v65
	v_or_b32_e32 v66, 63, v0
	v_lshrrev_b32_e32 v67, 4, v0
	v_cmp_lt_i32_e64 s[18:19], v70, v71
	v_lshlrev_b32_e32 v73, 5, v0
	v_mul_i32_i24_e32 v68, 0xffffffe4, v0
	v_and_b32_e32 v69, 15, v65
	v_cmp_eq_u32_e64 s[2:3], v0, v66
	v_and_b32_e32 v66, 16, v65
	v_cmp_lt_u32_e64 s[4:5], 31, v65
	v_and_b32_e32 v74, 12, v67
	v_and_b32_e32 v67, 3, v65
	v_cndmask_b32_e64 v65, v70, v65, s[18:19]
	s_movk_i32 s30, 0x6ff
	s_movk_i32 s31, 0x700
	v_cmp_gt_u32_e32 vcc, 4, v0
	v_cmp_lt_u32_e64 s[0:1], 63, v0
	s_mov_b32 s33, s29
	v_add_u32_e32 v75, v73, v68
	v_cmp_eq_u32_e64 s[8:9], 0, v69
	v_cmp_lt_u32_e64 s[10:11], 1, v69
	v_cmp_lt_u32_e64 s[12:13], 3, v69
	;; [unrolled: 1-line block ×3, first 2 shown]
	v_cmp_eq_u32_e64 s[16:17], 0, v66
	v_cmp_eq_u32_e64 s[18:19], 0, v67
	v_cmp_lt_u32_e64 s[20:21], 1, v67
	v_lshlrev_b32_e32 v76, 2, v65
	v_mov_b32_e32 v80, 0
	v_lshlrev_b32_e32 v81, 2, v0
	v_or_b32_e32 v82, 0xffffff00, v0
	s_waitcnt vmcnt(15)
	v_xor_b32_e32 v2, 0x80000000, v2
	v_xor_b32_e32 v4, 0x80000000, v4
	s_waitcnt vmcnt(14)
	v_xor_b32_e32 v6, 0x80000000, v6
	v_xor_b32_e32 v8, 0x80000000, v8
	;; [unrolled: 3-line block ×16, first 2 shown]
	s_branch .LBB118_2
.LBB118_1:                              ;   in Loop: Header=BB118_2 Depth=1
	s_add_i32 s33, s33, 1
	s_cmp_eq_u32 s33, 10
	s_cbranch_scc1 .LBB118_12
.LBB118_2:                              ; =>This Loop Header: Depth=1
                                        ;     Child Loop BB118_4 Depth 2
                                        ;       Child Loop BB118_5 Depth 3
	s_mov_b32 s34, 0
	s_branch .LBB118_4
.LBB118_3:                              ;   in Loop: Header=BB118_4 Depth=2
	s_or_b64 exec, exec, s[22:23]
	s_waitcnt lgkmcnt(0)
	v_add_u32_e32 v68, v144, v68
	ds_bpermute_b32 v68, v76, v68
	ds_read_b32 v145, v80 offset:8204
	s_add_i32 s22, s34, 4
	s_cmp_lt_u32 s34, 60
	s_mov_b32 s34, s22
	s_waitcnt lgkmcnt(1)
	v_cndmask_b32_e64 v68, v68, v144, s[6:7]
	s_waitcnt lgkmcnt(0)
	v_lshl_add_u32 v68, v145, 16, v68
	v_add_u32_e32 v69, v68, v69
	v_add_u32_e32 v70, v69, v70
	v_add_u32_e32 v71, v70, v71
	v_add_u32_e32 v144, v71, v72
	v_add_u32_e32 v145, v144, v65
	v_add_u32_e32 v65, v145, v66
	v_add_u32_e32 v66, v65, v67
	ds_write2_b64 v73, v[68:69], v[70:71] offset1:1
	ds_write2_b64 v73, v[144:145], v[65:66] offset0:2 offset1:3
	s_waitcnt lgkmcnt(0)
	s_barrier
	s_cbranch_scc0 .LBB118_1
.LBB118_4:                              ;   Parent Loop BB118_2 Depth=1
                                        ; =>  This Loop Header: Depth=2
                                        ;       Child Loop BB118_5 Depth 3
	s_mov_b64 s[24:25], 0
	v_mov_b32_e32 v65, v82
	v_mov_b32_e32 v66, v81
.LBB118_5:                              ;   Parent Loop BB118_2 Depth=1
                                        ;     Parent Loop BB118_4 Depth=2
                                        ; =>    This Inner Loop Header: Depth=3
	v_add_u32_e32 v65, 0x100, v65
	v_cmp_lt_u32_e64 s[22:23], s30, v65
	ds_write_b32 v66, v80
	s_or_b64 s[24:25], s[22:23], s[24:25]
	v_add_u32_e32 v66, 0x400, v66
	s_andn2_b64 exec, exec, s[24:25]
	s_cbranch_execnz .LBB118_5
; %bb.6:                                ;   in Loop: Header=BB118_4 Depth=2
	s_or_b64 exec, exec, s[24:25]
	s_sub_i32 s22, 60, s34
	v_lshlrev_b64 v[65:66], s22, v[1:2]
	v_lshrrev_b32_e32 v65, 20, v66
	v_lshrrev_b32_e32 v66, 30, v66
	v_and_or_b32 v65, v65, s31, v0
	v_and_b32_e32 v66, 2, v66
	v_lshl_or_b32 v83, v65, 2, v66
	ds_read_u16 v77, v83
	v_lshlrev_b64 v[65:66], s22, v[3:4]
	v_lshrrev_b32_e32 v65, 20, v66
	v_lshrrev_b32_e32 v66, 30, v66
	v_and_or_b32 v65, v65, s31, v0
	s_waitcnt lgkmcnt(0)
	v_add_u16_e32 v67, 1, v77
	v_and_b32_e32 v66, 2, v66
	ds_write_b16 v83, v67
	v_lshl_or_b32 v85, v65, 2, v66
	ds_read_u16 v78, v85
	v_lshlrev_b64 v[65:66], s22, v[5:6]
	s_waitcnt lgkmcnt(0)
	v_add_u16_e32 v65, 1, v78
	ds_write_b16 v85, v65
	v_lshrrev_b32_e32 v65, 20, v66
	v_lshrrev_b32_e32 v66, 30, v66
	v_and_or_b32 v65, v65, s31, v0
	v_and_b32_e32 v66, 2, v66
	v_lshl_or_b32 v87, v65, 2, v66
	ds_read_u16 v79, v87
	v_lshlrev_b64 v[65:66], s22, v[7:8]
	v_lshrrev_b32_e32 v65, 20, v66
	v_lshrrev_b32_e32 v66, 30, v66
	s_waitcnt lgkmcnt(0)
	v_add_u16_e32 v67, 1, v79
	v_and_or_b32 v65, v65, s31, v0
	v_and_b32_e32 v66, 2, v66
	ds_write_b16 v87, v67
	v_lshl_or_b32 v89, v65, 2, v66
	ds_read_u16 v84, v89
	v_lshlrev_b64 v[65:66], s22, v[9:10]
	v_lshrrev_b32_e32 v65, 20, v66
	v_lshrrev_b32_e32 v66, 30, v66
	s_waitcnt lgkmcnt(0)
	v_add_u16_e32 v67, 1, v84
	v_and_or_b32 v65, v65, s31, v0
	v_and_b32_e32 v66, 2, v66
	ds_write_b16 v89, v67
	v_lshl_or_b32 v91, v65, 2, v66
	ds_read_u16 v86, v91
	v_lshlrev_b64 v[65:66], s22, v[11:12]
	v_lshrrev_b32_e32 v65, 20, v66
	v_lshrrev_b32_e32 v66, 30, v66
	s_waitcnt lgkmcnt(0)
	v_add_u16_e32 v67, 1, v86
	v_and_or_b32 v65, v65, s31, v0
	v_and_b32_e32 v66, 2, v66
	ds_write_b16 v91, v67
	v_lshl_or_b32 v93, v65, 2, v66
	ds_read_u16 v88, v93
	v_lshlrev_b64 v[65:66], s22, v[13:14]
	v_lshrrev_b32_e32 v65, 20, v66
	v_lshrrev_b32_e32 v66, 30, v66
	s_waitcnt lgkmcnt(0)
	v_add_u16_e32 v67, 1, v88
	v_and_or_b32 v65, v65, s31, v0
	v_and_b32_e32 v66, 2, v66
	ds_write_b16 v93, v67
	v_lshl_or_b32 v95, v65, 2, v66
	ds_read_u16 v90, v95
	v_lshlrev_b64 v[65:66], s22, v[15:16]
	v_lshrrev_b32_e32 v65, 20, v66
	v_lshrrev_b32_e32 v66, 30, v66
	s_waitcnt lgkmcnt(0)
	v_add_u16_e32 v67, 1, v90
	v_and_or_b32 v65, v65, s31, v0
	v_and_b32_e32 v66, 2, v66
	ds_write_b16 v95, v67
	v_lshl_or_b32 v97, v65, 2, v66
	ds_read_u16 v92, v97
	v_lshlrev_b64 v[65:66], s22, v[17:18]
	v_lshrrev_b32_e32 v65, 20, v66
	v_lshrrev_b32_e32 v66, 30, v66
	s_waitcnt lgkmcnt(0)
	v_add_u16_e32 v67, 1, v92
	v_and_or_b32 v65, v65, s31, v0
	v_and_b32_e32 v66, 2, v66
	ds_write_b16 v97, v67
	v_lshl_or_b32 v99, v65, 2, v66
	ds_read_u16 v94, v99
	v_lshlrev_b64 v[65:66], s22, v[19:20]
	v_lshrrev_b32_e32 v65, 20, v66
	v_lshrrev_b32_e32 v66, 30, v66
	s_waitcnt lgkmcnt(0)
	v_add_u16_e32 v67, 1, v94
	v_and_or_b32 v65, v65, s31, v0
	v_and_b32_e32 v66, 2, v66
	ds_write_b16 v99, v67
	v_lshl_or_b32 v101, v65, 2, v66
	ds_read_u16 v96, v101
	v_lshlrev_b64 v[65:66], s22, v[21:22]
	v_lshrrev_b32_e32 v65, 20, v66
	v_lshrrev_b32_e32 v66, 30, v66
	s_waitcnt lgkmcnt(0)
	v_add_u16_e32 v67, 1, v96
	v_and_or_b32 v65, v65, s31, v0
	v_and_b32_e32 v66, 2, v66
	ds_write_b16 v101, v67
	v_lshl_or_b32 v103, v65, 2, v66
	ds_read_u16 v98, v103
	v_lshlrev_b64 v[65:66], s22, v[23:24]
	v_lshrrev_b32_e32 v65, 20, v66
	v_lshrrev_b32_e32 v66, 30, v66
	s_waitcnt lgkmcnt(0)
	v_add_u16_e32 v67, 1, v98
	v_and_or_b32 v65, v65, s31, v0
	v_and_b32_e32 v66, 2, v66
	ds_write_b16 v103, v67
	v_lshl_or_b32 v105, v65, 2, v66
	ds_read_u16 v100, v105
	v_lshlrev_b64 v[65:66], s22, v[25:26]
	v_lshrrev_b32_e32 v65, 20, v66
	v_lshrrev_b32_e32 v66, 30, v66
	s_waitcnt lgkmcnt(0)
	v_add_u16_e32 v67, 1, v100
	v_and_or_b32 v65, v65, s31, v0
	v_and_b32_e32 v66, 2, v66
	ds_write_b16 v105, v67
	v_lshl_or_b32 v107, v65, 2, v66
	ds_read_u16 v102, v107
	v_lshlrev_b64 v[65:66], s22, v[27:28]
	v_lshrrev_b32_e32 v65, 20, v66
	v_lshrrev_b32_e32 v66, 30, v66
	s_waitcnt lgkmcnt(0)
	v_add_u16_e32 v67, 1, v102
	v_and_or_b32 v65, v65, s31, v0
	v_and_b32_e32 v66, 2, v66
	ds_write_b16 v107, v67
	v_lshl_or_b32 v109, v65, 2, v66
	ds_read_u16 v104, v109
	v_lshlrev_b64 v[65:66], s22, v[29:30]
	v_lshrrev_b32_e32 v65, 20, v66
	v_lshrrev_b32_e32 v66, 30, v66
	s_waitcnt lgkmcnt(0)
	v_add_u16_e32 v67, 1, v104
	v_and_or_b32 v65, v65, s31, v0
	v_and_b32_e32 v66, 2, v66
	ds_write_b16 v109, v67
	v_lshl_or_b32 v111, v65, 2, v66
	ds_read_u16 v106, v111
	v_lshlrev_b64 v[65:66], s22, v[31:32]
	v_lshrrev_b32_e32 v65, 20, v66
	v_lshrrev_b32_e32 v66, 30, v66
	s_waitcnt lgkmcnt(0)
	v_add_u16_e32 v67, 1, v106
	v_and_or_b32 v65, v65, s31, v0
	v_and_b32_e32 v66, 2, v66
	ds_write_b16 v111, v67
	v_lshl_or_b32 v113, v65, 2, v66
	ds_read_u16 v108, v113
	v_lshlrev_b64 v[65:66], s22, v[33:34]
	v_lshrrev_b32_e32 v65, 20, v66
	v_lshrrev_b32_e32 v66, 30, v66
	s_waitcnt lgkmcnt(0)
	v_add_u16_e32 v67, 1, v108
	v_and_or_b32 v65, v65, s31, v0
	v_and_b32_e32 v66, 2, v66
	ds_write_b16 v113, v67
	v_lshl_or_b32 v115, v65, 2, v66
	ds_read_u16 v110, v115
	v_lshlrev_b64 v[65:66], s22, v[35:36]
	v_lshrrev_b32_e32 v65, 20, v66
	v_lshrrev_b32_e32 v66, 30, v66
	s_waitcnt lgkmcnt(0)
	v_add_u16_e32 v67, 1, v110
	v_and_or_b32 v65, v65, s31, v0
	v_and_b32_e32 v66, 2, v66
	ds_write_b16 v115, v67
	v_lshl_or_b32 v117, v65, 2, v66
	ds_read_u16 v112, v117
	v_lshlrev_b64 v[65:66], s22, v[37:38]
	v_lshrrev_b32_e32 v65, 20, v66
	v_lshrrev_b32_e32 v66, 30, v66
	s_waitcnt lgkmcnt(0)
	v_add_u16_e32 v67, 1, v112
	v_and_or_b32 v65, v65, s31, v0
	v_and_b32_e32 v66, 2, v66
	ds_write_b16 v117, v67
	v_lshl_or_b32 v119, v65, 2, v66
	ds_read_u16 v114, v119
	v_lshlrev_b64 v[65:66], s22, v[39:40]
	v_lshrrev_b32_e32 v65, 20, v66
	v_lshrrev_b32_e32 v66, 30, v66
	s_waitcnt lgkmcnt(0)
	v_add_u16_e32 v67, 1, v114
	v_and_or_b32 v65, v65, s31, v0
	v_and_b32_e32 v66, 2, v66
	ds_write_b16 v119, v67
	v_lshl_or_b32 v121, v65, 2, v66
	ds_read_u16 v116, v121
	v_lshlrev_b64 v[65:66], s22, v[41:42]
	v_lshrrev_b32_e32 v65, 20, v66
	v_lshrrev_b32_e32 v66, 30, v66
	s_waitcnt lgkmcnt(0)
	v_add_u16_e32 v67, 1, v116
	v_and_or_b32 v65, v65, s31, v0
	v_and_b32_e32 v66, 2, v66
	ds_write_b16 v121, v67
	v_lshl_or_b32 v123, v65, 2, v66
	ds_read_u16 v118, v123
	v_lshlrev_b64 v[65:66], s22, v[43:44]
	v_lshrrev_b32_e32 v65, 20, v66
	v_lshrrev_b32_e32 v66, 30, v66
	s_waitcnt lgkmcnt(0)
	v_add_u16_e32 v67, 1, v118
	v_and_or_b32 v65, v65, s31, v0
	v_and_b32_e32 v66, 2, v66
	ds_write_b16 v123, v67
	v_lshl_or_b32 v125, v65, 2, v66
	ds_read_u16 v120, v125
	v_lshlrev_b64 v[65:66], s22, v[45:46]
	v_lshrrev_b32_e32 v65, 20, v66
	v_lshrrev_b32_e32 v66, 30, v66
	s_waitcnt lgkmcnt(0)
	v_add_u16_e32 v67, 1, v120
	v_and_or_b32 v65, v65, s31, v0
	v_and_b32_e32 v66, 2, v66
	ds_write_b16 v125, v67
	v_lshl_or_b32 v127, v65, 2, v66
	ds_read_u16 v122, v127
	v_lshlrev_b64 v[65:66], s22, v[47:48]
	v_lshrrev_b32_e32 v65, 20, v66
	v_lshrrev_b32_e32 v66, 30, v66
	s_waitcnt lgkmcnt(0)
	v_add_u16_e32 v67, 1, v122
	v_and_or_b32 v65, v65, s31, v0
	v_and_b32_e32 v66, 2, v66
	ds_write_b16 v127, v67
	v_lshl_or_b32 v129, v65, 2, v66
	ds_read_u16 v124, v129
	v_lshlrev_b64 v[65:66], s22, v[49:50]
	v_lshrrev_b32_e32 v65, 20, v66
	v_lshrrev_b32_e32 v66, 30, v66
	s_waitcnt lgkmcnt(0)
	v_add_u16_e32 v67, 1, v124
	v_and_or_b32 v65, v65, s31, v0
	v_and_b32_e32 v66, 2, v66
	ds_write_b16 v129, v67
	v_lshl_or_b32 v131, v65, 2, v66
	ds_read_u16 v126, v131
	v_lshlrev_b64 v[65:66], s22, v[51:52]
	v_lshrrev_b32_e32 v65, 20, v66
	v_lshrrev_b32_e32 v66, 30, v66
	s_waitcnt lgkmcnt(0)
	v_add_u16_e32 v67, 1, v126
	v_and_or_b32 v65, v65, s31, v0
	v_and_b32_e32 v66, 2, v66
	ds_write_b16 v131, v67
	v_lshl_or_b32 v133, v65, 2, v66
	ds_read_u16 v128, v133
	v_lshlrev_b64 v[65:66], s22, v[53:54]
	v_lshrrev_b32_e32 v65, 20, v66
	v_lshrrev_b32_e32 v66, 30, v66
	s_waitcnt lgkmcnt(0)
	v_add_u16_e32 v67, 1, v128
	v_and_or_b32 v65, v65, s31, v0
	v_and_b32_e32 v66, 2, v66
	ds_write_b16 v133, v67
	v_lshl_or_b32 v135, v65, 2, v66
	ds_read_u16 v130, v135
	v_lshlrev_b64 v[65:66], s22, v[55:56]
	v_lshrrev_b32_e32 v65, 20, v66
	v_lshrrev_b32_e32 v66, 30, v66
	s_waitcnt lgkmcnt(0)
	v_add_u16_e32 v67, 1, v130
	v_and_or_b32 v65, v65, s31, v0
	v_and_b32_e32 v66, 2, v66
	ds_write_b16 v135, v67
	v_lshl_or_b32 v137, v65, 2, v66
	ds_read_u16 v132, v137
	v_lshlrev_b64 v[65:66], s22, v[57:58]
	v_lshrrev_b32_e32 v65, 20, v66
	v_lshrrev_b32_e32 v66, 30, v66
	s_waitcnt lgkmcnt(0)
	v_add_u16_e32 v67, 1, v132
	v_and_or_b32 v65, v65, s31, v0
	v_and_b32_e32 v66, 2, v66
	ds_write_b16 v137, v67
	v_lshl_or_b32 v139, v65, 2, v66
	ds_read_u16 v134, v139
	v_lshlrev_b64 v[65:66], s22, v[59:60]
	v_lshrrev_b32_e32 v65, 20, v66
	v_lshrrev_b32_e32 v66, 30, v66
	s_waitcnt lgkmcnt(0)
	v_add_u16_e32 v67, 1, v134
	v_and_or_b32 v65, v65, s31, v0
	v_and_b32_e32 v66, 2, v66
	ds_write_b16 v139, v67
	v_lshl_or_b32 v141, v65, 2, v66
	ds_read_u16 v136, v141
	v_lshlrev_b64 v[65:66], s22, v[61:62]
	v_lshrrev_b32_e32 v65, 20, v66
	v_lshrrev_b32_e32 v66, 30, v66
	s_waitcnt lgkmcnt(0)
	v_add_u16_e32 v67, 1, v136
	v_and_or_b32 v65, v65, s31, v0
	v_and_b32_e32 v66, 2, v66
	ds_write_b16 v141, v67
	v_lshl_or_b32 v142, v65, 2, v66
	ds_read_u16 v138, v142
	v_lshlrev_b64 v[65:66], s22, v[63:64]
	v_lshrrev_b32_e32 v65, 20, v66
	v_lshrrev_b32_e32 v66, 30, v66
	s_waitcnt lgkmcnt(0)
	v_add_u16_e32 v67, 1, v138
	v_and_or_b32 v65, v65, s31, v0
	v_and_b32_e32 v66, 2, v66
	ds_write_b16 v142, v67
	v_lshl_or_b32 v143, v65, 2, v66
	ds_read_u16 v140, v143
	s_waitcnt lgkmcnt(0)
	v_add_u16_e32 v65, 1, v140
	ds_write_b16 v143, v65
	s_waitcnt lgkmcnt(0)
	s_barrier
	ds_read2_b64 v[69:72], v73 offset1:1
	ds_read2_b64 v[65:68], v73 offset0:2 offset1:3
	s_waitcnt lgkmcnt(1)
	v_add_u32_e32 v144, v70, v69
	v_add3_u32 v144, v144, v71, v72
	s_waitcnt lgkmcnt(0)
	v_add3_u32 v144, v144, v65, v66
	v_add3_u32 v68, v144, v67, v68
	s_nop 1
	v_mov_b32_dpp v144, v68 row_shr:1 row_mask:0xf bank_mask:0xf
	v_cndmask_b32_e64 v144, v144, 0, s[8:9]
	v_add_u32_e32 v68, v144, v68
	s_nop 1
	v_mov_b32_dpp v144, v68 row_shr:2 row_mask:0xf bank_mask:0xf
	v_cndmask_b32_e64 v144, 0, v144, s[10:11]
	v_add_u32_e32 v68, v68, v144
	;; [unrolled: 4-line block ×4, first 2 shown]
	s_nop 1
	v_mov_b32_dpp v144, v68 row_bcast:15 row_mask:0xf bank_mask:0xf
	v_cndmask_b32_e64 v144, v144, 0, s[16:17]
	v_add_u32_e32 v68, v68, v144
	s_nop 1
	v_mov_b32_dpp v144, v68 row_bcast:31 row_mask:0xf bank_mask:0xf
	v_cndmask_b32_e64 v144, 0, v144, s[4:5]
	v_add_u32_e32 v68, v68, v144
	s_and_saveexec_b64 s[22:23], s[2:3]
; %bb.7:                                ;   in Loop: Header=BB118_4 Depth=2
	ds_write_b32 v74, v68 offset:8192
; %bb.8:                                ;   in Loop: Header=BB118_4 Depth=2
	s_or_b64 exec, exec, s[22:23]
	s_waitcnt lgkmcnt(0)
	s_barrier
	s_and_saveexec_b64 s[22:23], vcc
	s_cbranch_execz .LBB118_10
; %bb.9:                                ;   in Loop: Header=BB118_4 Depth=2
	ds_read_b32 v144, v75 offset:8192
	s_waitcnt lgkmcnt(0)
	s_nop 0
	v_mov_b32_dpp v145, v144 row_shr:1 row_mask:0xf bank_mask:0xf
	v_cndmask_b32_e64 v145, v145, 0, s[18:19]
	v_add_u32_e32 v144, v145, v144
	s_nop 1
	v_mov_b32_dpp v145, v144 row_shr:2 row_mask:0xf bank_mask:0xf
	v_cndmask_b32_e64 v145, 0, v145, s[20:21]
	v_add_u32_e32 v144, v144, v145
	ds_write_b32 v75, v144 offset:8192
.LBB118_10:                             ;   in Loop: Header=BB118_4 Depth=2
	s_or_b64 exec, exec, s[22:23]
	v_mov_b32_e32 v144, 0
	s_waitcnt lgkmcnt(0)
	s_barrier
	s_and_saveexec_b64 s[22:23], s[0:1]
	s_cbranch_execz .LBB118_3
; %bb.11:                               ;   in Loop: Header=BB118_4 Depth=2
	ds_read_b32 v144, v74 offset:8188
	s_branch .LBB118_3
.LBB118_12:
	ds_read_u16 v0, v143
	ds_read_u16 v1, v142
	;; [unrolled: 1-line block ×32, first 2 shown]
	s_lshl_b64 s[0:1], s[28:29], 2
	s_add_u32 s0, s26, s0
	s_waitcnt lgkmcnt(14)
	v_add_u32_sdwa v3, v0, v140 dst_sel:DWORD dst_unused:UNUSED_PAD src0_sel:DWORD src1_sel:WORD_0
	v_add_u32_sdwa v2, v1, v138 dst_sel:DWORD dst_unused:UNUSED_PAD src0_sel:DWORD src1_sel:WORD_0
	;; [unrolled: 1-line block ×15, first 2 shown]
	s_waitcnt lgkmcnt(13)
	v_add_u32_sdwa v17, v21, v104 dst_sel:DWORD dst_unused:UNUSED_PAD src0_sel:DWORD src1_sel:WORD_0
	s_waitcnt lgkmcnt(12)
	v_add_u32_sdwa v16, v22, v102 dst_sel:DWORD dst_unused:UNUSED_PAD src0_sel:DWORD src1_sel:WORD_0
	;; [unrolled: 2-line block ×12, first 2 shown]
	s_addc_u32 s1, s27, s1
	v_lshlrev_b32_e32 v32, 2, v73
	v_add_u32_sdwa v11, v11, v124 dst_sel:DWORD dst_unused:UNUSED_PAD src0_sel:DWORD src1_sel:WORD_0
	v_add_u32_sdwa v15, v15, v116 dst_sel:DWORD dst_unused:UNUSED_PAD src0_sel:DWORD src1_sel:WORD_0
	v_add_u32_sdwa v19, v19, v108 dst_sel:DWORD dst_unused:UNUSED_PAD src0_sel:DWORD src1_sel:WORD_0
	v_add_u32_sdwa v23, v23, v100 dst_sel:DWORD dst_unused:UNUSED_PAD src0_sel:DWORD src1_sel:WORD_0
	v_add_u32_sdwa v27, v27, v92 dst_sel:DWORD dst_unused:UNUSED_PAD src0_sel:DWORD src1_sel:WORD_0
	global_store_dwordx4 v32, v[28:31], s[0:1]
	global_store_dwordx4 v32, v[24:27], s[0:1] offset:16
	global_store_dwordx4 v32, v[20:23], s[0:1] offset:32
	;; [unrolled: 1-line block ×7, first 2 shown]
	s_endpgm
	.section	.rodata,"a",@progbits
	.p2align	6, 0x0
	.amdhsa_kernel _Z11rank_kernelIxLj4ELb0EL18RadixRankAlgorithm1ELj256ELj32ELj10EEvPKT_Pi
		.amdhsa_group_segment_fixed_size 8208
		.amdhsa_private_segment_fixed_size 0
		.amdhsa_kernarg_size 16
		.amdhsa_user_sgpr_count 6
		.amdhsa_user_sgpr_private_segment_buffer 1
		.amdhsa_user_sgpr_dispatch_ptr 0
		.amdhsa_user_sgpr_queue_ptr 0
		.amdhsa_user_sgpr_kernarg_segment_ptr 1
		.amdhsa_user_sgpr_dispatch_id 0
		.amdhsa_user_sgpr_flat_scratch_init 0
		.amdhsa_user_sgpr_private_segment_size 0
		.amdhsa_uses_dynamic_stack 0
		.amdhsa_system_sgpr_private_segment_wavefront_offset 0
		.amdhsa_system_sgpr_workgroup_id_x 1
		.amdhsa_system_sgpr_workgroup_id_y 0
		.amdhsa_system_sgpr_workgroup_id_z 0
		.amdhsa_system_sgpr_workgroup_info 0
		.amdhsa_system_vgpr_workitem_id 0
		.amdhsa_next_free_vgpr 146
		.amdhsa_next_free_sgpr 77
		.amdhsa_reserve_vcc 1
		.amdhsa_reserve_flat_scratch 0
		.amdhsa_float_round_mode_32 0
		.amdhsa_float_round_mode_16_64 0
		.amdhsa_float_denorm_mode_32 3
		.amdhsa_float_denorm_mode_16_64 3
		.amdhsa_dx10_clamp 1
		.amdhsa_ieee_mode 1
		.amdhsa_fp16_overflow 0
		.amdhsa_exception_fp_ieee_invalid_op 0
		.amdhsa_exception_fp_denorm_src 0
		.amdhsa_exception_fp_ieee_div_zero 0
		.amdhsa_exception_fp_ieee_overflow 0
		.amdhsa_exception_fp_ieee_underflow 0
		.amdhsa_exception_fp_ieee_inexact 0
		.amdhsa_exception_int_div_zero 0
	.end_amdhsa_kernel
	.section	.text._Z11rank_kernelIxLj4ELb0EL18RadixRankAlgorithm1ELj256ELj32ELj10EEvPKT_Pi,"axG",@progbits,_Z11rank_kernelIxLj4ELb0EL18RadixRankAlgorithm1ELj256ELj32ELj10EEvPKT_Pi,comdat
.Lfunc_end118:
	.size	_Z11rank_kernelIxLj4ELb0EL18RadixRankAlgorithm1ELj256ELj32ELj10EEvPKT_Pi, .Lfunc_end118-_Z11rank_kernelIxLj4ELb0EL18RadixRankAlgorithm1ELj256ELj32ELj10EEvPKT_Pi
                                        ; -- End function
	.set _Z11rank_kernelIxLj4ELb0EL18RadixRankAlgorithm1ELj256ELj32ELj10EEvPKT_Pi.num_vgpr, 146
	.set _Z11rank_kernelIxLj4ELb0EL18RadixRankAlgorithm1ELj256ELj32ELj10EEvPKT_Pi.num_agpr, 0
	.set _Z11rank_kernelIxLj4ELb0EL18RadixRankAlgorithm1ELj256ELj32ELj10EEvPKT_Pi.numbered_sgpr, 35
	.set _Z11rank_kernelIxLj4ELb0EL18RadixRankAlgorithm1ELj256ELj32ELj10EEvPKT_Pi.num_named_barrier, 0
	.set _Z11rank_kernelIxLj4ELb0EL18RadixRankAlgorithm1ELj256ELj32ELj10EEvPKT_Pi.private_seg_size, 0
	.set _Z11rank_kernelIxLj4ELb0EL18RadixRankAlgorithm1ELj256ELj32ELj10EEvPKT_Pi.uses_vcc, 1
	.set _Z11rank_kernelIxLj4ELb0EL18RadixRankAlgorithm1ELj256ELj32ELj10EEvPKT_Pi.uses_flat_scratch, 0
	.set _Z11rank_kernelIxLj4ELb0EL18RadixRankAlgorithm1ELj256ELj32ELj10EEvPKT_Pi.has_dyn_sized_stack, 0
	.set _Z11rank_kernelIxLj4ELb0EL18RadixRankAlgorithm1ELj256ELj32ELj10EEvPKT_Pi.has_recursion, 0
	.set _Z11rank_kernelIxLj4ELb0EL18RadixRankAlgorithm1ELj256ELj32ELj10EEvPKT_Pi.has_indirect_call, 0
	.section	.AMDGPU.csdata,"",@progbits
; Kernel info:
; codeLenInByte = 3804
; TotalNumSgprs: 39
; NumVgprs: 146
; ScratchSize: 0
; MemoryBound: 1
; FloatMode: 240
; IeeeMode: 1
; LDSByteSize: 8208 bytes/workgroup (compile time only)
; SGPRBlocks: 10
; VGPRBlocks: 36
; NumSGPRsForWavesPerEU: 81
; NumVGPRsForWavesPerEU: 146
; Occupancy: 1
; WaveLimiterHint : 0
; COMPUTE_PGM_RSRC2:SCRATCH_EN: 0
; COMPUTE_PGM_RSRC2:USER_SGPR: 6
; COMPUTE_PGM_RSRC2:TRAP_HANDLER: 0
; COMPUTE_PGM_RSRC2:TGID_X_EN: 1
; COMPUTE_PGM_RSRC2:TGID_Y_EN: 0
; COMPUTE_PGM_RSRC2:TGID_Z_EN: 0
; COMPUTE_PGM_RSRC2:TIDIG_COMP_CNT: 0
	.section	.text._Z11rank_kernelIxLj4ELb0EL18RadixRankAlgorithm2ELj256ELj32ELj10EEvPKT_Pi,"axG",@progbits,_Z11rank_kernelIxLj4ELb0EL18RadixRankAlgorithm2ELj256ELj32ELj10EEvPKT_Pi,comdat
	.protected	_Z11rank_kernelIxLj4ELb0EL18RadixRankAlgorithm2ELj256ELj32ELj10EEvPKT_Pi ; -- Begin function _Z11rank_kernelIxLj4ELb0EL18RadixRankAlgorithm2ELj256ELj32ELj10EEvPKT_Pi
	.globl	_Z11rank_kernelIxLj4ELb0EL18RadixRankAlgorithm2ELj256ELj32ELj10EEvPKT_Pi
	.p2align	8
	.type	_Z11rank_kernelIxLj4ELb0EL18RadixRankAlgorithm2ELj256ELj32ELj10EEvPKT_Pi,@function
_Z11rank_kernelIxLj4ELb0EL18RadixRankAlgorithm2ELj256ELj32ELj10EEvPKT_Pi: ; @_Z11rank_kernelIxLj4ELb0EL18RadixRankAlgorithm2ELj256ELj32ELj10EEvPKT_Pi
; %bb.0:
	s_load_dwordx4 s[24:27], s[4:5], 0x0
	s_load_dword s18, s[4:5], 0x1c
	s_lshl_b32 s28, s6, 13
	s_mov_b32 s29, 0
	s_lshl_b64 s[0:1], s[28:29], 3
	s_waitcnt lgkmcnt(0)
	s_add_u32 s0, s24, s0
	s_addc_u32 s1, s25, s1
	v_lshlrev_b32_e32 v63, 8, v0
	global_load_dwordx4 v[3:6], v63, s[0:1]
	global_load_dwordx4 v[7:10], v63, s[0:1] offset:16
	global_load_dwordx4 v[11:14], v63, s[0:1] offset:32
	;; [unrolled: 1-line block ×14, first 2 shown]
	s_nop 0
	global_load_dwordx4 v[63:66], v63, s[0:1] offset:240
	s_lshr_b32 s19, s18, 16
	v_or_b32_e32 v69, 63, v0
	s_and_b32 s18, s18, 0xffff
	v_mad_u32_u24 v1, v2, s19, v1
	v_mbcnt_lo_u32_b32 v68, -1, 0
	v_lshlrev_b32_e32 v67, 5, v0
	v_lshlrev_b32_e32 v72, 2, v0
	v_cmp_gt_u32_e32 vcc, 4, v0
	v_cmp_lt_u32_e64 s[0:1], 63, v0
	v_lshrrev_b32_e32 v70, 4, v0
	v_cmp_eq_u32_e64 s[2:3], v0, v69
	v_mad_u64_u32 v[0:1], s[18:19], v1, s18, v[0:1]
	v_mbcnt_hi_u32_b32 v68, -1, v68
	v_subrev_co_u32_e64 v69, s[4:5], 1, v68
	v_and_b32_e32 v74, 64, v68
	v_cmp_lt_i32_e64 s[18:19], v69, v74
	v_and_b32_e32 v71, 15, v68
	v_and_b32_e32 v73, 16, v68
	;; [unrolled: 1-line block ×3, first 2 shown]
	v_cndmask_b32_e64 v1, v69, v68, s[18:19]
	v_lshrrev_b32_e32 v0, 4, v0
	v_and_b32_e32 v76, 12, v70
	v_cmp_lt_u32_e64 s[6:7], 31, v68
	v_cmp_eq_u32_e64 s[8:9], 0, v71
	v_cmp_lt_u32_e64 s[10:11], 1, v71
	v_cmp_lt_u32_e64 s[12:13], 3, v71
	;; [unrolled: 1-line block ×3, first 2 shown]
	v_cmp_eq_u32_e64 s[16:17], 0, v73
	v_cmp_eq_u32_e64 s[18:19], 0, v75
	v_cmp_lt_u32_e64 s[20:21], 1, v75
	v_lshlrev_b32_e32 v75, 2, v1
	v_and_b32_e32 v68, 0xffffffc, v0
	s_mov_b32 s33, s29
	v_add_u32_e32 v77, -4, v76
	v_mov_b32_e32 v0, 0
	s_waitcnt vmcnt(15)
	v_xor_b32_e32 v4, 0x80000000, v4
	v_xor_b32_e32 v6, 0x80000000, v6
	s_waitcnt vmcnt(14)
	v_xor_b32_e32 v8, 0x80000000, v8
	v_xor_b32_e32 v10, 0x80000000, v10
	;; [unrolled: 3-line block ×16, first 2 shown]
	s_branch .LBB119_2
.LBB119_1:                              ;   in Loop: Header=BB119_2 Depth=1
	s_add_i32 s33, s33, 1
	s_cmp_eq_u32 s33, 10
	s_cbranch_scc1 .LBB119_74
.LBB119_2:                              ; =>This Loop Header: Depth=1
                                        ;     Child Loop BB119_4 Depth 2
	s_mov_b64 s[30:31], 60
	s_mov_b32 s34, -4
	s_branch .LBB119_4
.LBB119_3:                              ;   in Loop: Header=BB119_4 Depth=2
	s_or_b64 exec, exec, s[22:23]
	s_waitcnt lgkmcnt(0)
	v_add_u32_e32 v1, v2, v1
	ds_bpermute_b32 v1, v75, v1
	s_add_i32 s34, s34, 4
	s_add_u32 s30, s30, -4
	s_addc_u32 s31, s31, -1
	s_cmp_lt_u32 s34, 60
	s_waitcnt lgkmcnt(0)
	v_cndmask_b32_e64 v1, v1, v2, s[4:5]
	ds_write_b32 v72, v1 offset:16
	s_waitcnt lgkmcnt(0)
	s_barrier
	s_cbranch_scc0 .LBB119_1
.LBB119_4:                              ;   Parent Loop BB119_2 Depth=1
                                        ; =>  This Inner Loop Header: Depth=2
	v_lshlrev_b64 v[70:71], s30, v[3:4]
	ds_write_b32 v72, v0 offset:16
	v_bfe_u32 v1, v71, 28, 1
	v_add_co_u32_e64 v73, s[22:23], -1, v1
	v_addc_co_u32_e64 v74, s[22:23], 0, -1, s[22:23]
	v_cmp_ne_u32_e64 s[22:23], 0, v1
	v_lshrrev_b32_e32 v2, 28, v71
	v_xor_b32_e32 v1, s23, v74
	v_and_b32_e32 v74, exec_hi, v1
	v_lshlrev_b32_e32 v1, 30, v2
	v_xor_b32_e32 v73, s22, v73
	v_cmp_gt_i64_e64 s[22:23], 0, v[0:1]
	v_not_b32_e32 v1, v1
	v_ashrrev_i32_e32 v1, 31, v1
	v_and_b32_e32 v73, exec_lo, v73
	v_xor_b32_e32 v78, s23, v1
	v_xor_b32_e32 v1, s22, v1
	v_and_b32_e32 v73, v73, v1
	v_lshlrev_b32_e32 v1, 29, v2
	v_cmp_gt_i64_e64 s[22:23], 0, v[0:1]
	v_not_b32_e32 v1, v1
	v_ashrrev_i32_e32 v1, 31, v1
	v_mul_u32_u24_e32 v69, 20, v2
	v_xor_b32_e32 v2, s23, v1
	v_xor_b32_e32 v1, s22, v1
	v_cmp_gt_i64_e64 s[22:23], 0, v[70:71]
	v_not_b32_e32 v70, v71
	v_ashrrev_i32_e32 v70, 31, v70
	v_and_b32_e32 v74, v74, v78
	v_and_b32_e32 v1, v73, v1
	v_xor_b32_e32 v71, s23, v70
	v_xor_b32_e32 v70, s22, v70
	v_and_b32_e32 v2, v74, v2
	v_and_b32_e32 v1, v1, v70
	;; [unrolled: 1-line block ×3, first 2 shown]
	v_mbcnt_lo_u32_b32 v70, v1, 0
	v_mbcnt_hi_u32_b32 v70, v2, v70
	v_cmp_ne_u64_e64 s[22:23], 0, v[1:2]
	v_cmp_eq_u32_e64 s[24:25], 0, v70
	s_and_b64 s[24:25], s[22:23], s[24:25]
	s_waitcnt lgkmcnt(0)
	s_barrier
	; wave barrier
	s_and_saveexec_b64 s[22:23], s[24:25]
; %bb.5:                                ;   in Loop: Header=BB119_4 Depth=2
	v_bcnt_u32_b32 v1, v1, 0
	v_bcnt_u32_b32 v1, v2, v1
	v_add_u32_e32 v2, v68, v69
	ds_write_b32 v2, v1 offset:16
; %bb.6:                                ;   in Loop: Header=BB119_4 Depth=2
	s_or_b64 exec, exec, s[22:23]
	v_lshlrev_b64 v[78:79], s30, v[5:6]
	v_lshrrev_b32_e32 v2, 28, v79
	v_mad_u32_u24 v1, v2, 20, v68
	; wave barrier
	ds_read_b32 v71, v1 offset:16
	v_bfe_u32 v1, v79, 28, 1
	v_add_co_u32_e64 v74, s[22:23], -1, v1
	v_addc_co_u32_e64 v80, s[22:23], 0, -1, s[22:23]
	v_cmp_ne_u32_e64 s[22:23], 0, v1
	v_xor_b32_e32 v1, s23, v80
	v_and_b32_e32 v80, exec_hi, v1
	v_lshlrev_b32_e32 v1, 30, v2
	v_xor_b32_e32 v74, s22, v74
	v_cmp_gt_i64_e64 s[22:23], 0, v[0:1]
	v_not_b32_e32 v1, v1
	v_ashrrev_i32_e32 v1, 31, v1
	v_and_b32_e32 v74, exec_lo, v74
	v_xor_b32_e32 v81, s23, v1
	v_xor_b32_e32 v1, s22, v1
	v_and_b32_e32 v74, v74, v1
	v_lshlrev_b32_e32 v1, 29, v2
	v_cmp_gt_i64_e64 s[22:23], 0, v[0:1]
	v_not_b32_e32 v1, v1
	v_ashrrev_i32_e32 v1, 31, v1
	v_mul_u32_u24_e32 v73, 20, v2
	v_xor_b32_e32 v2, s23, v1
	v_xor_b32_e32 v1, s22, v1
	v_and_b32_e32 v1, v74, v1
	v_cmp_gt_i64_e64 s[22:23], 0, v[78:79]
	v_not_b32_e32 v74, v79
	v_ashrrev_i32_e32 v74, 31, v74
	v_and_b32_e32 v80, v80, v81
	v_xor_b32_e32 v78, s23, v74
	v_xor_b32_e32 v74, s22, v74
	v_and_b32_e32 v2, v80, v2
	v_and_b32_e32 v1, v1, v74
	;; [unrolled: 1-line block ×3, first 2 shown]
	v_mbcnt_lo_u32_b32 v74, v1, 0
	v_mbcnt_hi_u32_b32 v74, v2, v74
	v_cmp_ne_u64_e64 s[22:23], 0, v[1:2]
	v_cmp_eq_u32_e64 s[24:25], 0, v74
	s_and_b64 s[24:25], s[22:23], s[24:25]
	; wave barrier
	s_and_saveexec_b64 s[22:23], s[24:25]
	s_cbranch_execz .LBB119_8
; %bb.7:                                ;   in Loop: Header=BB119_4 Depth=2
	v_bcnt_u32_b32 v1, v1, 0
	v_bcnt_u32_b32 v1, v2, v1
	s_waitcnt lgkmcnt(0)
	v_add_u32_e32 v1, v71, v1
	v_add_u32_e32 v2, v68, v73
	ds_write_b32 v2, v1 offset:16
.LBB119_8:                              ;   in Loop: Header=BB119_4 Depth=2
	s_or_b64 exec, exec, s[22:23]
	v_lshlrev_b64 v[80:81], s30, v[7:8]
	v_lshrrev_b32_e32 v2, 28, v81
	v_mad_u32_u24 v1, v2, 20, v68
	; wave barrier
	ds_read_b32 v78, v1 offset:16
	v_bfe_u32 v1, v81, 28, 1
	v_add_co_u32_e64 v82, s[22:23], -1, v1
	v_addc_co_u32_e64 v83, s[22:23], 0, -1, s[22:23]
	v_cmp_ne_u32_e64 s[22:23], 0, v1
	v_xor_b32_e32 v1, s23, v83
	v_and_b32_e32 v83, exec_hi, v1
	v_lshlrev_b32_e32 v1, 30, v2
	v_xor_b32_e32 v82, s22, v82
	v_cmp_gt_i64_e64 s[22:23], 0, v[0:1]
	v_not_b32_e32 v1, v1
	v_ashrrev_i32_e32 v1, 31, v1
	v_and_b32_e32 v82, exec_lo, v82
	v_xor_b32_e32 v84, s23, v1
	v_xor_b32_e32 v1, s22, v1
	v_and_b32_e32 v82, v82, v1
	v_lshlrev_b32_e32 v1, 29, v2
	v_cmp_gt_i64_e64 s[22:23], 0, v[0:1]
	v_not_b32_e32 v1, v1
	v_ashrrev_i32_e32 v1, 31, v1
	v_mul_u32_u24_e32 v79, 20, v2
	v_xor_b32_e32 v2, s23, v1
	v_xor_b32_e32 v1, s22, v1
	v_cmp_gt_i64_e64 s[22:23], 0, v[80:81]
	v_not_b32_e32 v80, v81
	v_ashrrev_i32_e32 v80, 31, v80
	v_and_b32_e32 v83, v83, v84
	v_and_b32_e32 v1, v82, v1
	v_xor_b32_e32 v81, s23, v80
	v_xor_b32_e32 v80, s22, v80
	v_and_b32_e32 v2, v83, v2
	v_and_b32_e32 v1, v1, v80
	;; [unrolled: 1-line block ×3, first 2 shown]
	v_mbcnt_lo_u32_b32 v80, v1, 0
	v_mbcnt_hi_u32_b32 v80, v2, v80
	v_cmp_ne_u64_e64 s[22:23], 0, v[1:2]
	v_cmp_eq_u32_e64 s[24:25], 0, v80
	s_and_b64 s[24:25], s[22:23], s[24:25]
	; wave barrier
	s_and_saveexec_b64 s[22:23], s[24:25]
	s_cbranch_execz .LBB119_10
; %bb.9:                                ;   in Loop: Header=BB119_4 Depth=2
	v_bcnt_u32_b32 v1, v1, 0
	v_bcnt_u32_b32 v1, v2, v1
	s_waitcnt lgkmcnt(0)
	v_add_u32_e32 v1, v78, v1
	v_add_u32_e32 v2, v68, v79
	ds_write_b32 v2, v1 offset:16
.LBB119_10:                             ;   in Loop: Header=BB119_4 Depth=2
	s_or_b64 exec, exec, s[22:23]
	v_lshlrev_b64 v[83:84], s30, v[9:10]
	v_lshrrev_b32_e32 v2, 28, v84
	v_mad_u32_u24 v1, v2, 20, v68
	; wave barrier
	ds_read_b32 v81, v1 offset:16
	v_bfe_u32 v1, v84, 28, 1
	v_add_co_u32_e64 v85, s[22:23], -1, v1
	v_addc_co_u32_e64 v86, s[22:23], 0, -1, s[22:23]
	v_cmp_ne_u32_e64 s[22:23], 0, v1
	v_xor_b32_e32 v1, s23, v86
	v_and_b32_e32 v86, exec_hi, v1
	v_lshlrev_b32_e32 v1, 30, v2
	v_xor_b32_e32 v85, s22, v85
	v_cmp_gt_i64_e64 s[22:23], 0, v[0:1]
	v_not_b32_e32 v1, v1
	v_ashrrev_i32_e32 v1, 31, v1
	v_and_b32_e32 v85, exec_lo, v85
	v_xor_b32_e32 v87, s23, v1
	v_xor_b32_e32 v1, s22, v1
	v_and_b32_e32 v85, v85, v1
	v_lshlrev_b32_e32 v1, 29, v2
	v_cmp_gt_i64_e64 s[22:23], 0, v[0:1]
	v_not_b32_e32 v1, v1
	v_ashrrev_i32_e32 v1, 31, v1
	v_mul_u32_u24_e32 v82, 20, v2
	v_xor_b32_e32 v2, s23, v1
	v_xor_b32_e32 v1, s22, v1
	v_cmp_gt_i64_e64 s[22:23], 0, v[83:84]
	v_not_b32_e32 v83, v84
	v_ashrrev_i32_e32 v83, 31, v83
	v_and_b32_e32 v86, v86, v87
	v_and_b32_e32 v1, v85, v1
	v_xor_b32_e32 v84, s23, v83
	v_xor_b32_e32 v83, s22, v83
	v_and_b32_e32 v2, v86, v2
	v_and_b32_e32 v1, v1, v83
	v_and_b32_e32 v2, v2, v84
	v_mbcnt_lo_u32_b32 v83, v1, 0
	v_mbcnt_hi_u32_b32 v83, v2, v83
	v_cmp_ne_u64_e64 s[22:23], 0, v[1:2]
	v_cmp_eq_u32_e64 s[24:25], 0, v83
	s_and_b64 s[24:25], s[22:23], s[24:25]
	; wave barrier
	s_and_saveexec_b64 s[22:23], s[24:25]
	s_cbranch_execz .LBB119_12
; %bb.11:                               ;   in Loop: Header=BB119_4 Depth=2
	v_bcnt_u32_b32 v1, v1, 0
	v_bcnt_u32_b32 v1, v2, v1
	s_waitcnt lgkmcnt(0)
	v_add_u32_e32 v1, v81, v1
	v_add_u32_e32 v2, v68, v82
	ds_write_b32 v2, v1 offset:16
.LBB119_12:                             ;   in Loop: Header=BB119_4 Depth=2
	s_or_b64 exec, exec, s[22:23]
	v_lshlrev_b64 v[86:87], s30, v[11:12]
	v_lshrrev_b32_e32 v2, 28, v87
	v_mad_u32_u24 v1, v2, 20, v68
	; wave barrier
	ds_read_b32 v84, v1 offset:16
	v_bfe_u32 v1, v87, 28, 1
	v_add_co_u32_e64 v88, s[22:23], -1, v1
	v_addc_co_u32_e64 v89, s[22:23], 0, -1, s[22:23]
	v_cmp_ne_u32_e64 s[22:23], 0, v1
	v_xor_b32_e32 v1, s23, v89
	v_and_b32_e32 v89, exec_hi, v1
	v_lshlrev_b32_e32 v1, 30, v2
	v_xor_b32_e32 v88, s22, v88
	v_cmp_gt_i64_e64 s[22:23], 0, v[0:1]
	v_not_b32_e32 v1, v1
	v_ashrrev_i32_e32 v1, 31, v1
	v_and_b32_e32 v88, exec_lo, v88
	v_xor_b32_e32 v90, s23, v1
	v_xor_b32_e32 v1, s22, v1
	v_and_b32_e32 v88, v88, v1
	v_lshlrev_b32_e32 v1, 29, v2
	v_cmp_gt_i64_e64 s[22:23], 0, v[0:1]
	v_not_b32_e32 v1, v1
	v_ashrrev_i32_e32 v1, 31, v1
	v_mul_u32_u24_e32 v85, 20, v2
	v_xor_b32_e32 v2, s23, v1
	v_xor_b32_e32 v1, s22, v1
	v_cmp_gt_i64_e64 s[22:23], 0, v[86:87]
	v_not_b32_e32 v86, v87
	v_ashrrev_i32_e32 v86, 31, v86
	v_and_b32_e32 v89, v89, v90
	v_and_b32_e32 v1, v88, v1
	v_xor_b32_e32 v87, s23, v86
	v_xor_b32_e32 v86, s22, v86
	v_and_b32_e32 v2, v89, v2
	v_and_b32_e32 v1, v1, v86
	v_and_b32_e32 v2, v2, v87
	v_mbcnt_lo_u32_b32 v86, v1, 0
	v_mbcnt_hi_u32_b32 v86, v2, v86
	v_cmp_ne_u64_e64 s[22:23], 0, v[1:2]
	v_cmp_eq_u32_e64 s[24:25], 0, v86
	s_and_b64 s[24:25], s[22:23], s[24:25]
	; wave barrier
	s_and_saveexec_b64 s[22:23], s[24:25]
	s_cbranch_execz .LBB119_14
; %bb.13:                               ;   in Loop: Header=BB119_4 Depth=2
	v_bcnt_u32_b32 v1, v1, 0
	v_bcnt_u32_b32 v1, v2, v1
	s_waitcnt lgkmcnt(0)
	v_add_u32_e32 v1, v84, v1
	v_add_u32_e32 v2, v68, v85
	ds_write_b32 v2, v1 offset:16
.LBB119_14:                             ;   in Loop: Header=BB119_4 Depth=2
	;; [unrolled: 54-line block ×13, first 2 shown]
	s_or_b64 exec, exec, s[22:23]
	v_lshlrev_b64 v[123:124], s30, v[35:36]
	v_lshrrev_b32_e32 v2, 28, v124
	v_mad_u32_u24 v1, v2, 20, v68
	; wave barrier
	ds_read_b32 v120, v1 offset:16
	v_bfe_u32 v1, v124, 28, 1
	v_add_co_u32_e64 v121, s[22:23], -1, v1
	v_addc_co_u32_e64 v125, s[22:23], 0, -1, s[22:23]
	v_cmp_ne_u32_e64 s[22:23], 0, v1
	v_xor_b32_e32 v1, s23, v125
	v_and_b32_e32 v125, exec_hi, v1
	v_lshlrev_b32_e32 v1, 30, v2
	v_xor_b32_e32 v121, s22, v121
	v_cmp_gt_i64_e64 s[22:23], 0, v[0:1]
	v_not_b32_e32 v1, v1
	v_ashrrev_i32_e32 v1, 31, v1
	v_and_b32_e32 v121, exec_lo, v121
	v_xor_b32_e32 v126, s23, v1
	v_xor_b32_e32 v1, s22, v1
	v_and_b32_e32 v121, v121, v1
	v_lshlrev_b32_e32 v1, 29, v2
	v_cmp_gt_i64_e64 s[22:23], 0, v[0:1]
	v_not_b32_e32 v1, v1
	v_ashrrev_i32_e32 v1, 31, v1
	v_mul_u32_u24_e32 v122, 20, v2
	v_xor_b32_e32 v2, s23, v1
	v_xor_b32_e32 v1, s22, v1
	v_and_b32_e32 v1, v121, v1
	v_cmp_gt_i64_e64 s[22:23], 0, v[123:124]
	v_not_b32_e32 v121, v124
	v_ashrrev_i32_e32 v121, 31, v121
	v_and_b32_e32 v125, v125, v126
	v_xor_b32_e32 v123, s23, v121
	v_xor_b32_e32 v121, s22, v121
	v_and_b32_e32 v2, v125, v2
	v_and_b32_e32 v1, v1, v121
	v_and_b32_e32 v2, v2, v123
	v_mbcnt_lo_u32_b32 v121, v1, 0
	v_mbcnt_hi_u32_b32 v121, v2, v121
	v_cmp_ne_u64_e64 s[22:23], 0, v[1:2]
	v_cmp_eq_u32_e64 s[24:25], 0, v121
	s_and_b64 s[24:25], s[22:23], s[24:25]
	; wave barrier
	s_and_saveexec_b64 s[22:23], s[24:25]
	s_cbranch_execz .LBB119_38
; %bb.37:                               ;   in Loop: Header=BB119_4 Depth=2
	v_bcnt_u32_b32 v1, v1, 0
	v_bcnt_u32_b32 v1, v2, v1
	s_waitcnt lgkmcnt(0)
	v_add_u32_e32 v1, v120, v1
	v_add_u32_e32 v2, v68, v122
	ds_write_b32 v2, v1 offset:16
.LBB119_38:                             ;   in Loop: Header=BB119_4 Depth=2
	s_or_b64 exec, exec, s[22:23]
	v_lshlrev_b64 v[126:127], s30, v[37:38]
	v_lshrrev_b32_e32 v2, 28, v127
	v_mad_u32_u24 v1, v2, 20, v68
	; wave barrier
	ds_read_b32 v123, v1 offset:16
	v_bfe_u32 v1, v127, 28, 1
	v_add_co_u32_e64 v124, s[22:23], -1, v1
	v_addc_co_u32_e64 v128, s[22:23], 0, -1, s[22:23]
	v_cmp_ne_u32_e64 s[22:23], 0, v1
	v_xor_b32_e32 v1, s23, v128
	v_and_b32_e32 v128, exec_hi, v1
	v_lshlrev_b32_e32 v1, 30, v2
	v_xor_b32_e32 v124, s22, v124
	v_cmp_gt_i64_e64 s[22:23], 0, v[0:1]
	v_not_b32_e32 v1, v1
	v_ashrrev_i32_e32 v1, 31, v1
	v_and_b32_e32 v124, exec_lo, v124
	v_xor_b32_e32 v129, s23, v1
	v_xor_b32_e32 v1, s22, v1
	v_and_b32_e32 v124, v124, v1
	v_lshlrev_b32_e32 v1, 29, v2
	v_cmp_gt_i64_e64 s[22:23], 0, v[0:1]
	v_not_b32_e32 v1, v1
	v_ashrrev_i32_e32 v1, 31, v1
	v_mul_u32_u24_e32 v125, 20, v2
	v_xor_b32_e32 v2, s23, v1
	v_xor_b32_e32 v1, s22, v1
	v_and_b32_e32 v1, v124, v1
	v_cmp_gt_i64_e64 s[22:23], 0, v[126:127]
	v_not_b32_e32 v124, v127
	v_ashrrev_i32_e32 v124, 31, v124
	v_and_b32_e32 v128, v128, v129
	v_xor_b32_e32 v126, s23, v124
	v_xor_b32_e32 v124, s22, v124
	v_and_b32_e32 v2, v128, v2
	v_and_b32_e32 v1, v1, v124
	v_and_b32_e32 v2, v2, v126
	v_mbcnt_lo_u32_b32 v124, v1, 0
	v_mbcnt_hi_u32_b32 v124, v2, v124
	v_cmp_ne_u64_e64 s[22:23], 0, v[1:2]
	v_cmp_eq_u32_e64 s[24:25], 0, v124
	s_and_b64 s[24:25], s[22:23], s[24:25]
	; wave barrier
	s_and_saveexec_b64 s[22:23], s[24:25]
	s_cbranch_execz .LBB119_40
; %bb.39:                               ;   in Loop: Header=BB119_4 Depth=2
	v_bcnt_u32_b32 v1, v1, 0
	v_bcnt_u32_b32 v1, v2, v1
	s_waitcnt lgkmcnt(0)
	v_add_u32_e32 v1, v123, v1
	v_add_u32_e32 v2, v68, v125
	ds_write_b32 v2, v1 offset:16
.LBB119_40:                             ;   in Loop: Header=BB119_4 Depth=2
	s_or_b64 exec, exec, s[22:23]
	v_lshlrev_b64 v[129:130], s30, v[39:40]
	v_lshrrev_b32_e32 v2, 28, v130
	v_mad_u32_u24 v1, v2, 20, v68
	; wave barrier
	ds_read_b32 v126, v1 offset:16
	v_bfe_u32 v1, v130, 28, 1
	v_add_co_u32_e64 v127, s[22:23], -1, v1
	v_addc_co_u32_e64 v131, s[22:23], 0, -1, s[22:23]
	v_cmp_ne_u32_e64 s[22:23], 0, v1
	v_xor_b32_e32 v1, s23, v131
	v_and_b32_e32 v131, exec_hi, v1
	v_lshlrev_b32_e32 v1, 30, v2
	v_xor_b32_e32 v127, s22, v127
	v_cmp_gt_i64_e64 s[22:23], 0, v[0:1]
	v_not_b32_e32 v1, v1
	v_ashrrev_i32_e32 v1, 31, v1
	v_and_b32_e32 v127, exec_lo, v127
	v_xor_b32_e32 v132, s23, v1
	v_xor_b32_e32 v1, s22, v1
	v_and_b32_e32 v127, v127, v1
	v_lshlrev_b32_e32 v1, 29, v2
	v_cmp_gt_i64_e64 s[22:23], 0, v[0:1]
	v_not_b32_e32 v1, v1
	v_ashrrev_i32_e32 v1, 31, v1
	v_mul_u32_u24_e32 v128, 20, v2
	v_xor_b32_e32 v2, s23, v1
	v_xor_b32_e32 v1, s22, v1
	v_and_b32_e32 v1, v127, v1
	v_cmp_gt_i64_e64 s[22:23], 0, v[129:130]
	v_not_b32_e32 v127, v130
	v_ashrrev_i32_e32 v127, 31, v127
	v_and_b32_e32 v131, v131, v132
	v_xor_b32_e32 v129, s23, v127
	v_xor_b32_e32 v127, s22, v127
	v_and_b32_e32 v2, v131, v2
	v_and_b32_e32 v1, v1, v127
	v_and_b32_e32 v2, v2, v129
	v_mbcnt_lo_u32_b32 v127, v1, 0
	v_mbcnt_hi_u32_b32 v127, v2, v127
	v_cmp_ne_u64_e64 s[22:23], 0, v[1:2]
	v_cmp_eq_u32_e64 s[24:25], 0, v127
	s_and_b64 s[24:25], s[22:23], s[24:25]
	; wave barrier
	s_and_saveexec_b64 s[22:23], s[24:25]
	s_cbranch_execz .LBB119_42
; %bb.41:                               ;   in Loop: Header=BB119_4 Depth=2
	v_bcnt_u32_b32 v1, v1, 0
	v_bcnt_u32_b32 v1, v2, v1
	s_waitcnt lgkmcnt(0)
	v_add_u32_e32 v1, v126, v1
	v_add_u32_e32 v2, v68, v128
	ds_write_b32 v2, v1 offset:16
.LBB119_42:                             ;   in Loop: Header=BB119_4 Depth=2
	s_or_b64 exec, exec, s[22:23]
	v_lshlrev_b64 v[132:133], s30, v[41:42]
	v_lshrrev_b32_e32 v2, 28, v133
	v_mad_u32_u24 v1, v2, 20, v68
	; wave barrier
	ds_read_b32 v129, v1 offset:16
	v_bfe_u32 v1, v133, 28, 1
	v_add_co_u32_e64 v130, s[22:23], -1, v1
	v_addc_co_u32_e64 v134, s[22:23], 0, -1, s[22:23]
	v_cmp_ne_u32_e64 s[22:23], 0, v1
	v_xor_b32_e32 v1, s23, v134
	v_and_b32_e32 v134, exec_hi, v1
	v_lshlrev_b32_e32 v1, 30, v2
	v_xor_b32_e32 v130, s22, v130
	v_cmp_gt_i64_e64 s[22:23], 0, v[0:1]
	v_not_b32_e32 v1, v1
	v_ashrrev_i32_e32 v1, 31, v1
	v_and_b32_e32 v130, exec_lo, v130
	v_xor_b32_e32 v135, s23, v1
	v_xor_b32_e32 v1, s22, v1
	v_and_b32_e32 v130, v130, v1
	v_lshlrev_b32_e32 v1, 29, v2
	v_cmp_gt_i64_e64 s[22:23], 0, v[0:1]
	v_not_b32_e32 v1, v1
	v_ashrrev_i32_e32 v1, 31, v1
	v_mul_u32_u24_e32 v131, 20, v2
	v_xor_b32_e32 v2, s23, v1
	v_xor_b32_e32 v1, s22, v1
	v_and_b32_e32 v1, v130, v1
	v_cmp_gt_i64_e64 s[22:23], 0, v[132:133]
	v_not_b32_e32 v130, v133
	v_ashrrev_i32_e32 v130, 31, v130
	v_and_b32_e32 v134, v134, v135
	v_xor_b32_e32 v132, s23, v130
	v_xor_b32_e32 v130, s22, v130
	v_and_b32_e32 v2, v134, v2
	v_and_b32_e32 v1, v1, v130
	v_and_b32_e32 v2, v2, v132
	v_mbcnt_lo_u32_b32 v130, v1, 0
	v_mbcnt_hi_u32_b32 v130, v2, v130
	v_cmp_ne_u64_e64 s[22:23], 0, v[1:2]
	v_cmp_eq_u32_e64 s[24:25], 0, v130
	s_and_b64 s[24:25], s[22:23], s[24:25]
	; wave barrier
	s_and_saveexec_b64 s[22:23], s[24:25]
	s_cbranch_execz .LBB119_44
; %bb.43:                               ;   in Loop: Header=BB119_4 Depth=2
	v_bcnt_u32_b32 v1, v1, 0
	v_bcnt_u32_b32 v1, v2, v1
	s_waitcnt lgkmcnt(0)
	v_add_u32_e32 v1, v129, v1
	v_add_u32_e32 v2, v68, v131
	ds_write_b32 v2, v1 offset:16
.LBB119_44:                             ;   in Loop: Header=BB119_4 Depth=2
	s_or_b64 exec, exec, s[22:23]
	v_lshlrev_b64 v[135:136], s30, v[43:44]
	v_lshrrev_b32_e32 v2, 28, v136
	v_mad_u32_u24 v1, v2, 20, v68
	; wave barrier
	ds_read_b32 v132, v1 offset:16
	v_bfe_u32 v1, v136, 28, 1
	v_add_co_u32_e64 v133, s[22:23], -1, v1
	v_addc_co_u32_e64 v137, s[22:23], 0, -1, s[22:23]
	v_cmp_ne_u32_e64 s[22:23], 0, v1
	v_xor_b32_e32 v1, s23, v137
	v_and_b32_e32 v137, exec_hi, v1
	v_lshlrev_b32_e32 v1, 30, v2
	v_xor_b32_e32 v133, s22, v133
	v_cmp_gt_i64_e64 s[22:23], 0, v[0:1]
	v_not_b32_e32 v1, v1
	v_ashrrev_i32_e32 v1, 31, v1
	v_and_b32_e32 v133, exec_lo, v133
	v_xor_b32_e32 v138, s23, v1
	v_xor_b32_e32 v1, s22, v1
	v_and_b32_e32 v133, v133, v1
	v_lshlrev_b32_e32 v1, 29, v2
	v_cmp_gt_i64_e64 s[22:23], 0, v[0:1]
	v_not_b32_e32 v1, v1
	v_ashrrev_i32_e32 v1, 31, v1
	v_mul_u32_u24_e32 v134, 20, v2
	v_xor_b32_e32 v2, s23, v1
	v_xor_b32_e32 v1, s22, v1
	v_and_b32_e32 v1, v133, v1
	v_cmp_gt_i64_e64 s[22:23], 0, v[135:136]
	v_not_b32_e32 v133, v136
	v_ashrrev_i32_e32 v133, 31, v133
	v_and_b32_e32 v137, v137, v138
	v_xor_b32_e32 v135, s23, v133
	v_xor_b32_e32 v133, s22, v133
	v_and_b32_e32 v2, v137, v2
	v_and_b32_e32 v1, v1, v133
	v_and_b32_e32 v2, v2, v135
	v_mbcnt_lo_u32_b32 v133, v1, 0
	v_mbcnt_hi_u32_b32 v133, v2, v133
	v_cmp_ne_u64_e64 s[22:23], 0, v[1:2]
	v_cmp_eq_u32_e64 s[24:25], 0, v133
	s_and_b64 s[24:25], s[22:23], s[24:25]
	; wave barrier
	s_and_saveexec_b64 s[22:23], s[24:25]
	s_cbranch_execz .LBB119_46
; %bb.45:                               ;   in Loop: Header=BB119_4 Depth=2
	v_bcnt_u32_b32 v1, v1, 0
	v_bcnt_u32_b32 v1, v2, v1
	s_waitcnt lgkmcnt(0)
	v_add_u32_e32 v1, v132, v1
	v_add_u32_e32 v2, v68, v134
	ds_write_b32 v2, v1 offset:16
.LBB119_46:                             ;   in Loop: Header=BB119_4 Depth=2
	s_or_b64 exec, exec, s[22:23]
	v_lshlrev_b64 v[138:139], s30, v[45:46]
	v_lshrrev_b32_e32 v2, 28, v139
	v_mad_u32_u24 v1, v2, 20, v68
	; wave barrier
	ds_read_b32 v135, v1 offset:16
	v_bfe_u32 v1, v139, 28, 1
	v_add_co_u32_e64 v136, s[22:23], -1, v1
	v_addc_co_u32_e64 v140, s[22:23], 0, -1, s[22:23]
	v_cmp_ne_u32_e64 s[22:23], 0, v1
	v_xor_b32_e32 v1, s23, v140
	v_and_b32_e32 v140, exec_hi, v1
	v_lshlrev_b32_e32 v1, 30, v2
	v_xor_b32_e32 v136, s22, v136
	v_cmp_gt_i64_e64 s[22:23], 0, v[0:1]
	v_not_b32_e32 v1, v1
	v_ashrrev_i32_e32 v1, 31, v1
	v_and_b32_e32 v136, exec_lo, v136
	v_xor_b32_e32 v141, s23, v1
	v_xor_b32_e32 v1, s22, v1
	v_and_b32_e32 v136, v136, v1
	v_lshlrev_b32_e32 v1, 29, v2
	v_cmp_gt_i64_e64 s[22:23], 0, v[0:1]
	v_not_b32_e32 v1, v1
	v_ashrrev_i32_e32 v1, 31, v1
	v_mul_u32_u24_e32 v137, 20, v2
	v_xor_b32_e32 v2, s23, v1
	v_xor_b32_e32 v1, s22, v1
	v_and_b32_e32 v1, v136, v1
	v_cmp_gt_i64_e64 s[22:23], 0, v[138:139]
	v_not_b32_e32 v136, v139
	v_ashrrev_i32_e32 v136, 31, v136
	v_and_b32_e32 v140, v140, v141
	v_xor_b32_e32 v138, s23, v136
	v_xor_b32_e32 v136, s22, v136
	v_and_b32_e32 v2, v140, v2
	v_and_b32_e32 v1, v1, v136
	v_and_b32_e32 v2, v2, v138
	v_mbcnt_lo_u32_b32 v136, v1, 0
	v_mbcnt_hi_u32_b32 v136, v2, v136
	v_cmp_ne_u64_e64 s[22:23], 0, v[1:2]
	v_cmp_eq_u32_e64 s[24:25], 0, v136
	s_and_b64 s[24:25], s[22:23], s[24:25]
	; wave barrier
	s_and_saveexec_b64 s[22:23], s[24:25]
	s_cbranch_execz .LBB119_48
; %bb.47:                               ;   in Loop: Header=BB119_4 Depth=2
	v_bcnt_u32_b32 v1, v1, 0
	v_bcnt_u32_b32 v1, v2, v1
	s_waitcnt lgkmcnt(0)
	v_add_u32_e32 v1, v135, v1
	v_add_u32_e32 v2, v68, v137
	ds_write_b32 v2, v1 offset:16
.LBB119_48:                             ;   in Loop: Header=BB119_4 Depth=2
	s_or_b64 exec, exec, s[22:23]
	v_lshlrev_b64 v[140:141], s30, v[47:48]
	v_lshrrev_b32_e32 v2, 28, v141
	v_mad_u32_u24 v1, v2, 20, v68
	; wave barrier
	ds_read_b32 v138, v1 offset:16
	v_bfe_u32 v1, v141, 28, 1
	v_add_co_u32_e64 v142, s[22:23], -1, v1
	v_addc_co_u32_e64 v143, s[22:23], 0, -1, s[22:23]
	v_cmp_ne_u32_e64 s[22:23], 0, v1
	v_xor_b32_e32 v1, s23, v143
	v_and_b32_e32 v143, exec_hi, v1
	v_lshlrev_b32_e32 v1, 30, v2
	v_xor_b32_e32 v142, s22, v142
	v_cmp_gt_i64_e64 s[22:23], 0, v[0:1]
	v_not_b32_e32 v1, v1
	v_ashrrev_i32_e32 v1, 31, v1
	v_and_b32_e32 v142, exec_lo, v142
	v_xor_b32_e32 v144, s23, v1
	v_xor_b32_e32 v1, s22, v1
	v_and_b32_e32 v142, v142, v1
	v_lshlrev_b32_e32 v1, 29, v2
	v_cmp_gt_i64_e64 s[22:23], 0, v[0:1]
	v_not_b32_e32 v1, v1
	v_ashrrev_i32_e32 v1, 31, v1
	v_mul_u32_u24_e32 v139, 20, v2
	v_xor_b32_e32 v2, s23, v1
	v_xor_b32_e32 v1, s22, v1
	v_cmp_gt_i64_e64 s[22:23], 0, v[140:141]
	v_not_b32_e32 v140, v141
	v_ashrrev_i32_e32 v140, 31, v140
	v_and_b32_e32 v143, v143, v144
	v_and_b32_e32 v1, v142, v1
	v_xor_b32_e32 v141, s23, v140
	v_xor_b32_e32 v140, s22, v140
	v_and_b32_e32 v2, v143, v2
	v_and_b32_e32 v1, v1, v140
	;; [unrolled: 1-line block ×3, first 2 shown]
	v_mbcnt_lo_u32_b32 v140, v1, 0
	v_mbcnt_hi_u32_b32 v140, v2, v140
	v_cmp_ne_u64_e64 s[22:23], 0, v[1:2]
	v_cmp_eq_u32_e64 s[24:25], 0, v140
	s_and_b64 s[24:25], s[22:23], s[24:25]
	; wave barrier
	s_and_saveexec_b64 s[22:23], s[24:25]
	s_cbranch_execz .LBB119_50
; %bb.49:                               ;   in Loop: Header=BB119_4 Depth=2
	v_bcnt_u32_b32 v1, v1, 0
	v_bcnt_u32_b32 v1, v2, v1
	s_waitcnt lgkmcnt(0)
	v_add_u32_e32 v1, v138, v1
	v_add_u32_e32 v2, v68, v139
	ds_write_b32 v2, v1 offset:16
.LBB119_50:                             ;   in Loop: Header=BB119_4 Depth=2
	s_or_b64 exec, exec, s[22:23]
	v_lshlrev_b64 v[143:144], s30, v[49:50]
	v_lshrrev_b32_e32 v2, 28, v144
	v_mad_u32_u24 v1, v2, 20, v68
	; wave barrier
	ds_read_b32 v141, v1 offset:16
	v_bfe_u32 v1, v144, 28, 1
	v_add_co_u32_e64 v145, s[22:23], -1, v1
	v_addc_co_u32_e64 v146, s[22:23], 0, -1, s[22:23]
	v_cmp_ne_u32_e64 s[22:23], 0, v1
	v_xor_b32_e32 v1, s23, v146
	v_and_b32_e32 v146, exec_hi, v1
	v_lshlrev_b32_e32 v1, 30, v2
	v_xor_b32_e32 v145, s22, v145
	v_cmp_gt_i64_e64 s[22:23], 0, v[0:1]
	v_not_b32_e32 v1, v1
	v_ashrrev_i32_e32 v1, 31, v1
	v_and_b32_e32 v145, exec_lo, v145
	v_xor_b32_e32 v147, s23, v1
	v_xor_b32_e32 v1, s22, v1
	v_and_b32_e32 v145, v145, v1
	v_lshlrev_b32_e32 v1, 29, v2
	v_cmp_gt_i64_e64 s[22:23], 0, v[0:1]
	v_not_b32_e32 v1, v1
	v_ashrrev_i32_e32 v1, 31, v1
	v_mul_u32_u24_e32 v142, 20, v2
	v_xor_b32_e32 v2, s23, v1
	v_xor_b32_e32 v1, s22, v1
	v_cmp_gt_i64_e64 s[22:23], 0, v[143:144]
	v_not_b32_e32 v143, v144
	v_ashrrev_i32_e32 v143, 31, v143
	v_and_b32_e32 v146, v146, v147
	v_and_b32_e32 v1, v145, v1
	v_xor_b32_e32 v144, s23, v143
	v_xor_b32_e32 v143, s22, v143
	v_and_b32_e32 v2, v146, v2
	v_and_b32_e32 v1, v1, v143
	v_and_b32_e32 v2, v2, v144
	v_mbcnt_lo_u32_b32 v143, v1, 0
	v_mbcnt_hi_u32_b32 v143, v2, v143
	v_cmp_ne_u64_e64 s[22:23], 0, v[1:2]
	v_cmp_eq_u32_e64 s[24:25], 0, v143
	s_and_b64 s[24:25], s[22:23], s[24:25]
	; wave barrier
	s_and_saveexec_b64 s[22:23], s[24:25]
	s_cbranch_execz .LBB119_52
; %bb.51:                               ;   in Loop: Header=BB119_4 Depth=2
	v_bcnt_u32_b32 v1, v1, 0
	v_bcnt_u32_b32 v1, v2, v1
	s_waitcnt lgkmcnt(0)
	v_add_u32_e32 v1, v141, v1
	v_add_u32_e32 v2, v68, v142
	ds_write_b32 v2, v1 offset:16
.LBB119_52:                             ;   in Loop: Header=BB119_4 Depth=2
	s_or_b64 exec, exec, s[22:23]
	v_lshlrev_b64 v[147:148], s30, v[51:52]
	v_lshrrev_b32_e32 v2, 28, v148
	v_mad_u32_u24 v1, v2, 20, v68
	; wave barrier
	ds_read_b32 v144, v1 offset:16
	v_bfe_u32 v1, v148, 28, 1
	v_add_co_u32_e64 v145, s[22:23], -1, v1
	v_addc_co_u32_e64 v149, s[22:23], 0, -1, s[22:23]
	v_cmp_ne_u32_e64 s[22:23], 0, v1
	v_xor_b32_e32 v1, s23, v149
	v_and_b32_e32 v149, exec_hi, v1
	v_lshlrev_b32_e32 v1, 30, v2
	v_xor_b32_e32 v145, s22, v145
	v_cmp_gt_i64_e64 s[22:23], 0, v[0:1]
	v_not_b32_e32 v1, v1
	v_ashrrev_i32_e32 v1, 31, v1
	v_and_b32_e32 v145, exec_lo, v145
	v_xor_b32_e32 v150, s23, v1
	v_xor_b32_e32 v1, s22, v1
	v_and_b32_e32 v145, v145, v1
	v_lshlrev_b32_e32 v1, 29, v2
	v_cmp_gt_i64_e64 s[22:23], 0, v[0:1]
	v_not_b32_e32 v1, v1
	v_ashrrev_i32_e32 v1, 31, v1
	v_mul_u32_u24_e32 v146, 20, v2
	v_xor_b32_e32 v2, s23, v1
	v_xor_b32_e32 v1, s22, v1
	v_and_b32_e32 v1, v145, v1
	v_cmp_gt_i64_e64 s[22:23], 0, v[147:148]
	v_not_b32_e32 v145, v148
	v_ashrrev_i32_e32 v145, 31, v145
	v_and_b32_e32 v149, v149, v150
	v_xor_b32_e32 v147, s23, v145
	v_xor_b32_e32 v145, s22, v145
	v_and_b32_e32 v2, v149, v2
	v_and_b32_e32 v1, v1, v145
	v_and_b32_e32 v2, v2, v147
	v_mbcnt_lo_u32_b32 v145, v1, 0
	v_mbcnt_hi_u32_b32 v145, v2, v145
	v_cmp_ne_u64_e64 s[22:23], 0, v[1:2]
	v_cmp_eq_u32_e64 s[24:25], 0, v145
	s_and_b64 s[24:25], s[22:23], s[24:25]
	; wave barrier
	s_and_saveexec_b64 s[22:23], s[24:25]
	s_cbranch_execz .LBB119_54
; %bb.53:                               ;   in Loop: Header=BB119_4 Depth=2
	v_bcnt_u32_b32 v1, v1, 0
	v_bcnt_u32_b32 v1, v2, v1
	s_waitcnt lgkmcnt(0)
	v_add_u32_e32 v1, v144, v1
	v_add_u32_e32 v2, v68, v146
	ds_write_b32 v2, v1 offset:16
.LBB119_54:                             ;   in Loop: Header=BB119_4 Depth=2
	s_or_b64 exec, exec, s[22:23]
	v_lshlrev_b64 v[150:151], s30, v[53:54]
	v_lshrrev_b32_e32 v2, 28, v151
	v_mad_u32_u24 v1, v2, 20, v68
	; wave barrier
	ds_read_b32 v147, v1 offset:16
	v_bfe_u32 v1, v151, 28, 1
	v_add_co_u32_e64 v148, s[22:23], -1, v1
	v_addc_co_u32_e64 v152, s[22:23], 0, -1, s[22:23]
	v_cmp_ne_u32_e64 s[22:23], 0, v1
	v_xor_b32_e32 v1, s23, v152
	v_and_b32_e32 v152, exec_hi, v1
	v_lshlrev_b32_e32 v1, 30, v2
	v_xor_b32_e32 v148, s22, v148
	v_cmp_gt_i64_e64 s[22:23], 0, v[0:1]
	v_not_b32_e32 v1, v1
	v_ashrrev_i32_e32 v1, 31, v1
	v_and_b32_e32 v148, exec_lo, v148
	v_xor_b32_e32 v153, s23, v1
	v_xor_b32_e32 v1, s22, v1
	v_and_b32_e32 v148, v148, v1
	v_lshlrev_b32_e32 v1, 29, v2
	v_cmp_gt_i64_e64 s[22:23], 0, v[0:1]
	v_not_b32_e32 v1, v1
	v_ashrrev_i32_e32 v1, 31, v1
	v_mul_u32_u24_e32 v149, 20, v2
	v_xor_b32_e32 v2, s23, v1
	v_xor_b32_e32 v1, s22, v1
	v_and_b32_e32 v1, v148, v1
	v_cmp_gt_i64_e64 s[22:23], 0, v[150:151]
	v_not_b32_e32 v148, v151
	v_ashrrev_i32_e32 v148, 31, v148
	;; [unrolled: 54-line block ×8, first 2 shown]
	v_and_b32_e32 v170, v170, v171
	v_xor_b32_e32 v168, s23, v166
	v_xor_b32_e32 v166, s22, v166
	v_and_b32_e32 v2, v170, v2
	v_and_b32_e32 v1, v1, v166
	;; [unrolled: 1-line block ×3, first 2 shown]
	v_mbcnt_lo_u32_b32 v166, v1, 0
	v_mbcnt_hi_u32_b32 v166, v2, v166
	v_cmp_ne_u64_e64 s[22:23], 0, v[1:2]
	v_cmp_eq_u32_e64 s[24:25], 0, v166
	s_and_b64 s[24:25], s[22:23], s[24:25]
	; wave barrier
	s_and_saveexec_b64 s[22:23], s[24:25]
	s_cbranch_execz .LBB119_68
; %bb.67:                               ;   in Loop: Header=BB119_4 Depth=2
	v_bcnt_u32_b32 v1, v1, 0
	v_bcnt_u32_b32 v1, v2, v1
	s_waitcnt lgkmcnt(0)
	v_add_u32_e32 v1, v165, v1
	v_add_u32_e32 v2, v68, v167
	ds_write_b32 v2, v1 offset:16
.LBB119_68:                             ;   in Loop: Header=BB119_4 Depth=2
	s_or_b64 exec, exec, s[22:23]
	; wave barrier
	s_waitcnt lgkmcnt(0)
	s_barrier
	ds_read_b32 v1, v72 offset:16
	s_waitcnt lgkmcnt(0)
	s_nop 0
	v_mov_b32_dpp v2, v1 row_shr:1 row_mask:0xf bank_mask:0xf
	v_cndmask_b32_e64 v2, v2, 0, s[8:9]
	v_add_u32_e32 v1, v2, v1
	s_nop 1
	v_mov_b32_dpp v2, v1 row_shr:2 row_mask:0xf bank_mask:0xf
	v_cndmask_b32_e64 v2, 0, v2, s[10:11]
	v_add_u32_e32 v1, v1, v2
	s_nop 1
	v_mov_b32_dpp v2, v1 row_shr:4 row_mask:0xf bank_mask:0xf
	v_cndmask_b32_e64 v2, 0, v2, s[12:13]
	v_add_u32_e32 v1, v1, v2
	s_nop 1
	v_mov_b32_dpp v2, v1 row_shr:8 row_mask:0xf bank_mask:0xf
	v_cndmask_b32_e64 v2, 0, v2, s[14:15]
	v_add_u32_e32 v1, v1, v2
	s_nop 1
	v_mov_b32_dpp v2, v1 row_bcast:15 row_mask:0xf bank_mask:0xf
	v_cndmask_b32_e64 v2, v2, 0, s[16:17]
	v_add_u32_e32 v1, v1, v2
	s_nop 1
	v_mov_b32_dpp v2, v1 row_bcast:31 row_mask:0xf bank_mask:0xf
	v_cndmask_b32_e64 v2, 0, v2, s[6:7]
	v_add_u32_e32 v1, v1, v2
	s_and_saveexec_b64 s[22:23], s[2:3]
; %bb.69:                               ;   in Loop: Header=BB119_4 Depth=2
	ds_write_b32 v76, v1
; %bb.70:                               ;   in Loop: Header=BB119_4 Depth=2
	s_or_b64 exec, exec, s[22:23]
	s_waitcnt lgkmcnt(0)
	s_barrier
	s_and_saveexec_b64 s[22:23], vcc
	s_cbranch_execz .LBB119_72
; %bb.71:                               ;   in Loop: Header=BB119_4 Depth=2
	ds_read_b32 v2, v72
	s_waitcnt lgkmcnt(0)
	s_nop 0
	v_mov_b32_dpp v168, v2 row_shr:1 row_mask:0xf bank_mask:0xf
	v_cndmask_b32_e64 v168, v168, 0, s[18:19]
	v_add_u32_e32 v2, v168, v2
	s_nop 1
	v_mov_b32_dpp v168, v2 row_shr:2 row_mask:0xf bank_mask:0xf
	v_cndmask_b32_e64 v168, 0, v168, s[20:21]
	v_add_u32_e32 v2, v2, v168
	ds_write_b32 v72, v2
.LBB119_72:                             ;   in Loop: Header=BB119_4 Depth=2
	s_or_b64 exec, exec, s[22:23]
	v_mov_b32_e32 v2, 0
	s_waitcnt lgkmcnt(0)
	s_barrier
	s_and_saveexec_b64 s[22:23], s[0:1]
	s_cbranch_execz .LBB119_3
; %bb.73:                               ;   in Loop: Header=BB119_4 Depth=2
	ds_read_b32 v2, v77
	s_branch .LBB119_3
.LBB119_74:
	v_add_u32_e32 v0, v68, v167
	v_add_u32_e32 v1, v68, v164
	;; [unrolled: 1-line block ×8, first 2 shown]
	ds_read_b32 v0, v0 offset:16
	ds_read_b32 v1, v1 offset:16
	;; [unrolled: 1-line block ×8, first 2 shown]
	s_waitcnt lgkmcnt(7)
	v_add3_u32 v3, v166, v165, v0
	s_waitcnt lgkmcnt(6)
	v_add3_u32 v2, v163, v162, v1
	;; [unrolled: 2-line block ×4, first 2 shown]
	v_add_u32_e32 v8, v68, v142
	v_add_u32_e32 v9, v68, v139
	;; [unrolled: 1-line block ×4, first 2 shown]
	s_waitcnt lgkmcnt(3)
	v_add3_u32 v7, v154, v153, v4
	s_waitcnt lgkmcnt(2)
	v_add3_u32 v6, v151, v150, v5
	;; [unrolled: 2-line block ×4, first 2 shown]
	v_add_u32_e32 v10, v68, v137
	v_add_u32_e32 v11, v68, v134
	;; [unrolled: 1-line block ×4, first 2 shown]
	ds_read_b32 v8, v8 offset:16
	ds_read_b32 v9, v9 offset:16
	;; [unrolled: 1-line block ×8, first 2 shown]
	s_waitcnt lgkmcnt(7)
	v_add3_u32 v11, v143, v141, v8
	v_add_u32_e32 v8, v68, v118
	v_add_u32_e32 v20, v68, v106
	v_add_u32_e32 v21, v68, v103
	s_waitcnt lgkmcnt(6)
	v_add3_u32 v10, v140, v138, v9
	v_add_u32_e32 v9, v68, v115
	v_add_u32_e32 v14, v68, v112
	;; [unrolled: 1-line block ×5, first 2 shown]
	ds_read_b32 v24, v8 offset:16
	ds_read_b32 v25, v9 offset:16
	;; [unrolled: 1-line block ×8, first 2 shown]
	v_add_u32_e32 v8, v68, v94
	v_add_u32_e32 v9, v68, v91
	;; [unrolled: 1-line block ×8, first 2 shown]
	ds_read_b32 v32, v8 offset:16
	ds_read_b32 v33, v9 offset:16
	;; [unrolled: 1-line block ×8, first 2 shown]
	s_lshl_b64 s[0:1], s[28:29], 2
	s_add_u32 s0, s26, s0
	s_waitcnt lgkmcnt(14)
	v_add3_u32 v9, v136, v135, v16
	s_waitcnt lgkmcnt(12)
	v_add3_u32 v16, v110, v108, v27
	s_waitcnt lgkmcnt(11)
	v_add3_u32 v23, v107, v105, v20
	s_waitcnt lgkmcnt(10)
	v_add3_u32 v22, v104, v102, v21
	s_waitcnt lgkmcnt(9)
	v_add3_u32 v21, v101, v99, v28
	s_waitcnt lgkmcnt(8)
	v_add3_u32 v20, v98, v96, v29
	s_waitcnt lgkmcnt(7)
	v_add3_u32 v27, v95, v93, v32
	s_waitcnt lgkmcnt(3)
	v_add3_u32 v31, v83, v81, v36
	s_waitcnt lgkmcnt(2)
	v_add3_u32 v30, v80, v78, v37
	s_waitcnt lgkmcnt(1)
	v_add3_u32 v29, v74, v71, v38
	s_waitcnt lgkmcnt(0)
	v_add_u32_e32 v28, v39, v70
	s_addc_u32 s1, s27, s1
	v_lshlrev_b32_e32 v32, 2, v67
	v_add3_u32 v8, v133, v132, v17
	v_add3_u32 v15, v130, v129, v12
	;; [unrolled: 1-line block ×11, first 2 shown]
	global_store_dwordx4 v32, v[28:31], s[0:1]
	global_store_dwordx4 v32, v[24:27], s[0:1] offset:16
	global_store_dwordx4 v32, v[20:23], s[0:1] offset:32
	;; [unrolled: 1-line block ×7, first 2 shown]
	s_endpgm
	.section	.rodata,"a",@progbits
	.p2align	6, 0x0
	.amdhsa_kernel _Z11rank_kernelIxLj4ELb0EL18RadixRankAlgorithm2ELj256ELj32ELj10EEvPKT_Pi
		.amdhsa_group_segment_fixed_size 1040
		.amdhsa_private_segment_fixed_size 0
		.amdhsa_kernarg_size 272
		.amdhsa_user_sgpr_count 6
		.amdhsa_user_sgpr_private_segment_buffer 1
		.amdhsa_user_sgpr_dispatch_ptr 0
		.amdhsa_user_sgpr_queue_ptr 0
		.amdhsa_user_sgpr_kernarg_segment_ptr 1
		.amdhsa_user_sgpr_dispatch_id 0
		.amdhsa_user_sgpr_flat_scratch_init 0
		.amdhsa_user_sgpr_private_segment_size 0
		.amdhsa_uses_dynamic_stack 0
		.amdhsa_system_sgpr_private_segment_wavefront_offset 0
		.amdhsa_system_sgpr_workgroup_id_x 1
		.amdhsa_system_sgpr_workgroup_id_y 0
		.amdhsa_system_sgpr_workgroup_id_z 0
		.amdhsa_system_sgpr_workgroup_info 0
		.amdhsa_system_vgpr_workitem_id 2
		.amdhsa_next_free_vgpr 172
		.amdhsa_next_free_sgpr 35
		.amdhsa_reserve_vcc 1
		.amdhsa_reserve_flat_scratch 0
		.amdhsa_float_round_mode_32 0
		.amdhsa_float_round_mode_16_64 0
		.amdhsa_float_denorm_mode_32 3
		.amdhsa_float_denorm_mode_16_64 3
		.amdhsa_dx10_clamp 1
		.amdhsa_ieee_mode 1
		.amdhsa_fp16_overflow 0
		.amdhsa_exception_fp_ieee_invalid_op 0
		.amdhsa_exception_fp_denorm_src 0
		.amdhsa_exception_fp_ieee_div_zero 0
		.amdhsa_exception_fp_ieee_overflow 0
		.amdhsa_exception_fp_ieee_underflow 0
		.amdhsa_exception_fp_ieee_inexact 0
		.amdhsa_exception_int_div_zero 0
	.end_amdhsa_kernel
	.section	.text._Z11rank_kernelIxLj4ELb0EL18RadixRankAlgorithm2ELj256ELj32ELj10EEvPKT_Pi,"axG",@progbits,_Z11rank_kernelIxLj4ELb0EL18RadixRankAlgorithm2ELj256ELj32ELj10EEvPKT_Pi,comdat
.Lfunc_end119:
	.size	_Z11rank_kernelIxLj4ELb0EL18RadixRankAlgorithm2ELj256ELj32ELj10EEvPKT_Pi, .Lfunc_end119-_Z11rank_kernelIxLj4ELb0EL18RadixRankAlgorithm2ELj256ELj32ELj10EEvPKT_Pi
                                        ; -- End function
	.set _Z11rank_kernelIxLj4ELb0EL18RadixRankAlgorithm2ELj256ELj32ELj10EEvPKT_Pi.num_vgpr, 172
	.set _Z11rank_kernelIxLj4ELb0EL18RadixRankAlgorithm2ELj256ELj32ELj10EEvPKT_Pi.num_agpr, 0
	.set _Z11rank_kernelIxLj4ELb0EL18RadixRankAlgorithm2ELj256ELj32ELj10EEvPKT_Pi.numbered_sgpr, 35
	.set _Z11rank_kernelIxLj4ELb0EL18RadixRankAlgorithm2ELj256ELj32ELj10EEvPKT_Pi.num_named_barrier, 0
	.set _Z11rank_kernelIxLj4ELb0EL18RadixRankAlgorithm2ELj256ELj32ELj10EEvPKT_Pi.private_seg_size, 0
	.set _Z11rank_kernelIxLj4ELb0EL18RadixRankAlgorithm2ELj256ELj32ELj10EEvPKT_Pi.uses_vcc, 1
	.set _Z11rank_kernelIxLj4ELb0EL18RadixRankAlgorithm2ELj256ELj32ELj10EEvPKT_Pi.uses_flat_scratch, 0
	.set _Z11rank_kernelIxLj4ELb0EL18RadixRankAlgorithm2ELj256ELj32ELj10EEvPKT_Pi.has_dyn_sized_stack, 0
	.set _Z11rank_kernelIxLj4ELb0EL18RadixRankAlgorithm2ELj256ELj32ELj10EEvPKT_Pi.has_recursion, 0
	.set _Z11rank_kernelIxLj4ELb0EL18RadixRankAlgorithm2ELj256ELj32ELj10EEvPKT_Pi.has_indirect_call, 0
	.section	.AMDGPU.csdata,"",@progbits
; Kernel info:
; codeLenInByte = 10476
; TotalNumSgprs: 39
; NumVgprs: 172
; ScratchSize: 0
; MemoryBound: 0
; FloatMode: 240
; IeeeMode: 1
; LDSByteSize: 1040 bytes/workgroup (compile time only)
; SGPRBlocks: 4
; VGPRBlocks: 42
; NumSGPRsForWavesPerEU: 39
; NumVGPRsForWavesPerEU: 172
; Occupancy: 1
; WaveLimiterHint : 0
; COMPUTE_PGM_RSRC2:SCRATCH_EN: 0
; COMPUTE_PGM_RSRC2:USER_SGPR: 6
; COMPUTE_PGM_RSRC2:TRAP_HANDLER: 0
; COMPUTE_PGM_RSRC2:TGID_X_EN: 1
; COMPUTE_PGM_RSRC2:TGID_Y_EN: 0
; COMPUTE_PGM_RSRC2:TGID_Z_EN: 0
; COMPUTE_PGM_RSRC2:TIDIG_COMP_CNT: 2
	.section	.text._Z11rank_kernelIxLj4ELb0EL18RadixRankAlgorithm0ELj512ELj1ELj10EEvPKT_Pi,"axG",@progbits,_Z11rank_kernelIxLj4ELb0EL18RadixRankAlgorithm0ELj512ELj1ELj10EEvPKT_Pi,comdat
	.protected	_Z11rank_kernelIxLj4ELb0EL18RadixRankAlgorithm0ELj512ELj1ELj10EEvPKT_Pi ; -- Begin function _Z11rank_kernelIxLj4ELb0EL18RadixRankAlgorithm0ELj512ELj1ELj10EEvPKT_Pi
	.globl	_Z11rank_kernelIxLj4ELb0EL18RadixRankAlgorithm0ELj512ELj1ELj10EEvPKT_Pi
	.p2align	8
	.type	_Z11rank_kernelIxLj4ELb0EL18RadixRankAlgorithm0ELj512ELj1ELj10EEvPKT_Pi,@function
_Z11rank_kernelIxLj4ELb0EL18RadixRankAlgorithm0ELj512ELj1ELj10EEvPKT_Pi: ; @_Z11rank_kernelIxLj4ELb0EL18RadixRankAlgorithm0ELj512ELj1ELj10EEvPKT_Pi
; %bb.0:
	s_load_dwordx4 s[24:27], s[4:5], 0x0
	s_lshl_b32 s28, s6, 9
	s_mov_b32 s29, 0
	s_lshl_b64 s[0:1], s[28:29], 3
	v_lshlrev_b32_e32 v1, 3, v0
	s_waitcnt lgkmcnt(0)
	s_add_u32 s0, s24, s0
	s_addc_u32 s1, s25, s1
	global_load_dwordx2 v[1:2], v1, s[0:1]
	v_mbcnt_lo_u32_b32 v5, -1, 0
	v_mbcnt_hi_u32_b32 v9, -1, v5
	v_subrev_co_u32_e64 v13, s[6:7], 1, v9
	v_and_b32_e32 v14, 64, v9
	v_cmp_lt_i32_e64 s[18:19], v13, v14
	v_lshlrev_b32_e32 v4, 5, v0
	v_or_b32_e32 v7, 63, v0
	v_lshrrev_b32_e32 v8, 4, v0
	v_mul_i32_i24_e32 v10, 0xffffffe4, v0
	v_and_b32_e32 v11, 15, v9
	v_and_b32_e32 v12, 16, v9
	v_cmp_lt_u32_e64 s[2:3], 31, v9
	v_and_b32_e32 v15, 7, v9
	v_cndmask_b32_e64 v9, v13, v9, s[18:19]
	v_mov_b32_e32 v3, 0
	s_movk_i32 s33, 0xdff
	s_movk_i32 s34, 0xe00
	v_cmp_gt_u32_e32 vcc, 8, v0
	v_cmp_lt_u32_e64 s[0:1], 63, v0
	v_lshlrev_b32_e32 v5, 2, v0
	v_or_b32_e32 v6, 0xfffffe00, v0
	v_cmp_eq_u32_e64 s[4:5], v0, v7
	v_and_b32_e32 v7, 28, v8
	v_add_u32_e32 v8, v4, v10
	v_cmp_eq_u32_e64 s[8:9], 0, v11
	v_cmp_lt_u32_e64 s[10:11], 1, v11
	v_cmp_lt_u32_e64 s[12:13], 3, v11
	v_cmp_lt_u32_e64 s[14:15], 7, v11
	v_cmp_eq_u32_e64 s[16:17], 0, v12
	v_cmp_eq_u32_e64 s[18:19], 0, v15
	v_cmp_lt_u32_e64 s[20:21], 1, v15
	v_cmp_lt_u32_e64 s[22:23], 3, v15
	v_lshlrev_b32_e32 v9, 2, v9
	s_mov_b32 s35, s29
	s_waitcnt vmcnt(0)
	v_xor_b32_e32 v2, 0x80000000, v2
	s_branch .LBB120_2
.LBB120_1:                              ;   in Loop: Header=BB120_2 Depth=1
	s_add_i32 s35, s35, 1
	s_cmp_eq_u32 s35, 10
	s_cbranch_scc1 .LBB120_12
.LBB120_2:                              ; =>This Loop Header: Depth=1
                                        ;     Child Loop BB120_4 Depth 2
                                        ;       Child Loop BB120_5 Depth 3
	s_mov_b32 s36, 0
	s_branch .LBB120_4
.LBB120_3:                              ;   in Loop: Header=BB120_4 Depth=2
	s_or_b64 exec, exec, s[24:25]
	s_waitcnt lgkmcnt(0)
	v_add_u32_e32 v12, v13, v12
	ds_bpermute_b32 v12, v9, v12
	ds_read_b32 v20, v3 offset:16412
	ds_read2_b64 v[14:17], v4 offset1:1
	ds_read_b64 v[18:19], v4 offset:16
	ds_read_b32 v21, v4 offset:24
	s_add_i32 s24, s36, 4
	s_cmp_lt_u32 s36, 60
	s_mov_b32 s36, s24
	s_waitcnt lgkmcnt(4)
	v_cndmask_b32_e64 v12, v12, v13, s[6:7]
	s_waitcnt lgkmcnt(3)
	v_lshl_add_u32 v12, v20, 16, v12
	s_waitcnt lgkmcnt(2)
	v_add_u32_e32 v13, v12, v14
	v_add_u32_e32 v14, v15, v13
	;; [unrolled: 1-line block ×3, first 2 shown]
	ds_write2_b64 v4, v[12:13], v[14:15] offset1:1
	v_add_u32_e32 v12, v17, v15
	s_waitcnt lgkmcnt(2)
	v_add_u32_e32 v13, v18, v12
	v_add_u32_e32 v14, v19, v13
	s_waitcnt lgkmcnt(1)
	v_add_u32_e32 v15, v21, v14
	ds_write2_b64 v4, v[12:13], v[14:15] offset0:2 offset1:3
	s_waitcnt lgkmcnt(0)
	s_barrier
	s_cbranch_scc0 .LBB120_1
.LBB120_4:                              ;   Parent Loop BB120_2 Depth=1
                                        ; =>  This Loop Header: Depth=2
                                        ;       Child Loop BB120_5 Depth 3
	s_mov_b64 s[30:31], 0
	v_mov_b32_e32 v10, v6
	v_mov_b32_e32 v11, v5
.LBB120_5:                              ;   Parent Loop BB120_2 Depth=1
                                        ;     Parent Loop BB120_4 Depth=2
                                        ; =>    This Inner Loop Header: Depth=3
	v_add_u32_e32 v10, 0x200, v10
	v_cmp_lt_u32_e64 s[24:25], s33, v10
	ds_write_b32 v11, v3
	s_or_b64 s[30:31], s[24:25], s[30:31]
	v_add_u32_e32 v11, 0x800, v11
	s_andn2_b64 exec, exec, s[30:31]
	s_cbranch_execnz .LBB120_5
; %bb.6:                                ;   in Loop: Header=BB120_4 Depth=2
	s_or_b64 exec, exec, s[30:31]
	s_sub_i32 s24, 60, s36
	v_lshlrev_b64 v[10:11], s24, v[1:2]
	v_lshrrev_b32_e32 v10, 19, v11
	v_lshrrev_b32_e32 v11, 30, v11
	v_and_or_b32 v10, v10, s34, v0
	v_and_b32_e32 v11, 2, v11
	v_lshl_or_b32 v11, v10, 2, v11
	ds_read_u16 v10, v11
	s_waitcnt lgkmcnt(0)
	v_add_u16_e32 v12, 1, v10
	ds_write_b16 v11, v12
	s_waitcnt lgkmcnt(0)
	s_barrier
	ds_read2_b64 v[12:15], v4 offset1:1
	ds_read2_b64 v[16:19], v4 offset0:2 offset1:3
	s_waitcnt lgkmcnt(1)
	v_add_u32_e32 v12, v13, v12
	v_add3_u32 v12, v12, v14, v15
	s_waitcnt lgkmcnt(0)
	v_add3_u32 v12, v12, v16, v17
	v_add3_u32 v12, v12, v18, v19
	s_nop 1
	v_mov_b32_dpp v13, v12 row_shr:1 row_mask:0xf bank_mask:0xf
	v_cndmask_b32_e64 v13, v13, 0, s[8:9]
	v_add_u32_e32 v12, v13, v12
	s_nop 1
	v_mov_b32_dpp v13, v12 row_shr:2 row_mask:0xf bank_mask:0xf
	v_cndmask_b32_e64 v13, 0, v13, s[10:11]
	v_add_u32_e32 v12, v12, v13
	;; [unrolled: 4-line block ×4, first 2 shown]
	s_nop 1
	v_mov_b32_dpp v13, v12 row_bcast:15 row_mask:0xf bank_mask:0xf
	v_cndmask_b32_e64 v13, v13, 0, s[16:17]
	v_add_u32_e32 v12, v12, v13
	s_nop 1
	v_mov_b32_dpp v13, v12 row_bcast:31 row_mask:0xf bank_mask:0xf
	v_cndmask_b32_e64 v13, 0, v13, s[2:3]
	v_add_u32_e32 v12, v12, v13
	s_and_saveexec_b64 s[24:25], s[4:5]
	s_xor_b64 s[24:25], exec, s[24:25]
; %bb.7:                                ;   in Loop: Header=BB120_4 Depth=2
	ds_write_b32 v7, v12 offset:16384
; %bb.8:                                ;   in Loop: Header=BB120_4 Depth=2
	s_or_b64 exec, exec, s[24:25]
	s_waitcnt lgkmcnt(0)
	s_barrier
	s_and_saveexec_b64 s[24:25], vcc
	s_cbranch_execz .LBB120_10
; %bb.9:                                ;   in Loop: Header=BB120_4 Depth=2
	ds_read_b32 v13, v8 offset:16384
	s_waitcnt lgkmcnt(0)
	s_nop 0
	v_mov_b32_dpp v14, v13 row_shr:1 row_mask:0xf bank_mask:0xf
	v_cndmask_b32_e64 v14, v14, 0, s[18:19]
	v_add_u32_e32 v13, v14, v13
	s_nop 1
	v_mov_b32_dpp v14, v13 row_shr:2 row_mask:0xf bank_mask:0xf
	v_cndmask_b32_e64 v14, 0, v14, s[20:21]
	v_add_u32_e32 v13, v13, v14
	;; [unrolled: 4-line block ×3, first 2 shown]
	ds_write_b32 v8, v13 offset:16384
.LBB120_10:                             ;   in Loop: Header=BB120_4 Depth=2
	s_or_b64 exec, exec, s[24:25]
	v_mov_b32_e32 v13, 0
	s_waitcnt lgkmcnt(0)
	s_barrier
	s_and_saveexec_b64 s[24:25], s[0:1]
	s_cbranch_execz .LBB120_3
; %bb.11:                               ;   in Loop: Header=BB120_4 Depth=2
	ds_read_b32 v13, v7 offset:16380
	s_branch .LBB120_3
.LBB120_12:
	ds_read_u16 v1, v11
	s_lshl_b64 s[0:1], s[28:29], 2
	s_add_u32 s0, s26, s0
	s_addc_u32 s1, s27, s1
	v_lshlrev_b32_e32 v0, 2, v0
	s_waitcnt lgkmcnt(0)
	v_add_u32_sdwa v1, v1, v10 dst_sel:DWORD dst_unused:UNUSED_PAD src0_sel:DWORD src1_sel:WORD_0
	global_store_dword v0, v1, s[0:1]
	s_endpgm
	.section	.rodata,"a",@progbits
	.p2align	6, 0x0
	.amdhsa_kernel _Z11rank_kernelIxLj4ELb0EL18RadixRankAlgorithm0ELj512ELj1ELj10EEvPKT_Pi
		.amdhsa_group_segment_fixed_size 16416
		.amdhsa_private_segment_fixed_size 0
		.amdhsa_kernarg_size 16
		.amdhsa_user_sgpr_count 6
		.amdhsa_user_sgpr_private_segment_buffer 1
		.amdhsa_user_sgpr_dispatch_ptr 0
		.amdhsa_user_sgpr_queue_ptr 0
		.amdhsa_user_sgpr_kernarg_segment_ptr 1
		.amdhsa_user_sgpr_dispatch_id 0
		.amdhsa_user_sgpr_flat_scratch_init 0
		.amdhsa_user_sgpr_private_segment_size 0
		.amdhsa_uses_dynamic_stack 0
		.amdhsa_system_sgpr_private_segment_wavefront_offset 0
		.amdhsa_system_sgpr_workgroup_id_x 1
		.amdhsa_system_sgpr_workgroup_id_y 0
		.amdhsa_system_sgpr_workgroup_id_z 0
		.amdhsa_system_sgpr_workgroup_info 0
		.amdhsa_system_vgpr_workitem_id 0
		.amdhsa_next_free_vgpr 37
		.amdhsa_next_free_sgpr 93
		.amdhsa_reserve_vcc 1
		.amdhsa_reserve_flat_scratch 0
		.amdhsa_float_round_mode_32 0
		.amdhsa_float_round_mode_16_64 0
		.amdhsa_float_denorm_mode_32 3
		.amdhsa_float_denorm_mode_16_64 3
		.amdhsa_dx10_clamp 1
		.amdhsa_ieee_mode 1
		.amdhsa_fp16_overflow 0
		.amdhsa_exception_fp_ieee_invalid_op 0
		.amdhsa_exception_fp_denorm_src 0
		.amdhsa_exception_fp_ieee_div_zero 0
		.amdhsa_exception_fp_ieee_overflow 0
		.amdhsa_exception_fp_ieee_underflow 0
		.amdhsa_exception_fp_ieee_inexact 0
		.amdhsa_exception_int_div_zero 0
	.end_amdhsa_kernel
	.section	.text._Z11rank_kernelIxLj4ELb0EL18RadixRankAlgorithm0ELj512ELj1ELj10EEvPKT_Pi,"axG",@progbits,_Z11rank_kernelIxLj4ELb0EL18RadixRankAlgorithm0ELj512ELj1ELj10EEvPKT_Pi,comdat
.Lfunc_end120:
	.size	_Z11rank_kernelIxLj4ELb0EL18RadixRankAlgorithm0ELj512ELj1ELj10EEvPKT_Pi, .Lfunc_end120-_Z11rank_kernelIxLj4ELb0EL18RadixRankAlgorithm0ELj512ELj1ELj10EEvPKT_Pi
                                        ; -- End function
	.set _Z11rank_kernelIxLj4ELb0EL18RadixRankAlgorithm0ELj512ELj1ELj10EEvPKT_Pi.num_vgpr, 22
	.set _Z11rank_kernelIxLj4ELb0EL18RadixRankAlgorithm0ELj512ELj1ELj10EEvPKT_Pi.num_agpr, 0
	.set _Z11rank_kernelIxLj4ELb0EL18RadixRankAlgorithm0ELj512ELj1ELj10EEvPKT_Pi.numbered_sgpr, 37
	.set _Z11rank_kernelIxLj4ELb0EL18RadixRankAlgorithm0ELj512ELj1ELj10EEvPKT_Pi.num_named_barrier, 0
	.set _Z11rank_kernelIxLj4ELb0EL18RadixRankAlgorithm0ELj512ELj1ELj10EEvPKT_Pi.private_seg_size, 0
	.set _Z11rank_kernelIxLj4ELb0EL18RadixRankAlgorithm0ELj512ELj1ELj10EEvPKT_Pi.uses_vcc, 1
	.set _Z11rank_kernelIxLj4ELb0EL18RadixRankAlgorithm0ELj512ELj1ELj10EEvPKT_Pi.uses_flat_scratch, 0
	.set _Z11rank_kernelIxLj4ELb0EL18RadixRankAlgorithm0ELj512ELj1ELj10EEvPKT_Pi.has_dyn_sized_stack, 0
	.set _Z11rank_kernelIxLj4ELb0EL18RadixRankAlgorithm0ELj512ELj1ELj10EEvPKT_Pi.has_recursion, 0
	.set _Z11rank_kernelIxLj4ELb0EL18RadixRankAlgorithm0ELj512ELj1ELj10EEvPKT_Pi.has_indirect_call, 0
	.section	.AMDGPU.csdata,"",@progbits
; Kernel info:
; codeLenInByte = 984
; TotalNumSgprs: 41
; NumVgprs: 22
; ScratchSize: 0
; MemoryBound: 0
; FloatMode: 240
; IeeeMode: 1
; LDSByteSize: 16416 bytes/workgroup (compile time only)
; SGPRBlocks: 12
; VGPRBlocks: 9
; NumSGPRsForWavesPerEU: 97
; NumVGPRsForWavesPerEU: 37
; Occupancy: 6
; WaveLimiterHint : 0
; COMPUTE_PGM_RSRC2:SCRATCH_EN: 0
; COMPUTE_PGM_RSRC2:USER_SGPR: 6
; COMPUTE_PGM_RSRC2:TRAP_HANDLER: 0
; COMPUTE_PGM_RSRC2:TGID_X_EN: 1
; COMPUTE_PGM_RSRC2:TGID_Y_EN: 0
; COMPUTE_PGM_RSRC2:TGID_Z_EN: 0
; COMPUTE_PGM_RSRC2:TIDIG_COMP_CNT: 0
	.section	.text._Z11rank_kernelIxLj4ELb0EL18RadixRankAlgorithm1ELj512ELj1ELj10EEvPKT_Pi,"axG",@progbits,_Z11rank_kernelIxLj4ELb0EL18RadixRankAlgorithm1ELj512ELj1ELj10EEvPKT_Pi,comdat
	.protected	_Z11rank_kernelIxLj4ELb0EL18RadixRankAlgorithm1ELj512ELj1ELj10EEvPKT_Pi ; -- Begin function _Z11rank_kernelIxLj4ELb0EL18RadixRankAlgorithm1ELj512ELj1ELj10EEvPKT_Pi
	.globl	_Z11rank_kernelIxLj4ELb0EL18RadixRankAlgorithm1ELj512ELj1ELj10EEvPKT_Pi
	.p2align	8
	.type	_Z11rank_kernelIxLj4ELb0EL18RadixRankAlgorithm1ELj512ELj1ELj10EEvPKT_Pi,@function
_Z11rank_kernelIxLj4ELb0EL18RadixRankAlgorithm1ELj512ELj1ELj10EEvPKT_Pi: ; @_Z11rank_kernelIxLj4ELb0EL18RadixRankAlgorithm1ELj512ELj1ELj10EEvPKT_Pi
; %bb.0:
	s_load_dwordx4 s[24:27], s[4:5], 0x0
	s_lshl_b32 s28, s6, 9
	s_mov_b32 s29, 0
	s_lshl_b64 s[0:1], s[28:29], 3
	v_lshlrev_b32_e32 v1, 3, v0
	s_waitcnt lgkmcnt(0)
	s_add_u32 s0, s24, s0
	s_addc_u32 s1, s25, s1
	global_load_dwordx2 v[9:10], v1, s[0:1]
	v_mbcnt_lo_u32_b32 v1, -1, 0
	v_mbcnt_hi_u32_b32 v1, -1, v1
	v_or_b32_e32 v2, 63, v0
	v_cmp_eq_u32_e64 s[4:5], v0, v2
	v_subrev_co_u32_e64 v2, s[6:7], 1, v1
	v_and_b32_e32 v7, 64, v1
	v_lshrrev_b32_e32 v3, 4, v0
	v_cmp_lt_i32_e64 s[18:19], v2, v7
	v_lshlrev_b32_e32 v12, 5, v0
	v_mul_i32_i24_e32 v4, 0xffffffe4, v0
	v_and_b32_e32 v5, 15, v1
	v_and_b32_e32 v6, 16, v1
	v_cmp_lt_u32_e64 s[2:3], 31, v1
	v_and_b32_e32 v15, 28, v3
	v_and_b32_e32 v3, 7, v1
	v_cndmask_b32_e64 v1, v2, v1, s[18:19]
	v_mov_b32_e32 v11, 0
	s_movk_i32 s33, 0xdff
	s_movk_i32 s34, 0xe00
	v_cmp_gt_u32_e32 vcc, 8, v0
	v_cmp_lt_u32_e64 s[0:1], 63, v0
	v_lshlrev_b32_e32 v13, 2, v0
	v_or_b32_e32 v14, 0xfffffe00, v0
	v_add_u32_e32 v16, v12, v4
	v_cmp_eq_u32_e64 s[8:9], 0, v5
	v_cmp_lt_u32_e64 s[10:11], 1, v5
	v_cmp_lt_u32_e64 s[12:13], 3, v5
	v_cmp_lt_u32_e64 s[14:15], 7, v5
	v_cmp_eq_u32_e64 s[16:17], 0, v6
	v_cmp_eq_u32_e64 s[18:19], 0, v3
	v_cmp_lt_u32_e64 s[20:21], 1, v3
	v_cmp_lt_u32_e64 s[22:23], 3, v3
	v_lshlrev_b32_e32 v17, 2, v1
	s_mov_b32 s35, s29
	s_waitcnt vmcnt(0)
	v_xor_b32_e32 v10, 0x80000000, v10
	s_branch .LBB121_2
.LBB121_1:                              ;   in Loop: Header=BB121_2 Depth=1
	s_add_i32 s35, s35, 1
	s_cmp_eq_u32 s35, 10
	s_cbranch_scc1 .LBB121_12
.LBB121_2:                              ; =>This Loop Header: Depth=1
                                        ;     Child Loop BB121_4 Depth 2
                                        ;       Child Loop BB121_5 Depth 3
	s_mov_b32 s36, 0
	s_branch .LBB121_4
.LBB121_3:                              ;   in Loop: Header=BB121_4 Depth=2
	s_or_b64 exec, exec, s[24:25]
	s_waitcnt lgkmcnt(0)
	v_add_u32_e32 v4, v20, v4
	ds_bpermute_b32 v4, v17, v4
	ds_read_b32 v21, v11 offset:16412
	s_add_i32 s24, s36, 4
	s_cmp_lt_u32 s36, 60
	s_mov_b32 s36, s24
	s_waitcnt lgkmcnt(1)
	v_cndmask_b32_e64 v4, v4, v20, s[6:7]
	s_waitcnt lgkmcnt(0)
	v_lshl_add_u32 v4, v21, 16, v4
	v_add_u32_e32 v5, v4, v5
	v_add_u32_e32 v6, v5, v6
	;; [unrolled: 1-line block ×7, first 2 shown]
	ds_write2_b64 v12, v[4:5], v[6:7] offset1:1
	ds_write2_b64 v12, v[20:21], v[1:2] offset0:2 offset1:3
	s_waitcnt lgkmcnt(0)
	s_barrier
	s_cbranch_scc0 .LBB121_1
.LBB121_4:                              ;   Parent Loop BB121_2 Depth=1
                                        ; =>  This Loop Header: Depth=2
                                        ;       Child Loop BB121_5 Depth 3
	s_mov_b64 s[30:31], 0
	v_mov_b32_e32 v1, v14
	v_mov_b32_e32 v2, v13
.LBB121_5:                              ;   Parent Loop BB121_2 Depth=1
                                        ;     Parent Loop BB121_4 Depth=2
                                        ; =>    This Inner Loop Header: Depth=3
	v_add_u32_e32 v1, 0x200, v1
	v_cmp_lt_u32_e64 s[24:25], s33, v1
	ds_write_b32 v2, v11
	s_or_b64 s[30:31], s[24:25], s[30:31]
	v_add_u32_e32 v2, 0x800, v2
	s_andn2_b64 exec, exec, s[30:31]
	s_cbranch_execnz .LBB121_5
; %bb.6:                                ;   in Loop: Header=BB121_4 Depth=2
	s_or_b64 exec, exec, s[30:31]
	s_sub_i32 s24, 60, s36
	v_lshlrev_b64 v[1:2], s24, v[9:10]
	v_lshrrev_b32_e32 v1, 19, v2
	v_lshrrev_b32_e32 v2, 30, v2
	v_and_or_b32 v1, v1, s34, v0
	v_and_b32_e32 v2, 2, v2
	v_lshl_or_b32 v19, v1, 2, v2
	ds_read_u16 v18, v19
	s_waitcnt lgkmcnt(0)
	v_add_u16_e32 v1, 1, v18
	ds_write_b16 v19, v1
	s_waitcnt lgkmcnt(0)
	s_barrier
	ds_read2_b64 v[5:8], v12 offset1:1
	ds_read2_b64 v[1:4], v12 offset0:2 offset1:3
	s_waitcnt lgkmcnt(1)
	v_add_u32_e32 v20, v6, v5
	v_add3_u32 v20, v20, v7, v8
	s_waitcnt lgkmcnt(0)
	v_add3_u32 v20, v20, v1, v2
	v_add3_u32 v4, v20, v3, v4
	s_nop 1
	v_mov_b32_dpp v20, v4 row_shr:1 row_mask:0xf bank_mask:0xf
	v_cndmask_b32_e64 v20, v20, 0, s[8:9]
	v_add_u32_e32 v4, v20, v4
	s_nop 1
	v_mov_b32_dpp v20, v4 row_shr:2 row_mask:0xf bank_mask:0xf
	v_cndmask_b32_e64 v20, 0, v20, s[10:11]
	v_add_u32_e32 v4, v4, v20
	;; [unrolled: 4-line block ×4, first 2 shown]
	s_nop 1
	v_mov_b32_dpp v20, v4 row_bcast:15 row_mask:0xf bank_mask:0xf
	v_cndmask_b32_e64 v20, v20, 0, s[16:17]
	v_add_u32_e32 v4, v4, v20
	s_nop 1
	v_mov_b32_dpp v20, v4 row_bcast:31 row_mask:0xf bank_mask:0xf
	v_cndmask_b32_e64 v20, 0, v20, s[2:3]
	v_add_u32_e32 v4, v4, v20
	s_and_saveexec_b64 s[24:25], s[4:5]
	s_xor_b64 s[24:25], exec, s[24:25]
; %bb.7:                                ;   in Loop: Header=BB121_4 Depth=2
	ds_write_b32 v15, v4 offset:16384
; %bb.8:                                ;   in Loop: Header=BB121_4 Depth=2
	s_or_b64 exec, exec, s[24:25]
	s_waitcnt lgkmcnt(0)
	s_barrier
	s_and_saveexec_b64 s[24:25], vcc
	s_cbranch_execz .LBB121_10
; %bb.9:                                ;   in Loop: Header=BB121_4 Depth=2
	ds_read_b32 v20, v16 offset:16384
	s_waitcnt lgkmcnt(0)
	s_nop 0
	v_mov_b32_dpp v21, v20 row_shr:1 row_mask:0xf bank_mask:0xf
	v_cndmask_b32_e64 v21, v21, 0, s[18:19]
	v_add_u32_e32 v20, v21, v20
	s_nop 1
	v_mov_b32_dpp v21, v20 row_shr:2 row_mask:0xf bank_mask:0xf
	v_cndmask_b32_e64 v21, 0, v21, s[20:21]
	v_add_u32_e32 v20, v20, v21
	;; [unrolled: 4-line block ×3, first 2 shown]
	ds_write_b32 v16, v20 offset:16384
.LBB121_10:                             ;   in Loop: Header=BB121_4 Depth=2
	s_or_b64 exec, exec, s[24:25]
	v_mov_b32_e32 v20, 0
	s_waitcnt lgkmcnt(0)
	s_barrier
	s_and_saveexec_b64 s[24:25], s[0:1]
	s_cbranch_execz .LBB121_3
; %bb.11:                               ;   in Loop: Header=BB121_4 Depth=2
	ds_read_b32 v20, v15 offset:16380
	s_branch .LBB121_3
.LBB121_12:
	ds_read_u16 v1, v19
	s_lshl_b64 s[0:1], s[28:29], 2
	s_add_u32 s0, s26, s0
	s_addc_u32 s1, s27, s1
	v_lshlrev_b32_e32 v0, 2, v0
	s_waitcnt lgkmcnt(0)
	v_add_u32_sdwa v1, v1, v18 dst_sel:DWORD dst_unused:UNUSED_PAD src0_sel:DWORD src1_sel:WORD_0
	global_store_dword v0, v1, s[0:1]
	s_endpgm
	.section	.rodata,"a",@progbits
	.p2align	6, 0x0
	.amdhsa_kernel _Z11rank_kernelIxLj4ELb0EL18RadixRankAlgorithm1ELj512ELj1ELj10EEvPKT_Pi
		.amdhsa_group_segment_fixed_size 16416
		.amdhsa_private_segment_fixed_size 0
		.amdhsa_kernarg_size 16
		.amdhsa_user_sgpr_count 6
		.amdhsa_user_sgpr_private_segment_buffer 1
		.amdhsa_user_sgpr_dispatch_ptr 0
		.amdhsa_user_sgpr_queue_ptr 0
		.amdhsa_user_sgpr_kernarg_segment_ptr 1
		.amdhsa_user_sgpr_dispatch_id 0
		.amdhsa_user_sgpr_flat_scratch_init 0
		.amdhsa_user_sgpr_private_segment_size 0
		.amdhsa_uses_dynamic_stack 0
		.amdhsa_system_sgpr_private_segment_wavefront_offset 0
		.amdhsa_system_sgpr_workgroup_id_x 1
		.amdhsa_system_sgpr_workgroup_id_y 0
		.amdhsa_system_sgpr_workgroup_id_z 0
		.amdhsa_system_sgpr_workgroup_info 0
		.amdhsa_system_vgpr_workitem_id 0
		.amdhsa_next_free_vgpr 37
		.amdhsa_next_free_sgpr 93
		.amdhsa_reserve_vcc 1
		.amdhsa_reserve_flat_scratch 0
		.amdhsa_float_round_mode_32 0
		.amdhsa_float_round_mode_16_64 0
		.amdhsa_float_denorm_mode_32 3
		.amdhsa_float_denorm_mode_16_64 3
		.amdhsa_dx10_clamp 1
		.amdhsa_ieee_mode 1
		.amdhsa_fp16_overflow 0
		.amdhsa_exception_fp_ieee_invalid_op 0
		.amdhsa_exception_fp_denorm_src 0
		.amdhsa_exception_fp_ieee_div_zero 0
		.amdhsa_exception_fp_ieee_overflow 0
		.amdhsa_exception_fp_ieee_underflow 0
		.amdhsa_exception_fp_ieee_inexact 0
		.amdhsa_exception_int_div_zero 0
	.end_amdhsa_kernel
	.section	.text._Z11rank_kernelIxLj4ELb0EL18RadixRankAlgorithm1ELj512ELj1ELj10EEvPKT_Pi,"axG",@progbits,_Z11rank_kernelIxLj4ELb0EL18RadixRankAlgorithm1ELj512ELj1ELj10EEvPKT_Pi,comdat
.Lfunc_end121:
	.size	_Z11rank_kernelIxLj4ELb0EL18RadixRankAlgorithm1ELj512ELj1ELj10EEvPKT_Pi, .Lfunc_end121-_Z11rank_kernelIxLj4ELb0EL18RadixRankAlgorithm1ELj512ELj1ELj10EEvPKT_Pi
                                        ; -- End function
	.set _Z11rank_kernelIxLj4ELb0EL18RadixRankAlgorithm1ELj512ELj1ELj10EEvPKT_Pi.num_vgpr, 22
	.set _Z11rank_kernelIxLj4ELb0EL18RadixRankAlgorithm1ELj512ELj1ELj10EEvPKT_Pi.num_agpr, 0
	.set _Z11rank_kernelIxLj4ELb0EL18RadixRankAlgorithm1ELj512ELj1ELj10EEvPKT_Pi.numbered_sgpr, 37
	.set _Z11rank_kernelIxLj4ELb0EL18RadixRankAlgorithm1ELj512ELj1ELj10EEvPKT_Pi.num_named_barrier, 0
	.set _Z11rank_kernelIxLj4ELb0EL18RadixRankAlgorithm1ELj512ELj1ELj10EEvPKT_Pi.private_seg_size, 0
	.set _Z11rank_kernelIxLj4ELb0EL18RadixRankAlgorithm1ELj512ELj1ELj10EEvPKT_Pi.uses_vcc, 1
	.set _Z11rank_kernelIxLj4ELb0EL18RadixRankAlgorithm1ELj512ELj1ELj10EEvPKT_Pi.uses_flat_scratch, 0
	.set _Z11rank_kernelIxLj4ELb0EL18RadixRankAlgorithm1ELj512ELj1ELj10EEvPKT_Pi.has_dyn_sized_stack, 0
	.set _Z11rank_kernelIxLj4ELb0EL18RadixRankAlgorithm1ELj512ELj1ELj10EEvPKT_Pi.has_recursion, 0
	.set _Z11rank_kernelIxLj4ELb0EL18RadixRankAlgorithm1ELj512ELj1ELj10EEvPKT_Pi.has_indirect_call, 0
	.section	.AMDGPU.csdata,"",@progbits
; Kernel info:
; codeLenInByte = 948
; TotalNumSgprs: 41
; NumVgprs: 22
; ScratchSize: 0
; MemoryBound: 0
; FloatMode: 240
; IeeeMode: 1
; LDSByteSize: 16416 bytes/workgroup (compile time only)
; SGPRBlocks: 12
; VGPRBlocks: 9
; NumSGPRsForWavesPerEU: 97
; NumVGPRsForWavesPerEU: 37
; Occupancy: 6
; WaveLimiterHint : 0
; COMPUTE_PGM_RSRC2:SCRATCH_EN: 0
; COMPUTE_PGM_RSRC2:USER_SGPR: 6
; COMPUTE_PGM_RSRC2:TRAP_HANDLER: 0
; COMPUTE_PGM_RSRC2:TGID_X_EN: 1
; COMPUTE_PGM_RSRC2:TGID_Y_EN: 0
; COMPUTE_PGM_RSRC2:TGID_Z_EN: 0
; COMPUTE_PGM_RSRC2:TIDIG_COMP_CNT: 0
	.section	.text._Z11rank_kernelIxLj4ELb0EL18RadixRankAlgorithm2ELj512ELj1ELj10EEvPKT_Pi,"axG",@progbits,_Z11rank_kernelIxLj4ELb0EL18RadixRankAlgorithm2ELj512ELj1ELj10EEvPKT_Pi,comdat
	.protected	_Z11rank_kernelIxLj4ELb0EL18RadixRankAlgorithm2ELj512ELj1ELj10EEvPKT_Pi ; -- Begin function _Z11rank_kernelIxLj4ELb0EL18RadixRankAlgorithm2ELj512ELj1ELj10EEvPKT_Pi
	.globl	_Z11rank_kernelIxLj4ELb0EL18RadixRankAlgorithm2ELj512ELj1ELj10EEvPKT_Pi
	.p2align	8
	.type	_Z11rank_kernelIxLj4ELb0EL18RadixRankAlgorithm2ELj512ELj1ELj10EEvPKT_Pi,@function
_Z11rank_kernelIxLj4ELb0EL18RadixRankAlgorithm2ELj512ELj1ELj10EEvPKT_Pi: ; @_Z11rank_kernelIxLj4ELb0EL18RadixRankAlgorithm2ELj512ELj1ELj10EEvPKT_Pi
; %bb.0:
	s_load_dwordx4 s[28:31], s[4:5], 0x0
	s_load_dword s22, s[4:5], 0x1c
	s_lshl_b32 s34, s6, 9
	s_mov_b32 s35, 0
	s_lshl_b64 s[0:1], s[34:35], 3
	s_waitcnt lgkmcnt(0)
	s_add_u32 s0, s28, s0
	s_addc_u32 s1, s29, s1
	v_lshlrev_b32_e32 v3, 3, v0
	global_load_dwordx2 v[3:4], v3, s[0:1]
	s_lshr_b32 s23, s22, 16
	s_and_b32 s22, s22, 0xffff
	v_mad_u32_u24 v1, v2, s23, v1
	v_mbcnt_lo_u32_b32 v6, -1, 0
	v_mad_u64_u32 v[1:2], s[22:23], v1, s22, v[0:1]
	v_mbcnt_hi_u32_b32 v6, -1, v6
	v_subrev_co_u32_e64 v12, s[6:7], 1, v6
	v_and_b32_e32 v13, 64, v6
	v_or_b32_e32 v8, 63, v0
	v_lshrrev_b32_e32 v9, 4, v0
	v_cmp_lt_i32_e64 s[18:19], v12, v13
	v_and_b32_e32 v10, 15, v6
	v_and_b32_e32 v11, 16, v6
	v_cmp_lt_u32_e64 s[2:3], 31, v6
	v_cmp_eq_u32_e64 s[4:5], v0, v8
	v_and_b32_e32 v8, 28, v9
	v_and_b32_e32 v9, 7, v6
	v_cndmask_b32_e64 v6, v12, v6, s[18:19]
	v_lshrrev_b32_e32 v1, 4, v1
	v_mov_b32_e32 v5, 0
	v_lshlrev_b32_e32 v7, 2, v0
	v_cmp_gt_u32_e32 vcc, 8, v0
	v_cmp_lt_u32_e64 s[0:1], 63, v0
	v_cmp_eq_u32_e64 s[8:9], 0, v10
	v_cmp_lt_u32_e64 s[10:11], 1, v10
	v_cmp_lt_u32_e64 s[12:13], 3, v10
	;; [unrolled: 1-line block ×3, first 2 shown]
	v_cmp_eq_u32_e64 s[16:17], 0, v11
	v_cmp_eq_u32_e64 s[18:19], 0, v9
	v_cmp_lt_u32_e64 s[20:21], 1, v9
	v_cmp_lt_u32_e64 s[22:23], 3, v9
	v_add_u32_e32 v9, -4, v8
	v_lshlrev_b32_e32 v10, 2, v6
	v_and_b32_e32 v11, 0xffffffc, v1
	s_mov_b32 s33, s35
	s_waitcnt vmcnt(0)
	v_xor_b32_e32 v4, 0x80000000, v4
	s_branch .LBB122_2
.LBB122_1:                              ;   in Loop: Header=BB122_2 Depth=1
	s_add_i32 s33, s33, 1
	s_cmp_eq_u32 s33, 10
	s_cbranch_scc1 .LBB122_12
.LBB122_2:                              ; =>This Loop Header: Depth=1
                                        ;     Child Loop BB122_4 Depth 2
	s_mov_b64 s[28:29], 60
	s_mov_b32 s36, -4
	s_branch .LBB122_4
.LBB122_3:                              ;   in Loop: Header=BB122_4 Depth=2
	s_or_b64 exec, exec, s[24:25]
	s_waitcnt lgkmcnt(0)
	v_add_u32_e32 v1, v2, v1
	ds_bpermute_b32 v1, v10, v1
	s_add_i32 s36, s36, 4
	s_add_u32 s28, s28, -4
	s_addc_u32 s29, s29, -1
	s_cmp_lt_u32 s36, 60
	s_waitcnt lgkmcnt(0)
	v_cndmask_b32_e64 v1, v1, v2, s[6:7]
	ds_write_b32 v7, v1 offset:32
	s_waitcnt lgkmcnt(0)
	s_barrier
	s_cbranch_scc0 .LBB122_1
.LBB122_4:                              ;   Parent Loop BB122_2 Depth=1
                                        ; =>  This Inner Loop Header: Depth=2
	v_lshlrev_b64 v[1:2], s28, v[3:4]
	ds_write_b32 v7, v5 offset:32
	v_bfe_u32 v6, v2, 28, 1
	v_add_co_u32_e64 v14, s[24:25], -1, v6
	v_addc_co_u32_e64 v15, s[24:25], 0, -1, s[24:25]
	v_cmp_ne_u32_e64 s[24:25], 0, v6
	v_lshrrev_b32_e32 v13, 28, v2
	v_xor_b32_e32 v6, s25, v15
	v_and_b32_e32 v15, exec_hi, v6
	v_lshlrev_b32_e32 v6, 30, v13
	v_xor_b32_e32 v14, s24, v14
	v_cmp_gt_i64_e64 s[24:25], 0, v[5:6]
	v_not_b32_e32 v6, v6
	v_ashrrev_i32_e32 v6, 31, v6
	v_and_b32_e32 v14, exec_lo, v14
	v_xor_b32_e32 v16, s25, v6
	v_xor_b32_e32 v6, s24, v6
	v_and_b32_e32 v14, v14, v6
	v_lshlrev_b32_e32 v6, 29, v13
	v_cmp_gt_i64_e64 s[24:25], 0, v[5:6]
	v_not_b32_e32 v6, v6
	v_ashrrev_i32_e32 v6, 31, v6
	v_mul_u32_u24_e32 v12, 36, v13
	v_xor_b32_e32 v13, s25, v6
	v_xor_b32_e32 v6, s24, v6
	v_cmp_gt_i64_e64 s[24:25], 0, v[1:2]
	v_not_b32_e32 v1, v2
	v_ashrrev_i32_e32 v1, 31, v1
	v_and_b32_e32 v15, v15, v16
	v_and_b32_e32 v6, v14, v6
	v_xor_b32_e32 v2, s25, v1
	v_xor_b32_e32 v1, s24, v1
	v_and_b32_e32 v13, v15, v13
	v_and_b32_e32 v1, v6, v1
	;; [unrolled: 1-line block ×3, first 2 shown]
	v_mbcnt_lo_u32_b32 v6, v1, 0
	v_mbcnt_hi_u32_b32 v6, v2, v6
	v_cmp_ne_u64_e64 s[24:25], 0, v[1:2]
	v_cmp_eq_u32_e64 s[26:27], 0, v6
	s_and_b64 s[26:27], s[24:25], s[26:27]
	s_waitcnt lgkmcnt(0)
	s_barrier
	; wave barrier
	s_and_saveexec_b64 s[24:25], s[26:27]
; %bb.5:                                ;   in Loop: Header=BB122_4 Depth=2
	v_bcnt_u32_b32 v1, v1, 0
	v_bcnt_u32_b32 v1, v2, v1
	v_add_u32_e32 v2, v11, v12
	ds_write_b32 v2, v1 offset:32
; %bb.6:                                ;   in Loop: Header=BB122_4 Depth=2
	s_or_b64 exec, exec, s[24:25]
	; wave barrier
	s_waitcnt lgkmcnt(0)
	s_barrier
	ds_read_b32 v1, v7 offset:32
	s_waitcnt lgkmcnt(0)
	s_nop 0
	v_mov_b32_dpp v2, v1 row_shr:1 row_mask:0xf bank_mask:0xf
	v_cndmask_b32_e64 v2, v2, 0, s[8:9]
	v_add_u32_e32 v1, v2, v1
	s_nop 1
	v_mov_b32_dpp v2, v1 row_shr:2 row_mask:0xf bank_mask:0xf
	v_cndmask_b32_e64 v2, 0, v2, s[10:11]
	v_add_u32_e32 v1, v1, v2
	;; [unrolled: 4-line block ×4, first 2 shown]
	s_nop 1
	v_mov_b32_dpp v2, v1 row_bcast:15 row_mask:0xf bank_mask:0xf
	v_cndmask_b32_e64 v2, v2, 0, s[16:17]
	v_add_u32_e32 v1, v1, v2
	s_nop 1
	v_mov_b32_dpp v2, v1 row_bcast:31 row_mask:0xf bank_mask:0xf
	v_cndmask_b32_e64 v2, 0, v2, s[2:3]
	v_add_u32_e32 v1, v1, v2
	s_and_saveexec_b64 s[24:25], s[4:5]
; %bb.7:                                ;   in Loop: Header=BB122_4 Depth=2
	ds_write_b32 v8, v1
; %bb.8:                                ;   in Loop: Header=BB122_4 Depth=2
	s_or_b64 exec, exec, s[24:25]
	s_waitcnt lgkmcnt(0)
	s_barrier
	s_and_saveexec_b64 s[24:25], vcc
	s_cbranch_execz .LBB122_10
; %bb.9:                                ;   in Loop: Header=BB122_4 Depth=2
	ds_read_b32 v2, v7
	s_waitcnt lgkmcnt(0)
	s_nop 0
	v_mov_b32_dpp v13, v2 row_shr:1 row_mask:0xf bank_mask:0xf
	v_cndmask_b32_e64 v13, v13, 0, s[18:19]
	v_add_u32_e32 v2, v13, v2
	s_nop 1
	v_mov_b32_dpp v13, v2 row_shr:2 row_mask:0xf bank_mask:0xf
	v_cndmask_b32_e64 v13, 0, v13, s[20:21]
	v_add_u32_e32 v2, v2, v13
	;; [unrolled: 4-line block ×3, first 2 shown]
	ds_write_b32 v7, v2
.LBB122_10:                             ;   in Loop: Header=BB122_4 Depth=2
	s_or_b64 exec, exec, s[24:25]
	v_mov_b32_e32 v2, 0
	s_waitcnt lgkmcnt(0)
	s_barrier
	s_and_saveexec_b64 s[24:25], s[0:1]
	s_cbranch_execz .LBB122_3
; %bb.11:                               ;   in Loop: Header=BB122_4 Depth=2
	ds_read_b32 v2, v9
	s_branch .LBB122_3
.LBB122_12:
	v_add_u32_e32 v1, v11, v12
	ds_read_b32 v1, v1 offset:32
	s_lshl_b64 s[0:1], s[34:35], 2
	s_add_u32 s0, s30, s0
	s_addc_u32 s1, s31, s1
	v_lshlrev_b32_e32 v0, 2, v0
	s_waitcnt lgkmcnt(0)
	v_add_u32_e32 v1, v1, v6
	global_store_dword v0, v1, s[0:1]
	s_endpgm
	.section	.rodata,"a",@progbits
	.p2align	6, 0x0
	.amdhsa_kernel _Z11rank_kernelIxLj4ELb0EL18RadixRankAlgorithm2ELj512ELj1ELj10EEvPKT_Pi
		.amdhsa_group_segment_fixed_size 2080
		.amdhsa_private_segment_fixed_size 0
		.amdhsa_kernarg_size 272
		.amdhsa_user_sgpr_count 6
		.amdhsa_user_sgpr_private_segment_buffer 1
		.amdhsa_user_sgpr_dispatch_ptr 0
		.amdhsa_user_sgpr_queue_ptr 0
		.amdhsa_user_sgpr_kernarg_segment_ptr 1
		.amdhsa_user_sgpr_dispatch_id 0
		.amdhsa_user_sgpr_flat_scratch_init 0
		.amdhsa_user_sgpr_private_segment_size 0
		.amdhsa_uses_dynamic_stack 0
		.amdhsa_system_sgpr_private_segment_wavefront_offset 0
		.amdhsa_system_sgpr_workgroup_id_x 1
		.amdhsa_system_sgpr_workgroup_id_y 0
		.amdhsa_system_sgpr_workgroup_id_z 0
		.amdhsa_system_sgpr_workgroup_info 0
		.amdhsa_system_vgpr_workitem_id 2
		.amdhsa_next_free_vgpr 17
		.amdhsa_next_free_sgpr 37
		.amdhsa_reserve_vcc 1
		.amdhsa_reserve_flat_scratch 0
		.amdhsa_float_round_mode_32 0
		.amdhsa_float_round_mode_16_64 0
		.amdhsa_float_denorm_mode_32 3
		.amdhsa_float_denorm_mode_16_64 3
		.amdhsa_dx10_clamp 1
		.amdhsa_ieee_mode 1
		.amdhsa_fp16_overflow 0
		.amdhsa_exception_fp_ieee_invalid_op 0
		.amdhsa_exception_fp_denorm_src 0
		.amdhsa_exception_fp_ieee_div_zero 0
		.amdhsa_exception_fp_ieee_overflow 0
		.amdhsa_exception_fp_ieee_underflow 0
		.amdhsa_exception_fp_ieee_inexact 0
		.amdhsa_exception_int_div_zero 0
	.end_amdhsa_kernel
	.section	.text._Z11rank_kernelIxLj4ELb0EL18RadixRankAlgorithm2ELj512ELj1ELj10EEvPKT_Pi,"axG",@progbits,_Z11rank_kernelIxLj4ELb0EL18RadixRankAlgorithm2ELj512ELj1ELj10EEvPKT_Pi,comdat
.Lfunc_end122:
	.size	_Z11rank_kernelIxLj4ELb0EL18RadixRankAlgorithm2ELj512ELj1ELj10EEvPKT_Pi, .Lfunc_end122-_Z11rank_kernelIxLj4ELb0EL18RadixRankAlgorithm2ELj512ELj1ELj10EEvPKT_Pi
                                        ; -- End function
	.set _Z11rank_kernelIxLj4ELb0EL18RadixRankAlgorithm2ELj512ELj1ELj10EEvPKT_Pi.num_vgpr, 17
	.set _Z11rank_kernelIxLj4ELb0EL18RadixRankAlgorithm2ELj512ELj1ELj10EEvPKT_Pi.num_agpr, 0
	.set _Z11rank_kernelIxLj4ELb0EL18RadixRankAlgorithm2ELj512ELj1ELj10EEvPKT_Pi.numbered_sgpr, 37
	.set _Z11rank_kernelIxLj4ELb0EL18RadixRankAlgorithm2ELj512ELj1ELj10EEvPKT_Pi.num_named_barrier, 0
	.set _Z11rank_kernelIxLj4ELb0EL18RadixRankAlgorithm2ELj512ELj1ELj10EEvPKT_Pi.private_seg_size, 0
	.set _Z11rank_kernelIxLj4ELb0EL18RadixRankAlgorithm2ELj512ELj1ELj10EEvPKT_Pi.uses_vcc, 1
	.set _Z11rank_kernelIxLj4ELb0EL18RadixRankAlgorithm2ELj512ELj1ELj10EEvPKT_Pi.uses_flat_scratch, 0
	.set _Z11rank_kernelIxLj4ELb0EL18RadixRankAlgorithm2ELj512ELj1ELj10EEvPKT_Pi.has_dyn_sized_stack, 0
	.set _Z11rank_kernelIxLj4ELb0EL18RadixRankAlgorithm2ELj512ELj1ELj10EEvPKT_Pi.has_recursion, 0
	.set _Z11rank_kernelIxLj4ELb0EL18RadixRankAlgorithm2ELj512ELj1ELj10EEvPKT_Pi.has_indirect_call, 0
	.section	.AMDGPU.csdata,"",@progbits
; Kernel info:
; codeLenInByte = 1008
; TotalNumSgprs: 41
; NumVgprs: 17
; ScratchSize: 0
; MemoryBound: 0
; FloatMode: 240
; IeeeMode: 1
; LDSByteSize: 2080 bytes/workgroup (compile time only)
; SGPRBlocks: 5
; VGPRBlocks: 4
; NumSGPRsForWavesPerEU: 41
; NumVGPRsForWavesPerEU: 17
; Occupancy: 10
; WaveLimiterHint : 0
; COMPUTE_PGM_RSRC2:SCRATCH_EN: 0
; COMPUTE_PGM_RSRC2:USER_SGPR: 6
; COMPUTE_PGM_RSRC2:TRAP_HANDLER: 0
; COMPUTE_PGM_RSRC2:TGID_X_EN: 1
; COMPUTE_PGM_RSRC2:TGID_Y_EN: 0
; COMPUTE_PGM_RSRC2:TGID_Z_EN: 0
; COMPUTE_PGM_RSRC2:TIDIG_COMP_CNT: 2
	.section	.text._Z11rank_kernelIxLj4ELb0EL18RadixRankAlgorithm0ELj512ELj4ELj10EEvPKT_Pi,"axG",@progbits,_Z11rank_kernelIxLj4ELb0EL18RadixRankAlgorithm0ELj512ELj4ELj10EEvPKT_Pi,comdat
	.protected	_Z11rank_kernelIxLj4ELb0EL18RadixRankAlgorithm0ELj512ELj4ELj10EEvPKT_Pi ; -- Begin function _Z11rank_kernelIxLj4ELb0EL18RadixRankAlgorithm0ELj512ELj4ELj10EEvPKT_Pi
	.globl	_Z11rank_kernelIxLj4ELb0EL18RadixRankAlgorithm0ELj512ELj4ELj10EEvPKT_Pi
	.p2align	8
	.type	_Z11rank_kernelIxLj4ELb0EL18RadixRankAlgorithm0ELj512ELj4ELj10EEvPKT_Pi,@function
_Z11rank_kernelIxLj4ELb0EL18RadixRankAlgorithm0ELj512ELj4ELj10EEvPKT_Pi: ; @_Z11rank_kernelIxLj4ELb0EL18RadixRankAlgorithm0ELj512ELj4ELj10EEvPKT_Pi
; %bb.0:
	s_load_dwordx4 s[24:27], s[4:5], 0x0
	s_lshl_b32 s28, s6, 11
	s_mov_b32 s29, 0
	s_lshl_b64 s[0:1], s[28:29], 3
	v_lshlrev_b32_e32 v9, 5, v0
	s_waitcnt lgkmcnt(0)
	s_add_u32 s0, s24, s0
	s_addc_u32 s1, s25, s1
	global_load_dwordx4 v[1:4], v9, s[0:1]
	global_load_dwordx4 v[5:8], v9, s[0:1] offset:16
	v_mbcnt_lo_u32_b32 v12, -1, 0
	v_mbcnt_hi_u32_b32 v15, -1, v12
	v_subrev_co_u32_e64 v19, s[6:7], 1, v15
	v_and_b32_e32 v20, 64, v15
	v_cmp_lt_i32_e64 s[18:19], v19, v20
	v_or_b32_e32 v13, 63, v0
	v_lshrrev_b32_e32 v14, 4, v0
	v_mul_i32_i24_e32 v16, 0xffffffe4, v0
	v_and_b32_e32 v17, 15, v15
	v_and_b32_e32 v18, 16, v15
	v_cmp_lt_u32_e64 s[2:3], 31, v15
	v_and_b32_e32 v21, 7, v15
	v_cndmask_b32_e64 v15, v19, v15, s[18:19]
	v_mov_b32_e32 v10, 0
	s_movk_i32 s33, 0xdff
	s_movk_i32 s34, 0xe00
	v_lshlrev_b32_e32 v11, 2, v0
	v_cmp_gt_u32_e32 vcc, 8, v0
	v_cmp_lt_u32_e64 s[0:1], 63, v0
	v_or_b32_e32 v12, 0xfffffe00, v0
	v_cmp_eq_u32_e64 s[4:5], v0, v13
	v_and_b32_e32 v13, 28, v14
	v_add_u32_e32 v14, v9, v16
	v_cmp_eq_u32_e64 s[8:9], 0, v17
	v_cmp_lt_u32_e64 s[10:11], 1, v17
	v_cmp_lt_u32_e64 s[12:13], 3, v17
	;; [unrolled: 1-line block ×3, first 2 shown]
	v_cmp_eq_u32_e64 s[16:17], 0, v18
	v_cmp_eq_u32_e64 s[18:19], 0, v21
	v_cmp_lt_u32_e64 s[20:21], 1, v21
	v_cmp_lt_u32_e64 s[22:23], 3, v21
	v_lshlrev_b32_e32 v15, 2, v15
	s_mov_b32 s35, s29
	s_waitcnt vmcnt(1)
	v_xor_b32_e32 v2, 0x80000000, v2
	v_xor_b32_e32 v4, 0x80000000, v4
	s_waitcnt vmcnt(0)
	v_xor_b32_e32 v6, 0x80000000, v6
	v_xor_b32_e32 v8, 0x80000000, v8
	s_branch .LBB123_2
.LBB123_1:                              ;   in Loop: Header=BB123_2 Depth=1
	s_add_i32 s35, s35, 1
	s_cmp_eq_u32 s35, 10
	s_cbranch_scc1 .LBB123_12
.LBB123_2:                              ; =>This Loop Header: Depth=1
                                        ;     Child Loop BB123_4 Depth 2
                                        ;       Child Loop BB123_5 Depth 3
	s_mov_b32 s36, 0
	s_branch .LBB123_4
.LBB123_3:                              ;   in Loop: Header=BB123_4 Depth=2
	s_or_b64 exec, exec, s[24:25]
	s_waitcnt lgkmcnt(0)
	v_add_u32_e32 v24, v25, v24
	ds_bpermute_b32 v24, v15, v24
	ds_read_b32 v32, v10 offset:16412
	ds_read2_b64 v[26:29], v9 offset1:1
	ds_read_b64 v[30:31], v9 offset:16
	ds_read_b32 v33, v9 offset:24
	s_add_i32 s24, s36, 4
	s_cmp_lt_u32 s36, 60
	s_mov_b32 s36, s24
	s_waitcnt lgkmcnt(4)
	v_cndmask_b32_e64 v24, v24, v25, s[6:7]
	s_waitcnt lgkmcnt(3)
	v_lshl_add_u32 v24, v32, 16, v24
	s_waitcnt lgkmcnt(2)
	v_add_u32_e32 v25, v24, v26
	v_add_u32_e32 v26, v27, v25
	;; [unrolled: 1-line block ×3, first 2 shown]
	ds_write2_b64 v9, v[24:25], v[26:27] offset1:1
	v_add_u32_e32 v24, v29, v27
	s_waitcnt lgkmcnt(2)
	v_add_u32_e32 v25, v30, v24
	v_add_u32_e32 v26, v31, v25
	s_waitcnt lgkmcnt(1)
	v_add_u32_e32 v27, v33, v26
	ds_write2_b64 v9, v[24:25], v[26:27] offset0:2 offset1:3
	s_waitcnt lgkmcnt(0)
	s_barrier
	s_cbranch_scc0 .LBB123_1
.LBB123_4:                              ;   Parent Loop BB123_2 Depth=1
                                        ; =>  This Loop Header: Depth=2
                                        ;       Child Loop BB123_5 Depth 3
	s_mov_b64 s[30:31], 0
	v_mov_b32_e32 v16, v12
	v_mov_b32_e32 v17, v11
.LBB123_5:                              ;   Parent Loop BB123_2 Depth=1
                                        ;     Parent Loop BB123_4 Depth=2
                                        ; =>    This Inner Loop Header: Depth=3
	v_add_u32_e32 v16, 0x200, v16
	v_cmp_lt_u32_e64 s[24:25], s33, v16
	ds_write_b32 v17, v10
	s_or_b64 s[30:31], s[24:25], s[30:31]
	v_add_u32_e32 v17, 0x800, v17
	s_andn2_b64 exec, exec, s[30:31]
	s_cbranch_execnz .LBB123_5
; %bb.6:                                ;   in Loop: Header=BB123_4 Depth=2
	s_or_b64 exec, exec, s[30:31]
	s_sub_i32 s24, 60, s36
	v_lshlrev_b64 v[16:17], s24, v[1:2]
	v_lshlrev_b64 v[18:19], s24, v[3:4]
	v_lshrrev_b32_e32 v16, 19, v17
	v_lshrrev_b32_e32 v17, 30, v17
	v_and_or_b32 v16, v16, s34, v0
	v_and_b32_e32 v17, 2, v17
	v_lshl_or_b32 v17, v16, 2, v17
	ds_read_u16 v16, v17
	v_lshrrev_b32_e32 v18, 19, v19
	v_lshrrev_b32_e32 v19, 30, v19
	v_and_or_b32 v18, v18, s34, v0
	v_and_b32_e32 v19, 2, v19
	s_waitcnt lgkmcnt(0)
	v_add_u16_e32 v20, 1, v16
	ds_write_b16 v17, v20
	v_lshl_or_b32 v19, v18, 2, v19
	ds_read_u16 v18, v19
	v_lshlrev_b64 v[20:21], s24, v[5:6]
	v_lshlrev_b64 v[22:23], s24, v[7:8]
	v_lshrrev_b32_e32 v22, 19, v23
	s_waitcnt lgkmcnt(0)
	v_add_u16_e32 v20, 1, v18
	ds_write_b16 v19, v20
	v_lshrrev_b32_e32 v20, 19, v21
	v_lshrrev_b32_e32 v21, 30, v21
	v_and_or_b32 v20, v20, s34, v0
	v_and_b32_e32 v21, 2, v21
	v_lshl_or_b32 v21, v20, 2, v21
	ds_read_u16 v20, v21
	v_lshrrev_b32_e32 v23, 30, v23
	v_and_or_b32 v22, v22, s34, v0
	v_and_b32_e32 v23, 2, v23
	v_lshl_or_b32 v23, v22, 2, v23
	s_waitcnt lgkmcnt(0)
	v_add_u16_e32 v24, 1, v20
	ds_write_b16 v21, v24
	ds_read_u16 v22, v23
	s_waitcnt lgkmcnt(0)
	v_add_u16_e32 v24, 1, v22
	ds_write_b16 v23, v24
	s_waitcnt lgkmcnt(0)
	s_barrier
	ds_read2_b64 v[24:27], v9 offset1:1
	ds_read2_b64 v[28:31], v9 offset0:2 offset1:3
	s_waitcnt lgkmcnt(1)
	v_add_u32_e32 v24, v25, v24
	v_add3_u32 v24, v24, v26, v27
	s_waitcnt lgkmcnt(0)
	v_add3_u32 v24, v24, v28, v29
	v_add3_u32 v24, v24, v30, v31
	s_nop 1
	v_mov_b32_dpp v25, v24 row_shr:1 row_mask:0xf bank_mask:0xf
	v_cndmask_b32_e64 v25, v25, 0, s[8:9]
	v_add_u32_e32 v24, v25, v24
	s_nop 1
	v_mov_b32_dpp v25, v24 row_shr:2 row_mask:0xf bank_mask:0xf
	v_cndmask_b32_e64 v25, 0, v25, s[10:11]
	v_add_u32_e32 v24, v24, v25
	;; [unrolled: 4-line block ×4, first 2 shown]
	s_nop 1
	v_mov_b32_dpp v25, v24 row_bcast:15 row_mask:0xf bank_mask:0xf
	v_cndmask_b32_e64 v25, v25, 0, s[16:17]
	v_add_u32_e32 v24, v24, v25
	s_nop 1
	v_mov_b32_dpp v25, v24 row_bcast:31 row_mask:0xf bank_mask:0xf
	v_cndmask_b32_e64 v25, 0, v25, s[2:3]
	v_add_u32_e32 v24, v24, v25
	s_and_saveexec_b64 s[24:25], s[4:5]
; %bb.7:                                ;   in Loop: Header=BB123_4 Depth=2
	ds_write_b32 v13, v24 offset:16384
; %bb.8:                                ;   in Loop: Header=BB123_4 Depth=2
	s_or_b64 exec, exec, s[24:25]
	s_waitcnt lgkmcnt(0)
	s_barrier
	s_and_saveexec_b64 s[24:25], vcc
	s_cbranch_execz .LBB123_10
; %bb.9:                                ;   in Loop: Header=BB123_4 Depth=2
	ds_read_b32 v25, v14 offset:16384
	s_waitcnt lgkmcnt(0)
	s_nop 0
	v_mov_b32_dpp v26, v25 row_shr:1 row_mask:0xf bank_mask:0xf
	v_cndmask_b32_e64 v26, v26, 0, s[18:19]
	v_add_u32_e32 v25, v26, v25
	s_nop 1
	v_mov_b32_dpp v26, v25 row_shr:2 row_mask:0xf bank_mask:0xf
	v_cndmask_b32_e64 v26, 0, v26, s[20:21]
	v_add_u32_e32 v25, v25, v26
	;; [unrolled: 4-line block ×3, first 2 shown]
	ds_write_b32 v14, v25 offset:16384
.LBB123_10:                             ;   in Loop: Header=BB123_4 Depth=2
	s_or_b64 exec, exec, s[24:25]
	v_mov_b32_e32 v25, 0
	s_waitcnt lgkmcnt(0)
	s_barrier
	s_and_saveexec_b64 s[24:25], s[0:1]
	s_cbranch_execz .LBB123_3
; %bb.11:                               ;   in Loop: Header=BB123_4 Depth=2
	ds_read_b32 v25, v13 offset:16380
	s_branch .LBB123_3
.LBB123_12:
	ds_read_u16 v0, v17
	ds_read_u16 v1, v19
	;; [unrolled: 1-line block ×4, first 2 shown]
	s_lshl_b64 s[0:1], s[28:29], 2
	s_add_u32 s0, s26, s0
	s_waitcnt lgkmcnt(3)
	v_add_u32_sdwa v0, v0, v16 dst_sel:DWORD dst_unused:UNUSED_PAD src0_sel:DWORD src1_sel:WORD_0
	s_waitcnt lgkmcnt(2)
	v_add_u32_sdwa v1, v1, v18 dst_sel:DWORD dst_unused:UNUSED_PAD src0_sel:DWORD src1_sel:WORD_0
	;; [unrolled: 2-line block ×4, first 2 shown]
	s_addc_u32 s1, s27, s1
	v_lshlrev_b32_e32 v4, 2, v11
	global_store_dwordx4 v4, v[0:3], s[0:1]
	s_endpgm
	.section	.rodata,"a",@progbits
	.p2align	6, 0x0
	.amdhsa_kernel _Z11rank_kernelIxLj4ELb0EL18RadixRankAlgorithm0ELj512ELj4ELj10EEvPKT_Pi
		.amdhsa_group_segment_fixed_size 16416
		.amdhsa_private_segment_fixed_size 0
		.amdhsa_kernarg_size 16
		.amdhsa_user_sgpr_count 6
		.amdhsa_user_sgpr_private_segment_buffer 1
		.amdhsa_user_sgpr_dispatch_ptr 0
		.amdhsa_user_sgpr_queue_ptr 0
		.amdhsa_user_sgpr_kernarg_segment_ptr 1
		.amdhsa_user_sgpr_dispatch_id 0
		.amdhsa_user_sgpr_flat_scratch_init 0
		.amdhsa_user_sgpr_private_segment_size 0
		.amdhsa_uses_dynamic_stack 0
		.amdhsa_system_sgpr_private_segment_wavefront_offset 0
		.amdhsa_system_sgpr_workgroup_id_x 1
		.amdhsa_system_sgpr_workgroup_id_y 0
		.amdhsa_system_sgpr_workgroup_id_z 0
		.amdhsa_system_sgpr_workgroup_info 0
		.amdhsa_system_vgpr_workitem_id 0
		.amdhsa_next_free_vgpr 37
		.amdhsa_next_free_sgpr 93
		.amdhsa_reserve_vcc 1
		.amdhsa_reserve_flat_scratch 0
		.amdhsa_float_round_mode_32 0
		.amdhsa_float_round_mode_16_64 0
		.amdhsa_float_denorm_mode_32 3
		.amdhsa_float_denorm_mode_16_64 3
		.amdhsa_dx10_clamp 1
		.amdhsa_ieee_mode 1
		.amdhsa_fp16_overflow 0
		.amdhsa_exception_fp_ieee_invalid_op 0
		.amdhsa_exception_fp_denorm_src 0
		.amdhsa_exception_fp_ieee_div_zero 0
		.amdhsa_exception_fp_ieee_overflow 0
		.amdhsa_exception_fp_ieee_underflow 0
		.amdhsa_exception_fp_ieee_inexact 0
		.amdhsa_exception_int_div_zero 0
	.end_amdhsa_kernel
	.section	.text._Z11rank_kernelIxLj4ELb0EL18RadixRankAlgorithm0ELj512ELj4ELj10EEvPKT_Pi,"axG",@progbits,_Z11rank_kernelIxLj4ELb0EL18RadixRankAlgorithm0ELj512ELj4ELj10EEvPKT_Pi,comdat
.Lfunc_end123:
	.size	_Z11rank_kernelIxLj4ELb0EL18RadixRankAlgorithm0ELj512ELj4ELj10EEvPKT_Pi, .Lfunc_end123-_Z11rank_kernelIxLj4ELb0EL18RadixRankAlgorithm0ELj512ELj4ELj10EEvPKT_Pi
                                        ; -- End function
	.set _Z11rank_kernelIxLj4ELb0EL18RadixRankAlgorithm0ELj512ELj4ELj10EEvPKT_Pi.num_vgpr, 34
	.set _Z11rank_kernelIxLj4ELb0EL18RadixRankAlgorithm0ELj512ELj4ELj10EEvPKT_Pi.num_agpr, 0
	.set _Z11rank_kernelIxLj4ELb0EL18RadixRankAlgorithm0ELj512ELj4ELj10EEvPKT_Pi.numbered_sgpr, 37
	.set _Z11rank_kernelIxLj4ELb0EL18RadixRankAlgorithm0ELj512ELj4ELj10EEvPKT_Pi.num_named_barrier, 0
	.set _Z11rank_kernelIxLj4ELb0EL18RadixRankAlgorithm0ELj512ELj4ELj10EEvPKT_Pi.private_seg_size, 0
	.set _Z11rank_kernelIxLj4ELb0EL18RadixRankAlgorithm0ELj512ELj4ELj10EEvPKT_Pi.uses_vcc, 1
	.set _Z11rank_kernelIxLj4ELb0EL18RadixRankAlgorithm0ELj512ELj4ELj10EEvPKT_Pi.uses_flat_scratch, 0
	.set _Z11rank_kernelIxLj4ELb0EL18RadixRankAlgorithm0ELj512ELj4ELj10EEvPKT_Pi.has_dyn_sized_stack, 0
	.set _Z11rank_kernelIxLj4ELb0EL18RadixRankAlgorithm0ELj512ELj4ELj10EEvPKT_Pi.has_recursion, 0
	.set _Z11rank_kernelIxLj4ELb0EL18RadixRankAlgorithm0ELj512ELj4ELj10EEvPKT_Pi.has_indirect_call, 0
	.section	.AMDGPU.csdata,"",@progbits
; Kernel info:
; codeLenInByte = 1252
; TotalNumSgprs: 41
; NumVgprs: 34
; ScratchSize: 0
; MemoryBound: 0
; FloatMode: 240
; IeeeMode: 1
; LDSByteSize: 16416 bytes/workgroup (compile time only)
; SGPRBlocks: 12
; VGPRBlocks: 9
; NumSGPRsForWavesPerEU: 97
; NumVGPRsForWavesPerEU: 37
; Occupancy: 6
; WaveLimiterHint : 0
; COMPUTE_PGM_RSRC2:SCRATCH_EN: 0
; COMPUTE_PGM_RSRC2:USER_SGPR: 6
; COMPUTE_PGM_RSRC2:TRAP_HANDLER: 0
; COMPUTE_PGM_RSRC2:TGID_X_EN: 1
; COMPUTE_PGM_RSRC2:TGID_Y_EN: 0
; COMPUTE_PGM_RSRC2:TGID_Z_EN: 0
; COMPUTE_PGM_RSRC2:TIDIG_COMP_CNT: 0
	.section	.text._Z11rank_kernelIxLj4ELb0EL18RadixRankAlgorithm1ELj512ELj4ELj10EEvPKT_Pi,"axG",@progbits,_Z11rank_kernelIxLj4ELb0EL18RadixRankAlgorithm1ELj512ELj4ELj10EEvPKT_Pi,comdat
	.protected	_Z11rank_kernelIxLj4ELb0EL18RadixRankAlgorithm1ELj512ELj4ELj10EEvPKT_Pi ; -- Begin function _Z11rank_kernelIxLj4ELb0EL18RadixRankAlgorithm1ELj512ELj4ELj10EEvPKT_Pi
	.globl	_Z11rank_kernelIxLj4ELb0EL18RadixRankAlgorithm1ELj512ELj4ELj10EEvPKT_Pi
	.p2align	8
	.type	_Z11rank_kernelIxLj4ELb0EL18RadixRankAlgorithm1ELj512ELj4ELj10EEvPKT_Pi,@function
_Z11rank_kernelIxLj4ELb0EL18RadixRankAlgorithm1ELj512ELj4ELj10EEvPKT_Pi: ; @_Z11rank_kernelIxLj4ELb0EL18RadixRankAlgorithm1ELj512ELj4ELj10EEvPKT_Pi
; %bb.0:
	s_load_dwordx4 s[24:27], s[4:5], 0x0
	s_lshl_b32 s28, s6, 11
	s_mov_b32 s29, 0
	s_lshl_b64 s[0:1], s[28:29], 3
	v_lshlrev_b32_e32 v17, 5, v0
	s_waitcnt lgkmcnt(0)
	s_add_u32 s0, s24, s0
	s_addc_u32 s1, s25, s1
	global_load_dwordx4 v[1:4], v17, s[0:1]
	global_load_dwordx4 v[5:8], v17, s[0:1] offset:16
	v_mbcnt_lo_u32_b32 v9, -1, 0
	v_mbcnt_hi_u32_b32 v9, -1, v9
	v_or_b32_e32 v10, 63, v0
	v_cmp_eq_u32_e64 s[4:5], v0, v10
	v_subrev_co_u32_e64 v10, s[6:7], 1, v9
	v_and_b32_e32 v15, 64, v9
	v_lshrrev_b32_e32 v11, 4, v0
	v_cmp_lt_i32_e64 s[18:19], v10, v15
	v_mul_i32_i24_e32 v12, 0xffffffe4, v0
	v_and_b32_e32 v13, 15, v9
	v_and_b32_e32 v14, 16, v9
	v_cmp_lt_u32_e64 s[2:3], 31, v9
	v_and_b32_e32 v21, 28, v11
	v_and_b32_e32 v11, 7, v9
	v_cndmask_b32_e64 v9, v10, v9, s[18:19]
	v_mov_b32_e32 v18, 0
	s_movk_i32 s33, 0xdff
	s_movk_i32 s34, 0xe00
	v_lshlrev_b32_e32 v19, 2, v0
	v_cmp_gt_u32_e32 vcc, 8, v0
	v_cmp_lt_u32_e64 s[0:1], 63, v0
	v_or_b32_e32 v20, 0xfffffe00, v0
	v_add_u32_e32 v22, v17, v12
	v_cmp_eq_u32_e64 s[8:9], 0, v13
	v_cmp_lt_u32_e64 s[10:11], 1, v13
	v_cmp_lt_u32_e64 s[12:13], 3, v13
	;; [unrolled: 1-line block ×3, first 2 shown]
	v_cmp_eq_u32_e64 s[16:17], 0, v14
	v_cmp_eq_u32_e64 s[18:19], 0, v11
	v_cmp_lt_u32_e64 s[20:21], 1, v11
	v_cmp_lt_u32_e64 s[22:23], 3, v11
	v_lshlrev_b32_e32 v23, 2, v9
	s_mov_b32 s35, s29
	s_waitcnt vmcnt(1)
	v_xor_b32_e32 v2, 0x80000000, v2
	v_xor_b32_e32 v4, 0x80000000, v4
	s_waitcnt vmcnt(0)
	v_xor_b32_e32 v6, 0x80000000, v6
	v_xor_b32_e32 v8, 0x80000000, v8
	s_branch .LBB124_2
.LBB124_1:                              ;   in Loop: Header=BB124_2 Depth=1
	s_add_i32 s35, s35, 1
	s_cmp_eq_u32 s35, 10
	s_cbranch_scc1 .LBB124_12
.LBB124_2:                              ; =>This Loop Header: Depth=1
                                        ;     Child Loop BB124_4 Depth 2
                                        ;       Child Loop BB124_5 Depth 3
	s_mov_b32 s36, 0
	s_branch .LBB124_4
.LBB124_3:                              ;   in Loop: Header=BB124_4 Depth=2
	s_or_b64 exec, exec, s[24:25]
	s_waitcnt lgkmcnt(0)
	v_add_u32_e32 v12, v32, v12
	ds_bpermute_b32 v12, v23, v12
	ds_read_b32 v33, v18 offset:16412
	s_add_i32 s24, s36, 4
	s_cmp_lt_u32 s36, 60
	s_mov_b32 s36, s24
	s_waitcnt lgkmcnt(1)
	v_cndmask_b32_e64 v12, v12, v32, s[6:7]
	s_waitcnt lgkmcnt(0)
	v_lshl_add_u32 v12, v33, 16, v12
	v_add_u32_e32 v13, v12, v13
	v_add_u32_e32 v14, v13, v14
	;; [unrolled: 1-line block ×7, first 2 shown]
	ds_write2_b64 v17, v[12:13], v[14:15] offset1:1
	ds_write2_b64 v17, v[32:33], v[9:10] offset0:2 offset1:3
	s_waitcnt lgkmcnt(0)
	s_barrier
	s_cbranch_scc0 .LBB124_1
.LBB124_4:                              ;   Parent Loop BB124_2 Depth=1
                                        ; =>  This Loop Header: Depth=2
                                        ;       Child Loop BB124_5 Depth 3
	s_mov_b64 s[30:31], 0
	v_mov_b32_e32 v9, v20
	v_mov_b32_e32 v10, v19
.LBB124_5:                              ;   Parent Loop BB124_2 Depth=1
                                        ;     Parent Loop BB124_4 Depth=2
                                        ; =>    This Inner Loop Header: Depth=3
	v_add_u32_e32 v9, 0x200, v9
	v_cmp_lt_u32_e64 s[24:25], s33, v9
	ds_write_b32 v10, v18
	s_or_b64 s[30:31], s[24:25], s[30:31]
	v_add_u32_e32 v10, 0x800, v10
	s_andn2_b64 exec, exec, s[30:31]
	s_cbranch_execnz .LBB124_5
; %bb.6:                                ;   in Loop: Header=BB124_4 Depth=2
	s_or_b64 exec, exec, s[30:31]
	s_sub_i32 s24, 60, s36
	v_lshlrev_b64 v[9:10], s24, v[1:2]
	v_lshrrev_b32_e32 v9, 19, v10
	v_lshrrev_b32_e32 v10, 30, v10
	v_and_or_b32 v9, v9, s34, v0
	v_and_b32_e32 v10, 2, v10
	v_lshl_or_b32 v25, v9, 2, v10
	ds_read_u16 v24, v25
	v_lshlrev_b64 v[9:10], s24, v[3:4]
	v_lshrrev_b32_e32 v9, 19, v10
	v_lshrrev_b32_e32 v10, 30, v10
	v_and_or_b32 v9, v9, s34, v0
	s_waitcnt lgkmcnt(0)
	v_add_u16_e32 v11, 1, v24
	v_and_b32_e32 v10, 2, v10
	ds_write_b16 v25, v11
	v_lshl_or_b32 v27, v9, 2, v10
	ds_read_u16 v26, v27
	v_lshlrev_b64 v[9:10], s24, v[5:6]
	s_waitcnt lgkmcnt(0)
	v_add_u16_e32 v9, 1, v26
	ds_write_b16 v27, v9
	v_lshrrev_b32_e32 v9, 19, v10
	v_lshrrev_b32_e32 v10, 30, v10
	v_and_or_b32 v9, v9, s34, v0
	v_and_b32_e32 v10, 2, v10
	v_lshl_or_b32 v29, v9, 2, v10
	ds_read_u16 v28, v29
	v_lshlrev_b64 v[9:10], s24, v[7:8]
	v_lshrrev_b32_e32 v9, 19, v10
	v_lshrrev_b32_e32 v10, 30, v10
	s_waitcnt lgkmcnt(0)
	v_add_u16_e32 v11, 1, v28
	v_and_or_b32 v9, v9, s34, v0
	v_and_b32_e32 v10, 2, v10
	ds_write_b16 v29, v11
	v_lshl_or_b32 v31, v9, 2, v10
	ds_read_u16 v30, v31
	s_waitcnt lgkmcnt(0)
	v_add_u16_e32 v9, 1, v30
	ds_write_b16 v31, v9
	s_waitcnt lgkmcnt(0)
	s_barrier
	ds_read2_b64 v[13:16], v17 offset1:1
	ds_read2_b64 v[9:12], v17 offset0:2 offset1:3
	s_waitcnt lgkmcnt(1)
	v_add_u32_e32 v32, v14, v13
	v_add3_u32 v32, v32, v15, v16
	s_waitcnt lgkmcnt(0)
	v_add3_u32 v32, v32, v9, v10
	v_add3_u32 v12, v32, v11, v12
	s_nop 1
	v_mov_b32_dpp v32, v12 row_shr:1 row_mask:0xf bank_mask:0xf
	v_cndmask_b32_e64 v32, v32, 0, s[8:9]
	v_add_u32_e32 v12, v32, v12
	s_nop 1
	v_mov_b32_dpp v32, v12 row_shr:2 row_mask:0xf bank_mask:0xf
	v_cndmask_b32_e64 v32, 0, v32, s[10:11]
	v_add_u32_e32 v12, v12, v32
	;; [unrolled: 4-line block ×4, first 2 shown]
	s_nop 1
	v_mov_b32_dpp v32, v12 row_bcast:15 row_mask:0xf bank_mask:0xf
	v_cndmask_b32_e64 v32, v32, 0, s[16:17]
	v_add_u32_e32 v12, v12, v32
	s_nop 1
	v_mov_b32_dpp v32, v12 row_bcast:31 row_mask:0xf bank_mask:0xf
	v_cndmask_b32_e64 v32, 0, v32, s[2:3]
	v_add_u32_e32 v12, v12, v32
	s_and_saveexec_b64 s[24:25], s[4:5]
; %bb.7:                                ;   in Loop: Header=BB124_4 Depth=2
	ds_write_b32 v21, v12 offset:16384
; %bb.8:                                ;   in Loop: Header=BB124_4 Depth=2
	s_or_b64 exec, exec, s[24:25]
	s_waitcnt lgkmcnt(0)
	s_barrier
	s_and_saveexec_b64 s[24:25], vcc
	s_cbranch_execz .LBB124_10
; %bb.9:                                ;   in Loop: Header=BB124_4 Depth=2
	ds_read_b32 v32, v22 offset:16384
	s_waitcnt lgkmcnt(0)
	s_nop 0
	v_mov_b32_dpp v33, v32 row_shr:1 row_mask:0xf bank_mask:0xf
	v_cndmask_b32_e64 v33, v33, 0, s[18:19]
	v_add_u32_e32 v32, v33, v32
	s_nop 1
	v_mov_b32_dpp v33, v32 row_shr:2 row_mask:0xf bank_mask:0xf
	v_cndmask_b32_e64 v33, 0, v33, s[20:21]
	v_add_u32_e32 v32, v32, v33
	;; [unrolled: 4-line block ×3, first 2 shown]
	ds_write_b32 v22, v32 offset:16384
.LBB124_10:                             ;   in Loop: Header=BB124_4 Depth=2
	s_or_b64 exec, exec, s[24:25]
	v_mov_b32_e32 v32, 0
	s_waitcnt lgkmcnt(0)
	s_barrier
	s_and_saveexec_b64 s[24:25], s[0:1]
	s_cbranch_execz .LBB124_3
; %bb.11:                               ;   in Loop: Header=BB124_4 Depth=2
	ds_read_b32 v32, v21 offset:16380
	s_branch .LBB124_3
.LBB124_12:
	ds_read_u16 v0, v25
	ds_read_u16 v1, v27
	;; [unrolled: 1-line block ×4, first 2 shown]
	s_lshl_b64 s[0:1], s[28:29], 2
	s_add_u32 s0, s26, s0
	s_waitcnt lgkmcnt(3)
	v_add_u32_sdwa v0, v0, v24 dst_sel:DWORD dst_unused:UNUSED_PAD src0_sel:DWORD src1_sel:WORD_0
	s_waitcnt lgkmcnt(2)
	v_add_u32_sdwa v1, v1, v26 dst_sel:DWORD dst_unused:UNUSED_PAD src0_sel:DWORD src1_sel:WORD_0
	s_waitcnt lgkmcnt(1)
	v_add_u32_sdwa v2, v2, v28 dst_sel:DWORD dst_unused:UNUSED_PAD src0_sel:DWORD src1_sel:WORD_0
	s_waitcnt lgkmcnt(0)
	v_add_u32_sdwa v3, v3, v30 dst_sel:DWORD dst_unused:UNUSED_PAD src0_sel:DWORD src1_sel:WORD_0
	s_addc_u32 s1, s27, s1
	v_lshlrev_b32_e32 v4, 2, v19
	global_store_dwordx4 v4, v[0:3], s[0:1]
	s_endpgm
	.section	.rodata,"a",@progbits
	.p2align	6, 0x0
	.amdhsa_kernel _Z11rank_kernelIxLj4ELb0EL18RadixRankAlgorithm1ELj512ELj4ELj10EEvPKT_Pi
		.amdhsa_group_segment_fixed_size 16416
		.amdhsa_private_segment_fixed_size 0
		.amdhsa_kernarg_size 16
		.amdhsa_user_sgpr_count 6
		.amdhsa_user_sgpr_private_segment_buffer 1
		.amdhsa_user_sgpr_dispatch_ptr 0
		.amdhsa_user_sgpr_queue_ptr 0
		.amdhsa_user_sgpr_kernarg_segment_ptr 1
		.amdhsa_user_sgpr_dispatch_id 0
		.amdhsa_user_sgpr_flat_scratch_init 0
		.amdhsa_user_sgpr_private_segment_size 0
		.amdhsa_uses_dynamic_stack 0
		.amdhsa_system_sgpr_private_segment_wavefront_offset 0
		.amdhsa_system_sgpr_workgroup_id_x 1
		.amdhsa_system_sgpr_workgroup_id_y 0
		.amdhsa_system_sgpr_workgroup_id_z 0
		.amdhsa_system_sgpr_workgroup_info 0
		.amdhsa_system_vgpr_workitem_id 0
		.amdhsa_next_free_vgpr 37
		.amdhsa_next_free_sgpr 93
		.amdhsa_reserve_vcc 1
		.amdhsa_reserve_flat_scratch 0
		.amdhsa_float_round_mode_32 0
		.amdhsa_float_round_mode_16_64 0
		.amdhsa_float_denorm_mode_32 3
		.amdhsa_float_denorm_mode_16_64 3
		.amdhsa_dx10_clamp 1
		.amdhsa_ieee_mode 1
		.amdhsa_fp16_overflow 0
		.amdhsa_exception_fp_ieee_invalid_op 0
		.amdhsa_exception_fp_denorm_src 0
		.amdhsa_exception_fp_ieee_div_zero 0
		.amdhsa_exception_fp_ieee_overflow 0
		.amdhsa_exception_fp_ieee_underflow 0
		.amdhsa_exception_fp_ieee_inexact 0
		.amdhsa_exception_int_div_zero 0
	.end_amdhsa_kernel
	.section	.text._Z11rank_kernelIxLj4ELb0EL18RadixRankAlgorithm1ELj512ELj4ELj10EEvPKT_Pi,"axG",@progbits,_Z11rank_kernelIxLj4ELb0EL18RadixRankAlgorithm1ELj512ELj4ELj10EEvPKT_Pi,comdat
.Lfunc_end124:
	.size	_Z11rank_kernelIxLj4ELb0EL18RadixRankAlgorithm1ELj512ELj4ELj10EEvPKT_Pi, .Lfunc_end124-_Z11rank_kernelIxLj4ELb0EL18RadixRankAlgorithm1ELj512ELj4ELj10EEvPKT_Pi
                                        ; -- End function
	.set _Z11rank_kernelIxLj4ELb0EL18RadixRankAlgorithm1ELj512ELj4ELj10EEvPKT_Pi.num_vgpr, 34
	.set _Z11rank_kernelIxLj4ELb0EL18RadixRankAlgorithm1ELj512ELj4ELj10EEvPKT_Pi.num_agpr, 0
	.set _Z11rank_kernelIxLj4ELb0EL18RadixRankAlgorithm1ELj512ELj4ELj10EEvPKT_Pi.numbered_sgpr, 37
	.set _Z11rank_kernelIxLj4ELb0EL18RadixRankAlgorithm1ELj512ELj4ELj10EEvPKT_Pi.num_named_barrier, 0
	.set _Z11rank_kernelIxLj4ELb0EL18RadixRankAlgorithm1ELj512ELj4ELj10EEvPKT_Pi.private_seg_size, 0
	.set _Z11rank_kernelIxLj4ELb0EL18RadixRankAlgorithm1ELj512ELj4ELj10EEvPKT_Pi.uses_vcc, 1
	.set _Z11rank_kernelIxLj4ELb0EL18RadixRankAlgorithm1ELj512ELj4ELj10EEvPKT_Pi.uses_flat_scratch, 0
	.set _Z11rank_kernelIxLj4ELb0EL18RadixRankAlgorithm1ELj512ELj4ELj10EEvPKT_Pi.has_dyn_sized_stack, 0
	.set _Z11rank_kernelIxLj4ELb0EL18RadixRankAlgorithm1ELj512ELj4ELj10EEvPKT_Pi.has_recursion, 0
	.set _Z11rank_kernelIxLj4ELb0EL18RadixRankAlgorithm1ELj512ELj4ELj10EEvPKT_Pi.has_indirect_call, 0
	.section	.AMDGPU.csdata,"",@progbits
; Kernel info:
; codeLenInByte = 1216
; TotalNumSgprs: 41
; NumVgprs: 34
; ScratchSize: 0
; MemoryBound: 0
; FloatMode: 240
; IeeeMode: 1
; LDSByteSize: 16416 bytes/workgroup (compile time only)
; SGPRBlocks: 12
; VGPRBlocks: 9
; NumSGPRsForWavesPerEU: 97
; NumVGPRsForWavesPerEU: 37
; Occupancy: 6
; WaveLimiterHint : 0
; COMPUTE_PGM_RSRC2:SCRATCH_EN: 0
; COMPUTE_PGM_RSRC2:USER_SGPR: 6
; COMPUTE_PGM_RSRC2:TRAP_HANDLER: 0
; COMPUTE_PGM_RSRC2:TGID_X_EN: 1
; COMPUTE_PGM_RSRC2:TGID_Y_EN: 0
; COMPUTE_PGM_RSRC2:TGID_Z_EN: 0
; COMPUTE_PGM_RSRC2:TIDIG_COMP_CNT: 0
	.section	.text._Z11rank_kernelIxLj4ELb0EL18RadixRankAlgorithm2ELj512ELj4ELj10EEvPKT_Pi,"axG",@progbits,_Z11rank_kernelIxLj4ELb0EL18RadixRankAlgorithm2ELj512ELj4ELj10EEvPKT_Pi,comdat
	.protected	_Z11rank_kernelIxLj4ELb0EL18RadixRankAlgorithm2ELj512ELj4ELj10EEvPKT_Pi ; -- Begin function _Z11rank_kernelIxLj4ELb0EL18RadixRankAlgorithm2ELj512ELj4ELj10EEvPKT_Pi
	.globl	_Z11rank_kernelIxLj4ELb0EL18RadixRankAlgorithm2ELj512ELj4ELj10EEvPKT_Pi
	.p2align	8
	.type	_Z11rank_kernelIxLj4ELb0EL18RadixRankAlgorithm2ELj512ELj4ELj10EEvPKT_Pi,@function
_Z11rank_kernelIxLj4ELb0EL18RadixRankAlgorithm2ELj512ELj4ELj10EEvPKT_Pi: ; @_Z11rank_kernelIxLj4ELb0EL18RadixRankAlgorithm2ELj512ELj4ELj10EEvPKT_Pi
; %bb.0:
	s_load_dwordx4 s[28:31], s[4:5], 0x0
	s_load_dword s22, s[4:5], 0x1c
	s_lshl_b32 s34, s6, 11
	s_mov_b32 s35, 0
	s_lshl_b64 s[0:1], s[34:35], 3
	s_waitcnt lgkmcnt(0)
	s_add_u32 s0, s28, s0
	s_addc_u32 s1, s29, s1
	v_lshlrev_b32_e32 v11, 5, v0
	global_load_dwordx4 v[3:6], v11, s[0:1]
	global_load_dwordx4 v[7:10], v11, s[0:1] offset:16
	s_lshr_b32 s23, s22, 16
	v_or_b32_e32 v14, 63, v0
	s_and_b32 s22, s22, 0xffff
	v_mad_u32_u24 v1, v2, s23, v1
	v_mbcnt_lo_u32_b32 v12, -1, 0
	v_lshlrev_b32_e32 v13, 2, v0
	v_cmp_gt_u32_e32 vcc, 8, v0
	v_cmp_lt_u32_e64 s[0:1], 63, v0
	v_lshrrev_b32_e32 v15, 4, v0
	v_cmp_eq_u32_e64 s[4:5], v0, v14
	v_mad_u64_u32 v[0:1], s[22:23], v1, s22, v[0:1]
	v_mbcnt_hi_u32_b32 v12, -1, v12
	v_subrev_co_u32_e64 v18, s[6:7], 1, v12
	v_and_b32_e32 v19, 64, v12
	v_cmp_lt_i32_e64 s[18:19], v18, v19
	v_and_b32_e32 v16, 15, v12
	v_and_b32_e32 v17, 16, v12
	v_cmp_lt_u32_e64 s[2:3], 31, v12
	v_and_b32_e32 v14, 28, v15
	v_and_b32_e32 v15, 7, v12
	v_cndmask_b32_e64 v12, v18, v12, s[18:19]
	v_lshrrev_b32_e32 v0, 4, v0
	v_mov_b32_e32 v11, 0
	v_cmp_eq_u32_e64 s[8:9], 0, v16
	v_cmp_lt_u32_e64 s[10:11], 1, v16
	v_cmp_lt_u32_e64 s[12:13], 3, v16
	;; [unrolled: 1-line block ×3, first 2 shown]
	v_cmp_eq_u32_e64 s[16:17], 0, v17
	v_cmp_eq_u32_e64 s[18:19], 0, v15
	v_cmp_lt_u32_e64 s[20:21], 1, v15
	v_cmp_lt_u32_e64 s[22:23], 3, v15
	v_add_u32_e32 v15, -4, v14
	v_lshlrev_b32_e32 v16, 2, v12
	v_and_b32_e32 v2, 0xffffffc, v0
	s_mov_b32 s33, s35
	s_waitcnt vmcnt(1)
	v_xor_b32_e32 v4, 0x80000000, v4
	v_xor_b32_e32 v6, 0x80000000, v6
	s_waitcnt vmcnt(0)
	v_xor_b32_e32 v8, 0x80000000, v8
	v_xor_b32_e32 v10, 0x80000000, v10
	s_branch .LBB125_2
.LBB125_1:                              ;   in Loop: Header=BB125_2 Depth=1
	s_add_i32 s33, s33, 1
	s_cmp_eq_u32 s33, 10
	s_cbranch_scc1 .LBB125_18
.LBB125_2:                              ; =>This Loop Header: Depth=1
                                        ;     Child Loop BB125_4 Depth 2
	s_mov_b64 s[28:29], 60
	s_mov_b32 s36, -4
	s_branch .LBB125_4
.LBB125_3:                              ;   in Loop: Header=BB125_4 Depth=2
	s_or_b64 exec, exec, s[24:25]
	s_waitcnt lgkmcnt(0)
	v_add_u32_e32 v0, v1, v0
	ds_bpermute_b32 v0, v16, v0
	s_add_i32 s36, s36, 4
	s_add_u32 s28, s28, -4
	s_addc_u32 s29, s29, -1
	s_cmp_lt_u32 s36, 60
	s_waitcnt lgkmcnt(0)
	v_cndmask_b32_e64 v0, v0, v1, s[6:7]
	ds_write_b32 v13, v0 offset:32
	s_waitcnt lgkmcnt(0)
	s_barrier
	s_cbranch_scc0 .LBB125_1
.LBB125_4:                              ;   Parent Loop BB125_2 Depth=1
                                        ; =>  This Inner Loop Header: Depth=2
	v_lshlrev_b64 v[0:1], s28, v[3:4]
	ds_write_b32 v13, v11 offset:32
	v_bfe_u32 v12, v1, 28, 1
	v_add_co_u32_e64 v19, s[24:25], -1, v12
	v_addc_co_u32_e64 v20, s[24:25], 0, -1, s[24:25]
	v_cmp_ne_u32_e64 s[24:25], 0, v12
	v_lshrrev_b32_e32 v18, 28, v1
	v_xor_b32_e32 v12, s25, v20
	v_and_b32_e32 v20, exec_hi, v12
	v_lshlrev_b32_e32 v12, 30, v18
	v_xor_b32_e32 v19, s24, v19
	v_cmp_gt_i64_e64 s[24:25], 0, v[11:12]
	v_not_b32_e32 v12, v12
	v_ashrrev_i32_e32 v12, 31, v12
	v_and_b32_e32 v19, exec_lo, v19
	v_xor_b32_e32 v21, s25, v12
	v_xor_b32_e32 v12, s24, v12
	v_and_b32_e32 v19, v19, v12
	v_lshlrev_b32_e32 v12, 29, v18
	v_cmp_gt_i64_e64 s[24:25], 0, v[11:12]
	v_not_b32_e32 v12, v12
	v_ashrrev_i32_e32 v12, 31, v12
	v_mul_u32_u24_e32 v17, 36, v18
	v_xor_b32_e32 v18, s25, v12
	v_xor_b32_e32 v12, s24, v12
	v_cmp_gt_i64_e64 s[24:25], 0, v[0:1]
	v_not_b32_e32 v0, v1
	v_ashrrev_i32_e32 v0, 31, v0
	v_and_b32_e32 v20, v20, v21
	v_and_b32_e32 v12, v19, v12
	v_xor_b32_e32 v1, s25, v0
	v_xor_b32_e32 v0, s24, v0
	v_and_b32_e32 v18, v20, v18
	v_and_b32_e32 v0, v12, v0
	v_and_b32_e32 v1, v18, v1
	v_mbcnt_lo_u32_b32 v12, v0, 0
	v_mbcnt_hi_u32_b32 v18, v1, v12
	v_cmp_ne_u64_e64 s[24:25], 0, v[0:1]
	v_cmp_eq_u32_e64 s[26:27], 0, v18
	s_and_b64 s[26:27], s[24:25], s[26:27]
	s_waitcnt lgkmcnt(0)
	s_barrier
	; wave barrier
	s_and_saveexec_b64 s[24:25], s[26:27]
; %bb.5:                                ;   in Loop: Header=BB125_4 Depth=2
	v_bcnt_u32_b32 v0, v0, 0
	v_bcnt_u32_b32 v0, v1, v0
	v_add_u32_e32 v1, v2, v17
	ds_write_b32 v1, v0 offset:32
; %bb.6:                                ;   in Loop: Header=BB125_4 Depth=2
	s_or_b64 exec, exec, s[24:25]
	v_lshlrev_b64 v[0:1], s28, v[5:6]
	v_lshrrev_b32_e32 v21, 28, v1
	v_mad_u32_u24 v12, v21, 36, v2
	; wave barrier
	ds_read_b32 v19, v12 offset:32
	v_bfe_u32 v12, v1, 28, 1
	v_add_co_u32_e64 v22, s[24:25], -1, v12
	v_addc_co_u32_e64 v23, s[24:25], 0, -1, s[24:25]
	v_cmp_ne_u32_e64 s[24:25], 0, v12
	v_xor_b32_e32 v12, s25, v23
	v_and_b32_e32 v23, exec_hi, v12
	v_lshlrev_b32_e32 v12, 30, v21
	v_xor_b32_e32 v22, s24, v22
	v_cmp_gt_i64_e64 s[24:25], 0, v[11:12]
	v_not_b32_e32 v12, v12
	v_ashrrev_i32_e32 v12, 31, v12
	v_and_b32_e32 v22, exec_lo, v22
	v_xor_b32_e32 v24, s25, v12
	v_xor_b32_e32 v12, s24, v12
	v_and_b32_e32 v22, v22, v12
	v_lshlrev_b32_e32 v12, 29, v21
	v_cmp_gt_i64_e64 s[24:25], 0, v[11:12]
	v_not_b32_e32 v12, v12
	v_ashrrev_i32_e32 v12, 31, v12
	v_mul_u32_u24_e32 v20, 36, v21
	v_xor_b32_e32 v21, s25, v12
	v_xor_b32_e32 v12, s24, v12
	v_cmp_gt_i64_e64 s[24:25], 0, v[0:1]
	v_not_b32_e32 v0, v1
	v_ashrrev_i32_e32 v0, 31, v0
	v_and_b32_e32 v23, v23, v24
	v_and_b32_e32 v12, v22, v12
	v_xor_b32_e32 v1, s25, v0
	v_xor_b32_e32 v0, s24, v0
	v_and_b32_e32 v21, v23, v21
	v_and_b32_e32 v0, v12, v0
	;; [unrolled: 1-line block ×3, first 2 shown]
	v_mbcnt_lo_u32_b32 v12, v0, 0
	v_mbcnt_hi_u32_b32 v21, v1, v12
	v_cmp_ne_u64_e64 s[24:25], 0, v[0:1]
	v_cmp_eq_u32_e64 s[26:27], 0, v21
	s_and_b64 s[26:27], s[24:25], s[26:27]
	; wave barrier
	s_and_saveexec_b64 s[24:25], s[26:27]
	s_cbranch_execz .LBB125_8
; %bb.7:                                ;   in Loop: Header=BB125_4 Depth=2
	v_bcnt_u32_b32 v0, v0, 0
	v_bcnt_u32_b32 v0, v1, v0
	s_waitcnt lgkmcnt(0)
	v_add_u32_e32 v0, v19, v0
	v_add_u32_e32 v1, v2, v20
	ds_write_b32 v1, v0 offset:32
.LBB125_8:                              ;   in Loop: Header=BB125_4 Depth=2
	s_or_b64 exec, exec, s[24:25]
	v_lshlrev_b64 v[0:1], s28, v[7:8]
	v_lshrrev_b32_e32 v24, 28, v1
	v_mad_u32_u24 v12, v24, 36, v2
	; wave barrier
	ds_read_b32 v22, v12 offset:32
	v_bfe_u32 v12, v1, 28, 1
	v_add_co_u32_e64 v25, s[24:25], -1, v12
	v_addc_co_u32_e64 v26, s[24:25], 0, -1, s[24:25]
	v_cmp_ne_u32_e64 s[24:25], 0, v12
	v_xor_b32_e32 v12, s25, v26
	v_and_b32_e32 v26, exec_hi, v12
	v_lshlrev_b32_e32 v12, 30, v24
	v_xor_b32_e32 v25, s24, v25
	v_cmp_gt_i64_e64 s[24:25], 0, v[11:12]
	v_not_b32_e32 v12, v12
	v_ashrrev_i32_e32 v12, 31, v12
	v_and_b32_e32 v25, exec_lo, v25
	v_xor_b32_e32 v27, s25, v12
	v_xor_b32_e32 v12, s24, v12
	v_and_b32_e32 v25, v25, v12
	v_lshlrev_b32_e32 v12, 29, v24
	v_cmp_gt_i64_e64 s[24:25], 0, v[11:12]
	v_not_b32_e32 v12, v12
	v_ashrrev_i32_e32 v12, 31, v12
	v_mul_u32_u24_e32 v23, 36, v24
	v_xor_b32_e32 v24, s25, v12
	v_xor_b32_e32 v12, s24, v12
	v_cmp_gt_i64_e64 s[24:25], 0, v[0:1]
	v_not_b32_e32 v0, v1
	v_ashrrev_i32_e32 v0, 31, v0
	v_and_b32_e32 v26, v26, v27
	v_and_b32_e32 v12, v25, v12
	v_xor_b32_e32 v1, s25, v0
	v_xor_b32_e32 v0, s24, v0
	v_and_b32_e32 v24, v26, v24
	v_and_b32_e32 v0, v12, v0
	v_and_b32_e32 v1, v24, v1
	v_mbcnt_lo_u32_b32 v12, v0, 0
	v_mbcnt_hi_u32_b32 v24, v1, v12
	v_cmp_ne_u64_e64 s[24:25], 0, v[0:1]
	v_cmp_eq_u32_e64 s[26:27], 0, v24
	s_and_b64 s[26:27], s[24:25], s[26:27]
	; wave barrier
	s_and_saveexec_b64 s[24:25], s[26:27]
	s_cbranch_execz .LBB125_10
; %bb.9:                                ;   in Loop: Header=BB125_4 Depth=2
	v_bcnt_u32_b32 v0, v0, 0
	v_bcnt_u32_b32 v0, v1, v0
	s_waitcnt lgkmcnt(0)
	v_add_u32_e32 v0, v22, v0
	v_add_u32_e32 v1, v2, v23
	ds_write_b32 v1, v0 offset:32
.LBB125_10:                             ;   in Loop: Header=BB125_4 Depth=2
	s_or_b64 exec, exec, s[24:25]
	v_lshlrev_b64 v[0:1], s28, v[9:10]
	v_lshrrev_b32_e32 v27, 28, v1
	v_mad_u32_u24 v12, v27, 36, v2
	; wave barrier
	ds_read_b32 v25, v12 offset:32
	v_bfe_u32 v12, v1, 28, 1
	v_add_co_u32_e64 v28, s[24:25], -1, v12
	v_addc_co_u32_e64 v29, s[24:25], 0, -1, s[24:25]
	v_cmp_ne_u32_e64 s[24:25], 0, v12
	v_xor_b32_e32 v12, s25, v29
	v_and_b32_e32 v29, exec_hi, v12
	v_lshlrev_b32_e32 v12, 30, v27
	v_xor_b32_e32 v28, s24, v28
	v_cmp_gt_i64_e64 s[24:25], 0, v[11:12]
	v_not_b32_e32 v12, v12
	v_ashrrev_i32_e32 v12, 31, v12
	v_and_b32_e32 v28, exec_lo, v28
	v_xor_b32_e32 v30, s25, v12
	v_xor_b32_e32 v12, s24, v12
	v_and_b32_e32 v28, v28, v12
	v_lshlrev_b32_e32 v12, 29, v27
	v_cmp_gt_i64_e64 s[24:25], 0, v[11:12]
	v_not_b32_e32 v12, v12
	v_ashrrev_i32_e32 v12, 31, v12
	v_mul_u32_u24_e32 v26, 36, v27
	v_xor_b32_e32 v27, s25, v12
	v_xor_b32_e32 v12, s24, v12
	v_cmp_gt_i64_e64 s[24:25], 0, v[0:1]
	v_not_b32_e32 v0, v1
	v_ashrrev_i32_e32 v0, 31, v0
	v_and_b32_e32 v29, v29, v30
	v_and_b32_e32 v12, v28, v12
	v_xor_b32_e32 v1, s25, v0
	v_xor_b32_e32 v0, s24, v0
	v_and_b32_e32 v27, v29, v27
	v_and_b32_e32 v0, v12, v0
	;; [unrolled: 1-line block ×3, first 2 shown]
	v_mbcnt_lo_u32_b32 v12, v0, 0
	v_mbcnt_hi_u32_b32 v12, v1, v12
	v_cmp_ne_u64_e64 s[24:25], 0, v[0:1]
	v_cmp_eq_u32_e64 s[26:27], 0, v12
	s_and_b64 s[26:27], s[24:25], s[26:27]
	; wave barrier
	s_and_saveexec_b64 s[24:25], s[26:27]
	s_cbranch_execz .LBB125_12
; %bb.11:                               ;   in Loop: Header=BB125_4 Depth=2
	v_bcnt_u32_b32 v0, v0, 0
	v_bcnt_u32_b32 v0, v1, v0
	s_waitcnt lgkmcnt(0)
	v_add_u32_e32 v0, v25, v0
	v_add_u32_e32 v1, v2, v26
	ds_write_b32 v1, v0 offset:32
.LBB125_12:                             ;   in Loop: Header=BB125_4 Depth=2
	s_or_b64 exec, exec, s[24:25]
	; wave barrier
	s_waitcnt lgkmcnt(0)
	s_barrier
	ds_read_b32 v0, v13 offset:32
	s_waitcnt lgkmcnt(0)
	s_nop 0
	v_mov_b32_dpp v1, v0 row_shr:1 row_mask:0xf bank_mask:0xf
	v_cndmask_b32_e64 v1, v1, 0, s[8:9]
	v_add_u32_e32 v0, v1, v0
	s_nop 1
	v_mov_b32_dpp v1, v0 row_shr:2 row_mask:0xf bank_mask:0xf
	v_cndmask_b32_e64 v1, 0, v1, s[10:11]
	v_add_u32_e32 v0, v0, v1
	;; [unrolled: 4-line block ×4, first 2 shown]
	s_nop 1
	v_mov_b32_dpp v1, v0 row_bcast:15 row_mask:0xf bank_mask:0xf
	v_cndmask_b32_e64 v1, v1, 0, s[16:17]
	v_add_u32_e32 v0, v0, v1
	s_nop 1
	v_mov_b32_dpp v1, v0 row_bcast:31 row_mask:0xf bank_mask:0xf
	v_cndmask_b32_e64 v1, 0, v1, s[2:3]
	v_add_u32_e32 v0, v0, v1
	s_and_saveexec_b64 s[24:25], s[4:5]
; %bb.13:                               ;   in Loop: Header=BB125_4 Depth=2
	ds_write_b32 v14, v0
; %bb.14:                               ;   in Loop: Header=BB125_4 Depth=2
	s_or_b64 exec, exec, s[24:25]
	s_waitcnt lgkmcnt(0)
	s_barrier
	s_and_saveexec_b64 s[24:25], vcc
	s_cbranch_execz .LBB125_16
; %bb.15:                               ;   in Loop: Header=BB125_4 Depth=2
	ds_read_b32 v1, v13
	s_waitcnt lgkmcnt(0)
	s_nop 0
	v_mov_b32_dpp v27, v1 row_shr:1 row_mask:0xf bank_mask:0xf
	v_cndmask_b32_e64 v27, v27, 0, s[18:19]
	v_add_u32_e32 v1, v27, v1
	s_nop 1
	v_mov_b32_dpp v27, v1 row_shr:2 row_mask:0xf bank_mask:0xf
	v_cndmask_b32_e64 v27, 0, v27, s[20:21]
	v_add_u32_e32 v1, v1, v27
	;; [unrolled: 4-line block ×3, first 2 shown]
	ds_write_b32 v13, v1
.LBB125_16:                             ;   in Loop: Header=BB125_4 Depth=2
	s_or_b64 exec, exec, s[24:25]
	v_mov_b32_e32 v1, 0
	s_waitcnt lgkmcnt(0)
	s_barrier
	s_and_saveexec_b64 s[24:25], s[0:1]
	s_cbranch_execz .LBB125_3
; %bb.17:                               ;   in Loop: Header=BB125_4 Depth=2
	ds_read_b32 v1, v15
	s_branch .LBB125_3
.LBB125_18:
	v_add_u32_e32 v0, v2, v26
	v_add_u32_e32 v1, v2, v23
	v_add_u32_e32 v3, v2, v20
	v_add_u32_e32 v2, v2, v17
	ds_read_b32 v2, v2 offset:32
	ds_read_b32 v3, v3 offset:32
	;; [unrolled: 1-line block ×4, first 2 shown]
	s_lshl_b64 s[0:1], s[34:35], 2
	s_add_u32 s0, s30, s0
	s_waitcnt lgkmcnt(3)
	v_add_u32_e32 v0, v2, v18
	s_waitcnt lgkmcnt(2)
	v_add3_u32 v1, v21, v19, v3
	s_waitcnt lgkmcnt(1)
	v_add3_u32 v2, v24, v22, v4
	;; [unrolled: 2-line block ×3, first 2 shown]
	s_addc_u32 s1, s31, s1
	v_lshlrev_b32_e32 v4, 2, v13
	global_store_dwordx4 v4, v[0:3], s[0:1]
	s_endpgm
	.section	.rodata,"a",@progbits
	.p2align	6, 0x0
	.amdhsa_kernel _Z11rank_kernelIxLj4ELb0EL18RadixRankAlgorithm2ELj512ELj4ELj10EEvPKT_Pi
		.amdhsa_group_segment_fixed_size 2080
		.amdhsa_private_segment_fixed_size 0
		.amdhsa_kernarg_size 272
		.amdhsa_user_sgpr_count 6
		.amdhsa_user_sgpr_private_segment_buffer 1
		.amdhsa_user_sgpr_dispatch_ptr 0
		.amdhsa_user_sgpr_queue_ptr 0
		.amdhsa_user_sgpr_kernarg_segment_ptr 1
		.amdhsa_user_sgpr_dispatch_id 0
		.amdhsa_user_sgpr_flat_scratch_init 0
		.amdhsa_user_sgpr_private_segment_size 0
		.amdhsa_uses_dynamic_stack 0
		.amdhsa_system_sgpr_private_segment_wavefront_offset 0
		.amdhsa_system_sgpr_workgroup_id_x 1
		.amdhsa_system_sgpr_workgroup_id_y 0
		.amdhsa_system_sgpr_workgroup_id_z 0
		.amdhsa_system_sgpr_workgroup_info 0
		.amdhsa_system_vgpr_workitem_id 2
		.amdhsa_next_free_vgpr 31
		.amdhsa_next_free_sgpr 37
		.amdhsa_reserve_vcc 1
		.amdhsa_reserve_flat_scratch 0
		.amdhsa_float_round_mode_32 0
		.amdhsa_float_round_mode_16_64 0
		.amdhsa_float_denorm_mode_32 3
		.amdhsa_float_denorm_mode_16_64 3
		.amdhsa_dx10_clamp 1
		.amdhsa_ieee_mode 1
		.amdhsa_fp16_overflow 0
		.amdhsa_exception_fp_ieee_invalid_op 0
		.amdhsa_exception_fp_denorm_src 0
		.amdhsa_exception_fp_ieee_div_zero 0
		.amdhsa_exception_fp_ieee_overflow 0
		.amdhsa_exception_fp_ieee_underflow 0
		.amdhsa_exception_fp_ieee_inexact 0
		.amdhsa_exception_int_div_zero 0
	.end_amdhsa_kernel
	.section	.text._Z11rank_kernelIxLj4ELb0EL18RadixRankAlgorithm2ELj512ELj4ELj10EEvPKT_Pi,"axG",@progbits,_Z11rank_kernelIxLj4ELb0EL18RadixRankAlgorithm2ELj512ELj4ELj10EEvPKT_Pi,comdat
.Lfunc_end125:
	.size	_Z11rank_kernelIxLj4ELb0EL18RadixRankAlgorithm2ELj512ELj4ELj10EEvPKT_Pi, .Lfunc_end125-_Z11rank_kernelIxLj4ELb0EL18RadixRankAlgorithm2ELj512ELj4ELj10EEvPKT_Pi
                                        ; -- End function
	.set _Z11rank_kernelIxLj4ELb0EL18RadixRankAlgorithm2ELj512ELj4ELj10EEvPKT_Pi.num_vgpr, 31
	.set _Z11rank_kernelIxLj4ELb0EL18RadixRankAlgorithm2ELj512ELj4ELj10EEvPKT_Pi.num_agpr, 0
	.set _Z11rank_kernelIxLj4ELb0EL18RadixRankAlgorithm2ELj512ELj4ELj10EEvPKT_Pi.numbered_sgpr, 37
	.set _Z11rank_kernelIxLj4ELb0EL18RadixRankAlgorithm2ELj512ELj4ELj10EEvPKT_Pi.num_named_barrier, 0
	.set _Z11rank_kernelIxLj4ELb0EL18RadixRankAlgorithm2ELj512ELj4ELj10EEvPKT_Pi.private_seg_size, 0
	.set _Z11rank_kernelIxLj4ELb0EL18RadixRankAlgorithm2ELj512ELj4ELj10EEvPKT_Pi.uses_vcc, 1
	.set _Z11rank_kernelIxLj4ELb0EL18RadixRankAlgorithm2ELj512ELj4ELj10EEvPKT_Pi.uses_flat_scratch, 0
	.set _Z11rank_kernelIxLj4ELb0EL18RadixRankAlgorithm2ELj512ELj4ELj10EEvPKT_Pi.has_dyn_sized_stack, 0
	.set _Z11rank_kernelIxLj4ELb0EL18RadixRankAlgorithm2ELj512ELj4ELj10EEvPKT_Pi.has_recursion, 0
	.set _Z11rank_kernelIxLj4ELb0EL18RadixRankAlgorithm2ELj512ELj4ELj10EEvPKT_Pi.has_indirect_call, 0
	.section	.AMDGPU.csdata,"",@progbits
; Kernel info:
; codeLenInByte = 1920
; TotalNumSgprs: 41
; NumVgprs: 31
; ScratchSize: 0
; MemoryBound: 0
; FloatMode: 240
; IeeeMode: 1
; LDSByteSize: 2080 bytes/workgroup (compile time only)
; SGPRBlocks: 5
; VGPRBlocks: 7
; NumSGPRsForWavesPerEU: 41
; NumVGPRsForWavesPerEU: 31
; Occupancy: 8
; WaveLimiterHint : 0
; COMPUTE_PGM_RSRC2:SCRATCH_EN: 0
; COMPUTE_PGM_RSRC2:USER_SGPR: 6
; COMPUTE_PGM_RSRC2:TRAP_HANDLER: 0
; COMPUTE_PGM_RSRC2:TGID_X_EN: 1
; COMPUTE_PGM_RSRC2:TGID_Y_EN: 0
; COMPUTE_PGM_RSRC2:TGID_Z_EN: 0
; COMPUTE_PGM_RSRC2:TIDIG_COMP_CNT: 2
	.section	.text._Z11rank_kernelIxLj4ELb0EL18RadixRankAlgorithm0ELj512ELj8ELj10EEvPKT_Pi,"axG",@progbits,_Z11rank_kernelIxLj4ELb0EL18RadixRankAlgorithm0ELj512ELj8ELj10EEvPKT_Pi,comdat
	.protected	_Z11rank_kernelIxLj4ELb0EL18RadixRankAlgorithm0ELj512ELj8ELj10EEvPKT_Pi ; -- Begin function _Z11rank_kernelIxLj4ELb0EL18RadixRankAlgorithm0ELj512ELj8ELj10EEvPKT_Pi
	.globl	_Z11rank_kernelIxLj4ELb0EL18RadixRankAlgorithm0ELj512ELj8ELj10EEvPKT_Pi
	.p2align	8
	.type	_Z11rank_kernelIxLj4ELb0EL18RadixRankAlgorithm0ELj512ELj8ELj10EEvPKT_Pi,@function
_Z11rank_kernelIxLj4ELb0EL18RadixRankAlgorithm0ELj512ELj8ELj10EEvPKT_Pi: ; @_Z11rank_kernelIxLj4ELb0EL18RadixRankAlgorithm0ELj512ELj8ELj10EEvPKT_Pi
; %bb.0:
	s_load_dwordx4 s[24:27], s[4:5], 0x0
	s_lshl_b32 s28, s6, 12
	s_mov_b32 s29, 0
	s_lshl_b64 s[0:1], s[28:29], 3
	v_lshlrev_b32_e32 v17, 6, v0
	s_waitcnt lgkmcnt(0)
	s_add_u32 s0, s24, s0
	s_addc_u32 s1, s25, s1
	global_load_dwordx4 v[1:4], v17, s[0:1]
	global_load_dwordx4 v[5:8], v17, s[0:1] offset:16
	global_load_dwordx4 v[9:12], v17, s[0:1] offset:32
	;; [unrolled: 1-line block ×3, first 2 shown]
	v_mbcnt_lo_u32_b32 v20, -1, 0
	v_mbcnt_hi_u32_b32 v24, -1, v20
	v_subrev_co_u32_e64 v28, s[6:7], 1, v24
	v_and_b32_e32 v29, 64, v24
	v_cmp_lt_i32_e64 s[18:19], v28, v29
	v_lshlrev_b32_e32 v19, 5, v0
	v_or_b32_e32 v22, 63, v0
	v_lshrrev_b32_e32 v23, 4, v0
	v_mul_i32_i24_e32 v25, 0xffffffe4, v0
	v_and_b32_e32 v26, 15, v24
	v_and_b32_e32 v27, 16, v24
	v_cmp_lt_u32_e64 s[2:3], 31, v24
	v_and_b32_e32 v30, 7, v24
	v_cndmask_b32_e64 v24, v28, v24, s[18:19]
	v_mov_b32_e32 v17, 0
	s_movk_i32 s33, 0xdff
	s_movk_i32 s34, 0xe00
	v_lshlrev_b32_e32 v18, 3, v0
	v_cmp_gt_u32_e32 vcc, 8, v0
	v_cmp_lt_u32_e64 s[0:1], 63, v0
	v_lshlrev_b32_e32 v20, 2, v0
	v_or_b32_e32 v21, 0xfffffe00, v0
	v_cmp_eq_u32_e64 s[4:5], v0, v22
	v_and_b32_e32 v22, 28, v23
	v_add_u32_e32 v23, v19, v25
	v_cmp_eq_u32_e64 s[8:9], 0, v26
	v_cmp_lt_u32_e64 s[10:11], 1, v26
	v_cmp_lt_u32_e64 s[12:13], 3, v26
	;; [unrolled: 1-line block ×3, first 2 shown]
	v_cmp_eq_u32_e64 s[16:17], 0, v27
	v_cmp_eq_u32_e64 s[18:19], 0, v30
	v_cmp_lt_u32_e64 s[20:21], 1, v30
	v_cmp_lt_u32_e64 s[22:23], 3, v30
	v_lshlrev_b32_e32 v24, 2, v24
	s_mov_b32 s35, s29
	s_waitcnt vmcnt(3)
	v_xor_b32_e32 v2, 0x80000000, v2
	v_xor_b32_e32 v4, 0x80000000, v4
	s_waitcnt vmcnt(2)
	v_xor_b32_e32 v6, 0x80000000, v6
	v_xor_b32_e32 v8, 0x80000000, v8
	;; [unrolled: 3-line block ×4, first 2 shown]
	s_branch .LBB126_2
.LBB126_1:                              ;   in Loop: Header=BB126_2 Depth=1
	s_add_i32 s35, s35, 1
	s_cmp_eq_u32 s35, 10
	s_cbranch_scc1 .LBB126_12
.LBB126_2:                              ; =>This Loop Header: Depth=1
                                        ;     Child Loop BB126_4 Depth 2
                                        ;       Child Loop BB126_5 Depth 3
	s_mov_b32 s36, 0
	s_branch .LBB126_4
.LBB126_3:                              ;   in Loop: Header=BB126_4 Depth=2
	s_or_b64 exec, exec, s[24:25]
	s_waitcnt lgkmcnt(0)
	v_add_u32_e32 v41, v42, v41
	ds_bpermute_b32 v41, v24, v41
	s_add_i32 s24, s36, 4
	s_cmp_lt_u32 s36, 60
	s_mov_b32 s36, s24
	s_waitcnt lgkmcnt(0)
	v_cndmask_b32_e64 v41, v41, v42, s[6:7]
	ds_read_b32 v42, v17 offset:16412
	s_waitcnt lgkmcnt(0)
	v_lshl_add_u32 v45, v42, 16, v41
	ds_read2_b64 v[41:44], v19 offset1:1
	s_waitcnt lgkmcnt(0)
	v_add_u32_e32 v46, v45, v41
	v_add_u32_e32 v41, v42, v46
	;; [unrolled: 1-line block ×3, first 2 shown]
	ds_write2_b64 v19, v[45:46], v[41:42] offset1:1
	v_add_u32_e32 v41, v44, v42
	ds_read_b64 v[42:43], v19 offset:16
	ds_read_b32 v44, v19 offset:24
	s_waitcnt lgkmcnt(1)
	v_add_u32_e32 v42, v42, v41
	v_add_u32_e32 v43, v43, v42
	s_waitcnt lgkmcnt(0)
	v_add_u32_e32 v44, v44, v43
	ds_write2_b64 v19, v[41:42], v[43:44] offset0:2 offset1:3
	s_waitcnt lgkmcnt(0)
	s_barrier
	s_cbranch_scc0 .LBB126_1
.LBB126_4:                              ;   Parent Loop BB126_2 Depth=1
                                        ; =>  This Loop Header: Depth=2
                                        ;       Child Loop BB126_5 Depth 3
	s_mov_b64 s[30:31], 0
	v_mov_b32_e32 v25, v21
	v_mov_b32_e32 v26, v20
.LBB126_5:                              ;   Parent Loop BB126_2 Depth=1
                                        ;     Parent Loop BB126_4 Depth=2
                                        ; =>    This Inner Loop Header: Depth=3
	v_add_u32_e32 v25, 0x200, v25
	v_cmp_lt_u32_e64 s[24:25], s33, v25
	ds_write_b32 v26, v17
	s_or_b64 s[30:31], s[24:25], s[30:31]
	v_add_u32_e32 v26, 0x800, v26
	s_andn2_b64 exec, exec, s[30:31]
	s_cbranch_execnz .LBB126_5
; %bb.6:                                ;   in Loop: Header=BB126_4 Depth=2
	s_or_b64 exec, exec, s[30:31]
	s_sub_i32 s24, 60, s36
	v_lshlrev_b64 v[25:26], s24, v[1:2]
	v_lshlrev_b64 v[27:28], s24, v[3:4]
	v_lshrrev_b32_e32 v25, 19, v26
	v_lshrrev_b32_e32 v26, 30, v26
	v_and_or_b32 v25, v25, s34, v0
	v_and_b32_e32 v26, 2, v26
	v_lshl_or_b32 v26, v25, 2, v26
	ds_read_u16 v25, v26
	v_lshrrev_b32_e32 v27, 19, v28
	v_lshrrev_b32_e32 v28, 30, v28
	v_and_or_b32 v27, v27, s34, v0
	v_and_b32_e32 v28, 2, v28
	s_waitcnt lgkmcnt(0)
	v_add_u16_e32 v29, 1, v25
	ds_write_b16 v26, v29
	v_lshl_or_b32 v28, v27, 2, v28
	ds_read_u16 v27, v28
	v_lshlrev_b64 v[29:30], s24, v[5:6]
	v_lshlrev_b64 v[31:32], s24, v[7:8]
	v_lshrrev_b32_e32 v31, 19, v32
	s_waitcnt lgkmcnt(0)
	v_add_u16_e32 v29, 1, v27
	ds_write_b16 v28, v29
	v_lshrrev_b32_e32 v29, 19, v30
	v_lshrrev_b32_e32 v30, 30, v30
	v_and_or_b32 v29, v29, s34, v0
	v_and_b32_e32 v30, 2, v30
	v_lshl_or_b32 v30, v29, 2, v30
	ds_read_u16 v29, v30
	v_lshrrev_b32_e32 v32, 30, v32
	v_and_or_b32 v31, v31, s34, v0
	v_and_b32_e32 v32, 2, v32
	v_lshl_or_b32 v32, v31, 2, v32
	s_waitcnt lgkmcnt(0)
	v_add_u16_e32 v33, 1, v29
	ds_write_b16 v30, v33
	ds_read_u16 v31, v32
	v_lshlrev_b64 v[33:34], s24, v[9:10]
	v_lshrrev_b32_e32 v33, 19, v34
	v_lshrrev_b32_e32 v34, 30, v34
	s_waitcnt lgkmcnt(0)
	v_add_u16_e32 v35, 1, v31
	v_and_or_b32 v33, v33, s34, v0
	v_and_b32_e32 v34, 2, v34
	ds_write_b16 v32, v35
	v_lshl_or_b32 v34, v33, 2, v34
	ds_read_u16 v33, v34
	s_waitcnt lgkmcnt(0)
	v_add_u16_e32 v35, 1, v33
	ds_write_b16 v34, v35
	v_lshlrev_b64 v[35:36], s24, v[11:12]
	v_lshrrev_b32_e32 v35, 19, v36
	v_lshrrev_b32_e32 v36, 30, v36
	v_and_or_b32 v35, v35, s34, v0
	v_and_b32_e32 v36, 2, v36
	v_lshl_or_b32 v36, v35, 2, v36
	ds_read_u16 v35, v36
	s_waitcnt lgkmcnt(0)
	v_add_u16_e32 v37, 1, v35
	ds_write_b16 v36, v37
	v_lshlrev_b64 v[37:38], s24, v[13:14]
	v_lshrrev_b32_e32 v37, 19, v38
	v_lshrrev_b32_e32 v38, 30, v38
	v_and_or_b32 v37, v37, s34, v0
	v_and_b32_e32 v38, 2, v38
	v_lshl_or_b32 v38, v37, 2, v38
	ds_read_u16 v37, v38
	s_waitcnt lgkmcnt(0)
	v_add_u16_e32 v39, 1, v37
	ds_write_b16 v38, v39
	v_lshlrev_b64 v[39:40], s24, v[15:16]
	v_lshrrev_b32_e32 v39, 19, v40
	v_lshrrev_b32_e32 v40, 30, v40
	v_and_or_b32 v39, v39, s34, v0
	v_and_b32_e32 v40, 2, v40
	v_lshl_or_b32 v40, v39, 2, v40
	ds_read_u16 v39, v40
	s_waitcnt lgkmcnt(0)
	v_add_u16_e32 v41, 1, v39
	ds_write_b16 v40, v41
	s_waitcnt lgkmcnt(0)
	s_barrier
	ds_read2_b64 v[41:44], v19 offset1:1
	s_waitcnt lgkmcnt(0)
	v_add_u32_e32 v41, v42, v41
	v_add3_u32 v45, v41, v43, v44
	ds_read2_b64 v[41:44], v19 offset0:2 offset1:3
	s_waitcnt lgkmcnt(0)
	v_add3_u32 v41, v45, v41, v42
	v_add3_u32 v41, v41, v43, v44
	s_nop 1
	v_mov_b32_dpp v42, v41 row_shr:1 row_mask:0xf bank_mask:0xf
	v_cndmask_b32_e64 v42, v42, 0, s[8:9]
	v_add_u32_e32 v41, v42, v41
	s_nop 1
	v_mov_b32_dpp v42, v41 row_shr:2 row_mask:0xf bank_mask:0xf
	v_cndmask_b32_e64 v42, 0, v42, s[10:11]
	v_add_u32_e32 v41, v41, v42
	;; [unrolled: 4-line block ×4, first 2 shown]
	s_nop 1
	v_mov_b32_dpp v42, v41 row_bcast:15 row_mask:0xf bank_mask:0xf
	v_cndmask_b32_e64 v42, v42, 0, s[16:17]
	v_add_u32_e32 v41, v41, v42
	s_nop 1
	v_mov_b32_dpp v42, v41 row_bcast:31 row_mask:0xf bank_mask:0xf
	v_cndmask_b32_e64 v42, 0, v42, s[2:3]
	v_add_u32_e32 v41, v41, v42
	s_and_saveexec_b64 s[24:25], s[4:5]
; %bb.7:                                ;   in Loop: Header=BB126_4 Depth=2
	ds_write_b32 v22, v41 offset:16384
; %bb.8:                                ;   in Loop: Header=BB126_4 Depth=2
	s_or_b64 exec, exec, s[24:25]
	s_waitcnt lgkmcnt(0)
	s_barrier
	s_and_saveexec_b64 s[24:25], vcc
	s_cbranch_execz .LBB126_10
; %bb.9:                                ;   in Loop: Header=BB126_4 Depth=2
	ds_read_b32 v42, v23 offset:16384
	s_waitcnt lgkmcnt(0)
	s_nop 0
	v_mov_b32_dpp v43, v42 row_shr:1 row_mask:0xf bank_mask:0xf
	v_cndmask_b32_e64 v43, v43, 0, s[18:19]
	v_add_u32_e32 v42, v43, v42
	s_nop 1
	v_mov_b32_dpp v43, v42 row_shr:2 row_mask:0xf bank_mask:0xf
	v_cndmask_b32_e64 v43, 0, v43, s[20:21]
	v_add_u32_e32 v42, v42, v43
	;; [unrolled: 4-line block ×3, first 2 shown]
	ds_write_b32 v23, v42 offset:16384
.LBB126_10:                             ;   in Loop: Header=BB126_4 Depth=2
	s_or_b64 exec, exec, s[24:25]
	v_mov_b32_e32 v42, 0
	s_waitcnt lgkmcnt(0)
	s_barrier
	s_and_saveexec_b64 s[24:25], s[0:1]
	s_cbranch_execz .LBB126_3
; %bb.11:                               ;   in Loop: Header=BB126_4 Depth=2
	ds_read_b32 v42, v22 offset:16380
	s_branch .LBB126_3
.LBB126_12:
	ds_read_u16 v3, v32
	ds_read_u16 v2, v30
	;; [unrolled: 1-line block ×8, first 2 shown]
	s_lshl_b64 s[0:1], s[28:29], 2
	s_add_u32 s0, s26, s0
	s_waitcnt lgkmcnt(4)
	v_add_u32_sdwa v0, v0, v25 dst_sel:DWORD dst_unused:UNUSED_PAD src0_sel:DWORD src1_sel:WORD_0
	v_add_u32_sdwa v1, v1, v27 dst_sel:DWORD dst_unused:UNUSED_PAD src0_sel:DWORD src1_sel:WORD_0
	;; [unrolled: 1-line block ×4, first 2 shown]
	s_addc_u32 s1, s27, s1
	v_lshlrev_b32_e32 v8, 2, v18
	s_waitcnt lgkmcnt(0)
	v_add_u32_sdwa v4, v4, v33 dst_sel:DWORD dst_unused:UNUSED_PAD src0_sel:DWORD src1_sel:WORD_0
	v_add_u32_sdwa v5, v5, v35 dst_sel:DWORD dst_unused:UNUSED_PAD src0_sel:DWORD src1_sel:WORD_0
	;; [unrolled: 1-line block ×4, first 2 shown]
	global_store_dwordx4 v8, v[0:3], s[0:1]
	global_store_dwordx4 v8, v[4:7], s[0:1] offset:16
	s_endpgm
	.section	.rodata,"a",@progbits
	.p2align	6, 0x0
	.amdhsa_kernel _Z11rank_kernelIxLj4ELb0EL18RadixRankAlgorithm0ELj512ELj8ELj10EEvPKT_Pi
		.amdhsa_group_segment_fixed_size 16416
		.amdhsa_private_segment_fixed_size 0
		.amdhsa_kernarg_size 16
		.amdhsa_user_sgpr_count 6
		.amdhsa_user_sgpr_private_segment_buffer 1
		.amdhsa_user_sgpr_dispatch_ptr 0
		.amdhsa_user_sgpr_queue_ptr 0
		.amdhsa_user_sgpr_kernarg_segment_ptr 1
		.amdhsa_user_sgpr_dispatch_id 0
		.amdhsa_user_sgpr_flat_scratch_init 0
		.amdhsa_user_sgpr_private_segment_size 0
		.amdhsa_uses_dynamic_stack 0
		.amdhsa_system_sgpr_private_segment_wavefront_offset 0
		.amdhsa_system_sgpr_workgroup_id_x 1
		.amdhsa_system_sgpr_workgroup_id_y 0
		.amdhsa_system_sgpr_workgroup_id_z 0
		.amdhsa_system_sgpr_workgroup_info 0
		.amdhsa_system_vgpr_workitem_id 0
		.amdhsa_next_free_vgpr 47
		.amdhsa_next_free_sgpr 93
		.amdhsa_reserve_vcc 1
		.amdhsa_reserve_flat_scratch 0
		.amdhsa_float_round_mode_32 0
		.amdhsa_float_round_mode_16_64 0
		.amdhsa_float_denorm_mode_32 3
		.amdhsa_float_denorm_mode_16_64 3
		.amdhsa_dx10_clamp 1
		.amdhsa_ieee_mode 1
		.amdhsa_fp16_overflow 0
		.amdhsa_exception_fp_ieee_invalid_op 0
		.amdhsa_exception_fp_denorm_src 0
		.amdhsa_exception_fp_ieee_div_zero 0
		.amdhsa_exception_fp_ieee_overflow 0
		.amdhsa_exception_fp_ieee_underflow 0
		.amdhsa_exception_fp_ieee_inexact 0
		.amdhsa_exception_int_div_zero 0
	.end_amdhsa_kernel
	.section	.text._Z11rank_kernelIxLj4ELb0EL18RadixRankAlgorithm0ELj512ELj8ELj10EEvPKT_Pi,"axG",@progbits,_Z11rank_kernelIxLj4ELb0EL18RadixRankAlgorithm0ELj512ELj8ELj10EEvPKT_Pi,comdat
.Lfunc_end126:
	.size	_Z11rank_kernelIxLj4ELb0EL18RadixRankAlgorithm0ELj512ELj8ELj10EEvPKT_Pi, .Lfunc_end126-_Z11rank_kernelIxLj4ELb0EL18RadixRankAlgorithm0ELj512ELj8ELj10EEvPKT_Pi
                                        ; -- End function
	.set _Z11rank_kernelIxLj4ELb0EL18RadixRankAlgorithm0ELj512ELj8ELj10EEvPKT_Pi.num_vgpr, 47
	.set _Z11rank_kernelIxLj4ELb0EL18RadixRankAlgorithm0ELj512ELj8ELj10EEvPKT_Pi.num_agpr, 0
	.set _Z11rank_kernelIxLj4ELb0EL18RadixRankAlgorithm0ELj512ELj8ELj10EEvPKT_Pi.numbered_sgpr, 37
	.set _Z11rank_kernelIxLj4ELb0EL18RadixRankAlgorithm0ELj512ELj8ELj10EEvPKT_Pi.num_named_barrier, 0
	.set _Z11rank_kernelIxLj4ELb0EL18RadixRankAlgorithm0ELj512ELj8ELj10EEvPKT_Pi.private_seg_size, 0
	.set _Z11rank_kernelIxLj4ELb0EL18RadixRankAlgorithm0ELj512ELj8ELj10EEvPKT_Pi.uses_vcc, 1
	.set _Z11rank_kernelIxLj4ELb0EL18RadixRankAlgorithm0ELj512ELj8ELj10EEvPKT_Pi.uses_flat_scratch, 0
	.set _Z11rank_kernelIxLj4ELb0EL18RadixRankAlgorithm0ELj512ELj8ELj10EEvPKT_Pi.has_dyn_sized_stack, 0
	.set _Z11rank_kernelIxLj4ELb0EL18RadixRankAlgorithm0ELj512ELj8ELj10EEvPKT_Pi.has_recursion, 0
	.set _Z11rank_kernelIxLj4ELb0EL18RadixRankAlgorithm0ELj512ELj8ELj10EEvPKT_Pi.has_indirect_call, 0
	.section	.AMDGPU.csdata,"",@progbits
; Kernel info:
; codeLenInByte = 1620
; TotalNumSgprs: 41
; NumVgprs: 47
; ScratchSize: 0
; MemoryBound: 0
; FloatMode: 240
; IeeeMode: 1
; LDSByteSize: 16416 bytes/workgroup (compile time only)
; SGPRBlocks: 12
; VGPRBlocks: 11
; NumSGPRsForWavesPerEU: 97
; NumVGPRsForWavesPerEU: 47
; Occupancy: 5
; WaveLimiterHint : 0
; COMPUTE_PGM_RSRC2:SCRATCH_EN: 0
; COMPUTE_PGM_RSRC2:USER_SGPR: 6
; COMPUTE_PGM_RSRC2:TRAP_HANDLER: 0
; COMPUTE_PGM_RSRC2:TGID_X_EN: 1
; COMPUTE_PGM_RSRC2:TGID_Y_EN: 0
; COMPUTE_PGM_RSRC2:TGID_Z_EN: 0
; COMPUTE_PGM_RSRC2:TIDIG_COMP_CNT: 0
	.section	.text._Z11rank_kernelIxLj4ELb0EL18RadixRankAlgorithm1ELj512ELj8ELj10EEvPKT_Pi,"axG",@progbits,_Z11rank_kernelIxLj4ELb0EL18RadixRankAlgorithm1ELj512ELj8ELj10EEvPKT_Pi,comdat
	.protected	_Z11rank_kernelIxLj4ELb0EL18RadixRankAlgorithm1ELj512ELj8ELj10EEvPKT_Pi ; -- Begin function _Z11rank_kernelIxLj4ELb0EL18RadixRankAlgorithm1ELj512ELj8ELj10EEvPKT_Pi
	.globl	_Z11rank_kernelIxLj4ELb0EL18RadixRankAlgorithm1ELj512ELj8ELj10EEvPKT_Pi
	.p2align	8
	.type	_Z11rank_kernelIxLj4ELb0EL18RadixRankAlgorithm1ELj512ELj8ELj10EEvPKT_Pi,@function
_Z11rank_kernelIxLj4ELb0EL18RadixRankAlgorithm1ELj512ELj8ELj10EEvPKT_Pi: ; @_Z11rank_kernelIxLj4ELb0EL18RadixRankAlgorithm1ELj512ELj8ELj10EEvPKT_Pi
; %bb.0:
	s_load_dwordx4 s[24:27], s[4:5], 0x0
	s_lshl_b32 s28, s6, 12
	s_mov_b32 s29, 0
	s_lshl_b64 s[0:1], s[28:29], 3
	v_lshlrev_b32_e32 v17, 6, v0
	s_waitcnt lgkmcnt(0)
	s_add_u32 s0, s24, s0
	s_addc_u32 s1, s25, s1
	global_load_dwordx4 v[1:4], v17, s[0:1]
	global_load_dwordx4 v[5:8], v17, s[0:1] offset:16
	global_load_dwordx4 v[9:12], v17, s[0:1] offset:32
	;; [unrolled: 1-line block ×3, first 2 shown]
	v_mbcnt_lo_u32_b32 v17, -1, 0
	v_mbcnt_hi_u32_b32 v17, -1, v17
	v_or_b32_e32 v18, 63, v0
	v_cmp_eq_u32_e64 s[4:5], v0, v18
	v_subrev_co_u32_e64 v18, s[6:7], 1, v17
	v_and_b32_e32 v23, 64, v17
	v_lshrrev_b32_e32 v19, 4, v0
	v_cmp_lt_i32_e64 s[18:19], v18, v23
	v_lshlrev_b32_e32 v27, 5, v0
	v_mul_i32_i24_e32 v20, 0xffffffe4, v0
	v_and_b32_e32 v21, 15, v17
	v_and_b32_e32 v22, 16, v17
	v_cmp_lt_u32_e64 s[2:3], 31, v17
	v_and_b32_e32 v30, 28, v19
	v_and_b32_e32 v19, 7, v17
	v_cndmask_b32_e64 v17, v18, v17, s[18:19]
	v_mov_b32_e32 v25, 0
	s_movk_i32 s33, 0xdff
	s_movk_i32 s34, 0xe00
	v_lshlrev_b32_e32 v26, 3, v0
	v_cmp_gt_u32_e32 vcc, 8, v0
	v_cmp_lt_u32_e64 s[0:1], 63, v0
	v_lshlrev_b32_e32 v28, 2, v0
	v_or_b32_e32 v29, 0xfffffe00, v0
	v_add_u32_e32 v31, v27, v20
	v_cmp_eq_u32_e64 s[8:9], 0, v21
	v_cmp_lt_u32_e64 s[10:11], 1, v21
	v_cmp_lt_u32_e64 s[12:13], 3, v21
	;; [unrolled: 1-line block ×3, first 2 shown]
	v_cmp_eq_u32_e64 s[16:17], 0, v22
	v_cmp_eq_u32_e64 s[18:19], 0, v19
	v_cmp_lt_u32_e64 s[20:21], 1, v19
	v_cmp_lt_u32_e64 s[22:23], 3, v19
	v_lshlrev_b32_e32 v32, 2, v17
	s_mov_b32 s35, s29
	s_waitcnt vmcnt(3)
	v_xor_b32_e32 v2, 0x80000000, v2
	v_xor_b32_e32 v4, 0x80000000, v4
	s_waitcnt vmcnt(2)
	v_xor_b32_e32 v6, 0x80000000, v6
	v_xor_b32_e32 v8, 0x80000000, v8
	;; [unrolled: 3-line block ×4, first 2 shown]
	s_branch .LBB127_2
.LBB127_1:                              ;   in Loop: Header=BB127_2 Depth=1
	s_add_i32 s35, s35, 1
	s_cmp_eq_u32 s35, 10
	s_cbranch_scc1 .LBB127_12
.LBB127_2:                              ; =>This Loop Header: Depth=1
                                        ;     Child Loop BB127_4 Depth 2
                                        ;       Child Loop BB127_5 Depth 3
	s_mov_b32 s36, 0
	s_branch .LBB127_4
.LBB127_3:                              ;   in Loop: Header=BB127_4 Depth=2
	s_or_b64 exec, exec, s[24:25]
	s_waitcnt lgkmcnt(0)
	v_add_u32_e32 v20, v49, v20
	ds_bpermute_b32 v20, v32, v20
	ds_read_b32 v50, v25 offset:16412
	s_add_i32 s24, s36, 4
	s_cmp_lt_u32 s36, 60
	s_mov_b32 s36, s24
	s_waitcnt lgkmcnt(1)
	v_cndmask_b32_e64 v20, v20, v49, s[6:7]
	s_waitcnt lgkmcnt(0)
	v_lshl_add_u32 v20, v50, 16, v20
	v_add_u32_e32 v21, v20, v21
	v_add_u32_e32 v22, v21, v22
	;; [unrolled: 1-line block ×7, first 2 shown]
	ds_write2_b64 v27, v[20:21], v[22:23] offset1:1
	ds_write2_b64 v27, v[49:50], v[17:18] offset0:2 offset1:3
	s_waitcnt lgkmcnt(0)
	s_barrier
	s_cbranch_scc0 .LBB127_1
.LBB127_4:                              ;   Parent Loop BB127_2 Depth=1
                                        ; =>  This Loop Header: Depth=2
                                        ;       Child Loop BB127_5 Depth 3
	s_mov_b64 s[30:31], 0
	v_mov_b32_e32 v17, v29
	v_mov_b32_e32 v18, v28
.LBB127_5:                              ;   Parent Loop BB127_2 Depth=1
                                        ;     Parent Loop BB127_4 Depth=2
                                        ; =>    This Inner Loop Header: Depth=3
	v_add_u32_e32 v17, 0x200, v17
	v_cmp_lt_u32_e64 s[24:25], s33, v17
	ds_write_b32 v18, v25
	s_or_b64 s[30:31], s[24:25], s[30:31]
	v_add_u32_e32 v18, 0x800, v18
	s_andn2_b64 exec, exec, s[30:31]
	s_cbranch_execnz .LBB127_5
; %bb.6:                                ;   in Loop: Header=BB127_4 Depth=2
	s_or_b64 exec, exec, s[30:31]
	s_sub_i32 s24, 60, s36
	v_lshlrev_b64 v[17:18], s24, v[1:2]
	v_lshrrev_b32_e32 v17, 19, v18
	v_lshrrev_b32_e32 v18, 30, v18
	v_and_or_b32 v17, v17, s34, v0
	v_and_b32_e32 v18, 2, v18
	v_lshl_or_b32 v34, v17, 2, v18
	ds_read_u16 v33, v34
	v_lshlrev_b64 v[17:18], s24, v[3:4]
	v_lshrrev_b32_e32 v17, 19, v18
	v_lshrrev_b32_e32 v18, 30, v18
	v_and_or_b32 v17, v17, s34, v0
	s_waitcnt lgkmcnt(0)
	v_add_u16_e32 v19, 1, v33
	v_and_b32_e32 v18, 2, v18
	ds_write_b16 v34, v19
	v_lshl_or_b32 v36, v17, 2, v18
	ds_read_u16 v35, v36
	v_lshlrev_b64 v[17:18], s24, v[5:6]
	s_waitcnt lgkmcnt(0)
	v_add_u16_e32 v17, 1, v35
	ds_write_b16 v36, v17
	v_lshrrev_b32_e32 v17, 19, v18
	v_lshrrev_b32_e32 v18, 30, v18
	v_and_or_b32 v17, v17, s34, v0
	v_and_b32_e32 v18, 2, v18
	v_lshl_or_b32 v38, v17, 2, v18
	ds_read_u16 v37, v38
	v_lshlrev_b64 v[17:18], s24, v[7:8]
	v_lshrrev_b32_e32 v17, 19, v18
	v_lshrrev_b32_e32 v18, 30, v18
	s_waitcnt lgkmcnt(0)
	v_add_u16_e32 v19, 1, v37
	v_and_or_b32 v17, v17, s34, v0
	v_and_b32_e32 v18, 2, v18
	ds_write_b16 v38, v19
	v_lshl_or_b32 v41, v17, 2, v18
	ds_read_u16 v39, v41
	v_lshlrev_b64 v[17:18], s24, v[9:10]
	v_lshrrev_b32_e32 v17, 19, v18
	v_lshrrev_b32_e32 v18, 30, v18
	s_waitcnt lgkmcnt(0)
	v_add_u16_e32 v19, 1, v39
	v_and_or_b32 v17, v17, s34, v0
	v_and_b32_e32 v18, 2, v18
	ds_write_b16 v41, v19
	;; [unrolled: 10-line block ×5, first 2 shown]
	v_lshl_or_b32 v48, v17, 2, v18
	ds_read_u16 v47, v48
	s_waitcnt lgkmcnt(0)
	v_add_u16_e32 v17, 1, v47
	ds_write_b16 v48, v17
	s_waitcnt lgkmcnt(0)
	s_barrier
	ds_read2_b64 v[21:24], v27 offset1:1
	ds_read2_b64 v[17:20], v27 offset0:2 offset1:3
	s_waitcnt lgkmcnt(1)
	v_add_u32_e32 v49, v22, v21
	v_add3_u32 v49, v49, v23, v24
	s_waitcnt lgkmcnt(0)
	v_add3_u32 v49, v49, v17, v18
	v_add3_u32 v20, v49, v19, v20
	s_nop 1
	v_mov_b32_dpp v49, v20 row_shr:1 row_mask:0xf bank_mask:0xf
	v_cndmask_b32_e64 v49, v49, 0, s[8:9]
	v_add_u32_e32 v20, v49, v20
	s_nop 1
	v_mov_b32_dpp v49, v20 row_shr:2 row_mask:0xf bank_mask:0xf
	v_cndmask_b32_e64 v49, 0, v49, s[10:11]
	v_add_u32_e32 v20, v20, v49
	;; [unrolled: 4-line block ×4, first 2 shown]
	s_nop 1
	v_mov_b32_dpp v49, v20 row_bcast:15 row_mask:0xf bank_mask:0xf
	v_cndmask_b32_e64 v49, v49, 0, s[16:17]
	v_add_u32_e32 v20, v20, v49
	s_nop 1
	v_mov_b32_dpp v49, v20 row_bcast:31 row_mask:0xf bank_mask:0xf
	v_cndmask_b32_e64 v49, 0, v49, s[2:3]
	v_add_u32_e32 v20, v20, v49
	s_and_saveexec_b64 s[24:25], s[4:5]
; %bb.7:                                ;   in Loop: Header=BB127_4 Depth=2
	ds_write_b32 v30, v20 offset:16384
; %bb.8:                                ;   in Loop: Header=BB127_4 Depth=2
	s_or_b64 exec, exec, s[24:25]
	s_waitcnt lgkmcnt(0)
	s_barrier
	s_and_saveexec_b64 s[24:25], vcc
	s_cbranch_execz .LBB127_10
; %bb.9:                                ;   in Loop: Header=BB127_4 Depth=2
	ds_read_b32 v49, v31 offset:16384
	s_waitcnt lgkmcnt(0)
	s_nop 0
	v_mov_b32_dpp v50, v49 row_shr:1 row_mask:0xf bank_mask:0xf
	v_cndmask_b32_e64 v50, v50, 0, s[18:19]
	v_add_u32_e32 v49, v50, v49
	s_nop 1
	v_mov_b32_dpp v50, v49 row_shr:2 row_mask:0xf bank_mask:0xf
	v_cndmask_b32_e64 v50, 0, v50, s[20:21]
	v_add_u32_e32 v49, v49, v50
	;; [unrolled: 4-line block ×3, first 2 shown]
	ds_write_b32 v31, v49 offset:16384
.LBB127_10:                             ;   in Loop: Header=BB127_4 Depth=2
	s_or_b64 exec, exec, s[24:25]
	v_mov_b32_e32 v49, 0
	s_waitcnt lgkmcnt(0)
	s_barrier
	s_and_saveexec_b64 s[24:25], s[0:1]
	s_cbranch_execz .LBB127_3
; %bb.11:                               ;   in Loop: Header=BB127_4 Depth=2
	ds_read_b32 v49, v30 offset:16380
	s_branch .LBB127_3
.LBB127_12:
	ds_read_u16 v3, v41
	ds_read_u16 v2, v38
	;; [unrolled: 1-line block ×8, first 2 shown]
	s_lshl_b64 s[0:1], s[28:29], 2
	s_add_u32 s0, s26, s0
	s_waitcnt lgkmcnt(4)
	v_add_u32_sdwa v0, v0, v33 dst_sel:DWORD dst_unused:UNUSED_PAD src0_sel:DWORD src1_sel:WORD_0
	v_add_u32_sdwa v1, v1, v35 dst_sel:DWORD dst_unused:UNUSED_PAD src0_sel:DWORD src1_sel:WORD_0
	v_add_u32_sdwa v2, v2, v37 dst_sel:DWORD dst_unused:UNUSED_PAD src0_sel:DWORD src1_sel:WORD_0
	v_add_u32_sdwa v3, v3, v39 dst_sel:DWORD dst_unused:UNUSED_PAD src0_sel:DWORD src1_sel:WORD_0
	s_addc_u32 s1, s27, s1
	v_lshlrev_b32_e32 v8, 2, v26
	s_waitcnt lgkmcnt(0)
	v_add_u32_sdwa v4, v4, v40 dst_sel:DWORD dst_unused:UNUSED_PAD src0_sel:DWORD src1_sel:WORD_0
	v_add_u32_sdwa v5, v5, v43 dst_sel:DWORD dst_unused:UNUSED_PAD src0_sel:DWORD src1_sel:WORD_0
	;; [unrolled: 1-line block ×4, first 2 shown]
	global_store_dwordx4 v8, v[0:3], s[0:1]
	global_store_dwordx4 v8, v[4:7], s[0:1] offset:16
	s_endpgm
	.section	.rodata,"a",@progbits
	.p2align	6, 0x0
	.amdhsa_kernel _Z11rank_kernelIxLj4ELb0EL18RadixRankAlgorithm1ELj512ELj8ELj10EEvPKT_Pi
		.amdhsa_group_segment_fixed_size 16416
		.amdhsa_private_segment_fixed_size 0
		.amdhsa_kernarg_size 16
		.amdhsa_user_sgpr_count 6
		.amdhsa_user_sgpr_private_segment_buffer 1
		.amdhsa_user_sgpr_dispatch_ptr 0
		.amdhsa_user_sgpr_queue_ptr 0
		.amdhsa_user_sgpr_kernarg_segment_ptr 1
		.amdhsa_user_sgpr_dispatch_id 0
		.amdhsa_user_sgpr_flat_scratch_init 0
		.amdhsa_user_sgpr_private_segment_size 0
		.amdhsa_uses_dynamic_stack 0
		.amdhsa_system_sgpr_private_segment_wavefront_offset 0
		.amdhsa_system_sgpr_workgroup_id_x 1
		.amdhsa_system_sgpr_workgroup_id_y 0
		.amdhsa_system_sgpr_workgroup_id_z 0
		.amdhsa_system_sgpr_workgroup_info 0
		.amdhsa_system_vgpr_workitem_id 0
		.amdhsa_next_free_vgpr 51
		.amdhsa_next_free_sgpr 93
		.amdhsa_reserve_vcc 1
		.amdhsa_reserve_flat_scratch 0
		.amdhsa_float_round_mode_32 0
		.amdhsa_float_round_mode_16_64 0
		.amdhsa_float_denorm_mode_32 3
		.amdhsa_float_denorm_mode_16_64 3
		.amdhsa_dx10_clamp 1
		.amdhsa_ieee_mode 1
		.amdhsa_fp16_overflow 0
		.amdhsa_exception_fp_ieee_invalid_op 0
		.amdhsa_exception_fp_denorm_src 0
		.amdhsa_exception_fp_ieee_div_zero 0
		.amdhsa_exception_fp_ieee_overflow 0
		.amdhsa_exception_fp_ieee_underflow 0
		.amdhsa_exception_fp_ieee_inexact 0
		.amdhsa_exception_int_div_zero 0
	.end_amdhsa_kernel
	.section	.text._Z11rank_kernelIxLj4ELb0EL18RadixRankAlgorithm1ELj512ELj8ELj10EEvPKT_Pi,"axG",@progbits,_Z11rank_kernelIxLj4ELb0EL18RadixRankAlgorithm1ELj512ELj8ELj10EEvPKT_Pi,comdat
.Lfunc_end127:
	.size	_Z11rank_kernelIxLj4ELb0EL18RadixRankAlgorithm1ELj512ELj8ELj10EEvPKT_Pi, .Lfunc_end127-_Z11rank_kernelIxLj4ELb0EL18RadixRankAlgorithm1ELj512ELj8ELj10EEvPKT_Pi
                                        ; -- End function
	.set _Z11rank_kernelIxLj4ELb0EL18RadixRankAlgorithm1ELj512ELj8ELj10EEvPKT_Pi.num_vgpr, 51
	.set _Z11rank_kernelIxLj4ELb0EL18RadixRankAlgorithm1ELj512ELj8ELj10EEvPKT_Pi.num_agpr, 0
	.set _Z11rank_kernelIxLj4ELb0EL18RadixRankAlgorithm1ELj512ELj8ELj10EEvPKT_Pi.numbered_sgpr, 37
	.set _Z11rank_kernelIxLj4ELb0EL18RadixRankAlgorithm1ELj512ELj8ELj10EEvPKT_Pi.num_named_barrier, 0
	.set _Z11rank_kernelIxLj4ELb0EL18RadixRankAlgorithm1ELj512ELj8ELj10EEvPKT_Pi.private_seg_size, 0
	.set _Z11rank_kernelIxLj4ELb0EL18RadixRankAlgorithm1ELj512ELj8ELj10EEvPKT_Pi.uses_vcc, 1
	.set _Z11rank_kernelIxLj4ELb0EL18RadixRankAlgorithm1ELj512ELj8ELj10EEvPKT_Pi.uses_flat_scratch, 0
	.set _Z11rank_kernelIxLj4ELb0EL18RadixRankAlgorithm1ELj512ELj8ELj10EEvPKT_Pi.has_dyn_sized_stack, 0
	.set _Z11rank_kernelIxLj4ELb0EL18RadixRankAlgorithm1ELj512ELj8ELj10EEvPKT_Pi.has_recursion, 0
	.set _Z11rank_kernelIxLj4ELb0EL18RadixRankAlgorithm1ELj512ELj8ELj10EEvPKT_Pi.has_indirect_call, 0
	.section	.AMDGPU.csdata,"",@progbits
; Kernel info:
; codeLenInByte = 1584
; TotalNumSgprs: 41
; NumVgprs: 51
; ScratchSize: 0
; MemoryBound: 0
; FloatMode: 240
; IeeeMode: 1
; LDSByteSize: 16416 bytes/workgroup (compile time only)
; SGPRBlocks: 12
; VGPRBlocks: 12
; NumSGPRsForWavesPerEU: 97
; NumVGPRsForWavesPerEU: 51
; Occupancy: 4
; WaveLimiterHint : 0
; COMPUTE_PGM_RSRC2:SCRATCH_EN: 0
; COMPUTE_PGM_RSRC2:USER_SGPR: 6
; COMPUTE_PGM_RSRC2:TRAP_HANDLER: 0
; COMPUTE_PGM_RSRC2:TGID_X_EN: 1
; COMPUTE_PGM_RSRC2:TGID_Y_EN: 0
; COMPUTE_PGM_RSRC2:TGID_Z_EN: 0
; COMPUTE_PGM_RSRC2:TIDIG_COMP_CNT: 0
	.section	.text._Z11rank_kernelIxLj4ELb0EL18RadixRankAlgorithm2ELj512ELj8ELj10EEvPKT_Pi,"axG",@progbits,_Z11rank_kernelIxLj4ELb0EL18RadixRankAlgorithm2ELj512ELj8ELj10EEvPKT_Pi,comdat
	.protected	_Z11rank_kernelIxLj4ELb0EL18RadixRankAlgorithm2ELj512ELj8ELj10EEvPKT_Pi ; -- Begin function _Z11rank_kernelIxLj4ELb0EL18RadixRankAlgorithm2ELj512ELj8ELj10EEvPKT_Pi
	.globl	_Z11rank_kernelIxLj4ELb0EL18RadixRankAlgorithm2ELj512ELj8ELj10EEvPKT_Pi
	.p2align	8
	.type	_Z11rank_kernelIxLj4ELb0EL18RadixRankAlgorithm2ELj512ELj8ELj10EEvPKT_Pi,@function
_Z11rank_kernelIxLj4ELb0EL18RadixRankAlgorithm2ELj512ELj8ELj10EEvPKT_Pi: ; @_Z11rank_kernelIxLj4ELb0EL18RadixRankAlgorithm2ELj512ELj8ELj10EEvPKT_Pi
; %bb.0:
	s_load_dwordx4 s[28:31], s[4:5], 0x0
	s_load_dword s22, s[4:5], 0x1c
	s_lshl_b32 s34, s6, 12
	s_mov_b32 s35, 0
	s_lshl_b64 s[0:1], s[34:35], 3
	s_waitcnt lgkmcnt(0)
	s_add_u32 s0, s28, s0
	s_addc_u32 s1, s29, s1
	v_lshlrev_b32_e32 v19, 6, v0
	global_load_dwordx4 v[3:6], v19, s[0:1]
	global_load_dwordx4 v[7:10], v19, s[0:1] offset:16
	global_load_dwordx4 v[11:14], v19, s[0:1] offset:32
	;; [unrolled: 1-line block ×3, first 2 shown]
	s_lshr_b32 s23, s22, 16
	v_or_b32_e32 v22, 63, v0
	s_and_b32 s22, s22, 0xffff
	v_mad_u32_u24 v1, v2, s23, v1
	v_mbcnt_lo_u32_b32 v20, -1, 0
	v_lshlrev_b32_e32 v19, 3, v0
	v_lshlrev_b32_e32 v21, 2, v0
	v_cmp_gt_u32_e32 vcc, 8, v0
	v_cmp_lt_u32_e64 s[0:1], 63, v0
	v_lshrrev_b32_e32 v23, 4, v0
	v_cmp_eq_u32_e64 s[2:3], v0, v22
	v_mad_u64_u32 v[0:1], s[22:23], v1, s22, v[0:1]
	v_mbcnt_hi_u32_b32 v20, -1, v20
	v_subrev_co_u32_e64 v26, s[4:5], 1, v20
	v_and_b32_e32 v27, 64, v20
	v_cmp_lt_i32_e64 s[18:19], v26, v27
	v_and_b32_e32 v24, 15, v20
	v_and_b32_e32 v25, 16, v20
	v_cmp_lt_u32_e64 s[6:7], 31, v20
	v_and_b32_e32 v22, 28, v23
	v_and_b32_e32 v23, 7, v20
	v_cndmask_b32_e64 v20, v26, v20, s[18:19]
	v_lshrrev_b32_e32 v0, 4, v0
	s_mov_b32 s33, s35
	v_cmp_eq_u32_e64 s[8:9], 0, v24
	v_cmp_lt_u32_e64 s[10:11], 1, v24
	v_cmp_lt_u32_e64 s[12:13], 3, v24
	;; [unrolled: 1-line block ×3, first 2 shown]
	v_cmp_eq_u32_e64 s[16:17], 0, v25
	v_cmp_eq_u32_e64 s[18:19], 0, v23
	v_cmp_lt_u32_e64 s[20:21], 1, v23
	v_cmp_lt_u32_e64 s[22:23], 3, v23
	v_add_u32_e32 v23, -4, v22
	v_lshlrev_b32_e32 v24, 2, v20
	v_and_b32_e32 v20, 0xffffffc, v0
	v_mov_b32_e32 v0, 0
	s_waitcnt vmcnt(3)
	v_xor_b32_e32 v4, 0x80000000, v4
	v_xor_b32_e32 v6, 0x80000000, v6
	s_waitcnt vmcnt(2)
	v_xor_b32_e32 v8, 0x80000000, v8
	v_xor_b32_e32 v10, 0x80000000, v10
	;; [unrolled: 3-line block ×4, first 2 shown]
	s_branch .LBB128_2
.LBB128_1:                              ;   in Loop: Header=BB128_2 Depth=1
	s_add_i32 s33, s33, 1
	s_cmp_eq_u32 s33, 10
	s_cbranch_scc1 .LBB128_26
.LBB128_2:                              ; =>This Loop Header: Depth=1
                                        ;     Child Loop BB128_4 Depth 2
	s_mov_b64 s[28:29], 60
	s_mov_b32 s36, -4
	s_branch .LBB128_4
.LBB128_3:                              ;   in Loop: Header=BB128_4 Depth=2
	s_or_b64 exec, exec, s[24:25]
	s_waitcnt lgkmcnt(0)
	v_add_u32_e32 v1, v2, v1
	ds_bpermute_b32 v1, v24, v1
	s_add_i32 s36, s36, 4
	s_add_u32 s28, s28, -4
	s_addc_u32 s29, s29, -1
	s_cmp_lt_u32 s36, 60
	s_waitcnt lgkmcnt(0)
	v_cndmask_b32_e64 v1, v1, v2, s[4:5]
	ds_write_b32 v21, v1 offset:32
	s_waitcnt lgkmcnt(0)
	s_barrier
	s_cbranch_scc0 .LBB128_1
.LBB128_4:                              ;   Parent Loop BB128_2 Depth=1
                                        ; =>  This Inner Loop Header: Depth=2
	v_lshlrev_b64 v[26:27], s28, v[3:4]
	ds_write_b32 v21, v0 offset:32
	v_bfe_u32 v1, v27, 28, 1
	v_add_co_u32_e64 v28, s[24:25], -1, v1
	v_addc_co_u32_e64 v29, s[24:25], 0, -1, s[24:25]
	v_cmp_ne_u32_e64 s[24:25], 0, v1
	v_lshrrev_b32_e32 v2, 28, v27
	v_xor_b32_e32 v1, s25, v29
	v_and_b32_e32 v29, exec_hi, v1
	v_lshlrev_b32_e32 v1, 30, v2
	v_xor_b32_e32 v28, s24, v28
	v_cmp_gt_i64_e64 s[24:25], 0, v[0:1]
	v_not_b32_e32 v1, v1
	v_ashrrev_i32_e32 v1, 31, v1
	v_and_b32_e32 v28, exec_lo, v28
	v_xor_b32_e32 v30, s25, v1
	v_xor_b32_e32 v1, s24, v1
	v_and_b32_e32 v28, v28, v1
	v_lshlrev_b32_e32 v1, 29, v2
	v_cmp_gt_i64_e64 s[24:25], 0, v[0:1]
	v_not_b32_e32 v1, v1
	v_ashrrev_i32_e32 v1, 31, v1
	v_mul_u32_u24_e32 v25, 36, v2
	v_xor_b32_e32 v2, s25, v1
	v_xor_b32_e32 v1, s24, v1
	v_cmp_gt_i64_e64 s[24:25], 0, v[26:27]
	v_not_b32_e32 v26, v27
	v_ashrrev_i32_e32 v26, 31, v26
	v_and_b32_e32 v29, v29, v30
	v_and_b32_e32 v1, v28, v1
	v_xor_b32_e32 v27, s25, v26
	v_xor_b32_e32 v26, s24, v26
	v_and_b32_e32 v2, v29, v2
	v_and_b32_e32 v1, v1, v26
	;; [unrolled: 1-line block ×3, first 2 shown]
	v_mbcnt_lo_u32_b32 v26, v1, 0
	v_mbcnt_hi_u32_b32 v26, v2, v26
	v_cmp_ne_u64_e64 s[24:25], 0, v[1:2]
	v_cmp_eq_u32_e64 s[26:27], 0, v26
	s_and_b64 s[26:27], s[24:25], s[26:27]
	s_waitcnt lgkmcnt(0)
	s_barrier
	; wave barrier
	s_and_saveexec_b64 s[24:25], s[26:27]
; %bb.5:                                ;   in Loop: Header=BB128_4 Depth=2
	v_bcnt_u32_b32 v1, v1, 0
	v_bcnt_u32_b32 v1, v2, v1
	v_add_u32_e32 v2, v20, v25
	ds_write_b32 v2, v1 offset:32
; %bb.6:                                ;   in Loop: Header=BB128_4 Depth=2
	s_or_b64 exec, exec, s[24:25]
	v_lshlrev_b64 v[29:30], s28, v[5:6]
	v_lshrrev_b32_e32 v2, 28, v30
	v_mad_u32_u24 v1, v2, 36, v20
	; wave barrier
	ds_read_b32 v27, v1 offset:32
	v_bfe_u32 v1, v30, 28, 1
	v_add_co_u32_e64 v31, s[24:25], -1, v1
	v_addc_co_u32_e64 v32, s[24:25], 0, -1, s[24:25]
	v_cmp_ne_u32_e64 s[24:25], 0, v1
	v_xor_b32_e32 v1, s25, v32
	v_and_b32_e32 v32, exec_hi, v1
	v_lshlrev_b32_e32 v1, 30, v2
	v_xor_b32_e32 v31, s24, v31
	v_cmp_gt_i64_e64 s[24:25], 0, v[0:1]
	v_not_b32_e32 v1, v1
	v_ashrrev_i32_e32 v1, 31, v1
	v_and_b32_e32 v31, exec_lo, v31
	v_xor_b32_e32 v33, s25, v1
	v_xor_b32_e32 v1, s24, v1
	v_and_b32_e32 v31, v31, v1
	v_lshlrev_b32_e32 v1, 29, v2
	v_cmp_gt_i64_e64 s[24:25], 0, v[0:1]
	v_not_b32_e32 v1, v1
	v_ashrrev_i32_e32 v1, 31, v1
	v_mul_u32_u24_e32 v28, 36, v2
	v_xor_b32_e32 v2, s25, v1
	v_xor_b32_e32 v1, s24, v1
	v_cmp_gt_i64_e64 s[24:25], 0, v[29:30]
	v_not_b32_e32 v29, v30
	v_ashrrev_i32_e32 v29, 31, v29
	v_and_b32_e32 v32, v32, v33
	v_and_b32_e32 v1, v31, v1
	v_xor_b32_e32 v30, s25, v29
	v_xor_b32_e32 v29, s24, v29
	v_and_b32_e32 v2, v32, v2
	v_and_b32_e32 v1, v1, v29
	;; [unrolled: 1-line block ×3, first 2 shown]
	v_mbcnt_lo_u32_b32 v29, v1, 0
	v_mbcnt_hi_u32_b32 v29, v2, v29
	v_cmp_ne_u64_e64 s[24:25], 0, v[1:2]
	v_cmp_eq_u32_e64 s[26:27], 0, v29
	s_and_b64 s[26:27], s[24:25], s[26:27]
	; wave barrier
	s_and_saveexec_b64 s[24:25], s[26:27]
	s_cbranch_execz .LBB128_8
; %bb.7:                                ;   in Loop: Header=BB128_4 Depth=2
	v_bcnt_u32_b32 v1, v1, 0
	v_bcnt_u32_b32 v1, v2, v1
	s_waitcnt lgkmcnt(0)
	v_add_u32_e32 v1, v27, v1
	v_add_u32_e32 v2, v20, v28
	ds_write_b32 v2, v1 offset:32
.LBB128_8:                              ;   in Loop: Header=BB128_4 Depth=2
	s_or_b64 exec, exec, s[24:25]
	v_lshlrev_b64 v[32:33], s28, v[7:8]
	v_lshrrev_b32_e32 v2, 28, v33
	v_mad_u32_u24 v1, v2, 36, v20
	; wave barrier
	ds_read_b32 v30, v1 offset:32
	v_bfe_u32 v1, v33, 28, 1
	v_add_co_u32_e64 v34, s[24:25], -1, v1
	v_addc_co_u32_e64 v35, s[24:25], 0, -1, s[24:25]
	v_cmp_ne_u32_e64 s[24:25], 0, v1
	v_xor_b32_e32 v1, s25, v35
	v_and_b32_e32 v35, exec_hi, v1
	v_lshlrev_b32_e32 v1, 30, v2
	v_xor_b32_e32 v34, s24, v34
	v_cmp_gt_i64_e64 s[24:25], 0, v[0:1]
	v_not_b32_e32 v1, v1
	v_ashrrev_i32_e32 v1, 31, v1
	v_and_b32_e32 v34, exec_lo, v34
	v_xor_b32_e32 v36, s25, v1
	v_xor_b32_e32 v1, s24, v1
	v_and_b32_e32 v34, v34, v1
	v_lshlrev_b32_e32 v1, 29, v2
	v_cmp_gt_i64_e64 s[24:25], 0, v[0:1]
	v_not_b32_e32 v1, v1
	v_ashrrev_i32_e32 v1, 31, v1
	v_mul_u32_u24_e32 v31, 36, v2
	v_xor_b32_e32 v2, s25, v1
	v_xor_b32_e32 v1, s24, v1
	v_cmp_gt_i64_e64 s[24:25], 0, v[32:33]
	v_not_b32_e32 v32, v33
	v_ashrrev_i32_e32 v32, 31, v32
	v_and_b32_e32 v35, v35, v36
	v_and_b32_e32 v1, v34, v1
	v_xor_b32_e32 v33, s25, v32
	v_xor_b32_e32 v32, s24, v32
	v_and_b32_e32 v2, v35, v2
	v_and_b32_e32 v1, v1, v32
	;; [unrolled: 1-line block ×3, first 2 shown]
	v_mbcnt_lo_u32_b32 v32, v1, 0
	v_mbcnt_hi_u32_b32 v32, v2, v32
	v_cmp_ne_u64_e64 s[24:25], 0, v[1:2]
	v_cmp_eq_u32_e64 s[26:27], 0, v32
	s_and_b64 s[26:27], s[24:25], s[26:27]
	; wave barrier
	s_and_saveexec_b64 s[24:25], s[26:27]
	s_cbranch_execz .LBB128_10
; %bb.9:                                ;   in Loop: Header=BB128_4 Depth=2
	v_bcnt_u32_b32 v1, v1, 0
	v_bcnt_u32_b32 v1, v2, v1
	s_waitcnt lgkmcnt(0)
	v_add_u32_e32 v1, v30, v1
	v_add_u32_e32 v2, v20, v31
	ds_write_b32 v2, v1 offset:32
.LBB128_10:                             ;   in Loop: Header=BB128_4 Depth=2
	s_or_b64 exec, exec, s[24:25]
	v_lshlrev_b64 v[35:36], s28, v[9:10]
	v_lshrrev_b32_e32 v2, 28, v36
	v_mad_u32_u24 v1, v2, 36, v20
	; wave barrier
	ds_read_b32 v33, v1 offset:32
	v_bfe_u32 v1, v36, 28, 1
	v_add_co_u32_e64 v37, s[24:25], -1, v1
	v_addc_co_u32_e64 v38, s[24:25], 0, -1, s[24:25]
	v_cmp_ne_u32_e64 s[24:25], 0, v1
	v_xor_b32_e32 v1, s25, v38
	v_and_b32_e32 v38, exec_hi, v1
	v_lshlrev_b32_e32 v1, 30, v2
	v_xor_b32_e32 v37, s24, v37
	v_cmp_gt_i64_e64 s[24:25], 0, v[0:1]
	v_not_b32_e32 v1, v1
	v_ashrrev_i32_e32 v1, 31, v1
	v_and_b32_e32 v37, exec_lo, v37
	v_xor_b32_e32 v39, s25, v1
	v_xor_b32_e32 v1, s24, v1
	v_and_b32_e32 v37, v37, v1
	v_lshlrev_b32_e32 v1, 29, v2
	v_cmp_gt_i64_e64 s[24:25], 0, v[0:1]
	v_not_b32_e32 v1, v1
	v_ashrrev_i32_e32 v1, 31, v1
	v_mul_u32_u24_e32 v34, 36, v2
	v_xor_b32_e32 v2, s25, v1
	v_xor_b32_e32 v1, s24, v1
	v_cmp_gt_i64_e64 s[24:25], 0, v[35:36]
	v_not_b32_e32 v35, v36
	v_ashrrev_i32_e32 v35, 31, v35
	v_and_b32_e32 v38, v38, v39
	v_and_b32_e32 v1, v37, v1
	v_xor_b32_e32 v36, s25, v35
	v_xor_b32_e32 v35, s24, v35
	v_and_b32_e32 v2, v38, v2
	v_and_b32_e32 v1, v1, v35
	v_and_b32_e32 v2, v2, v36
	v_mbcnt_lo_u32_b32 v35, v1, 0
	v_mbcnt_hi_u32_b32 v35, v2, v35
	v_cmp_ne_u64_e64 s[24:25], 0, v[1:2]
	v_cmp_eq_u32_e64 s[26:27], 0, v35
	s_and_b64 s[26:27], s[24:25], s[26:27]
	; wave barrier
	s_and_saveexec_b64 s[24:25], s[26:27]
	s_cbranch_execz .LBB128_12
; %bb.11:                               ;   in Loop: Header=BB128_4 Depth=2
	v_bcnt_u32_b32 v1, v1, 0
	v_bcnt_u32_b32 v1, v2, v1
	s_waitcnt lgkmcnt(0)
	v_add_u32_e32 v1, v33, v1
	v_add_u32_e32 v2, v20, v34
	ds_write_b32 v2, v1 offset:32
.LBB128_12:                             ;   in Loop: Header=BB128_4 Depth=2
	s_or_b64 exec, exec, s[24:25]
	v_lshlrev_b64 v[38:39], s28, v[11:12]
	v_lshrrev_b32_e32 v2, 28, v39
	v_mad_u32_u24 v1, v2, 36, v20
	; wave barrier
	ds_read_b32 v36, v1 offset:32
	v_bfe_u32 v1, v39, 28, 1
	v_add_co_u32_e64 v40, s[24:25], -1, v1
	v_addc_co_u32_e64 v41, s[24:25], 0, -1, s[24:25]
	v_cmp_ne_u32_e64 s[24:25], 0, v1
	v_xor_b32_e32 v1, s25, v41
	v_and_b32_e32 v41, exec_hi, v1
	v_lshlrev_b32_e32 v1, 30, v2
	v_xor_b32_e32 v40, s24, v40
	v_cmp_gt_i64_e64 s[24:25], 0, v[0:1]
	v_not_b32_e32 v1, v1
	v_ashrrev_i32_e32 v1, 31, v1
	v_and_b32_e32 v40, exec_lo, v40
	v_xor_b32_e32 v42, s25, v1
	v_xor_b32_e32 v1, s24, v1
	v_and_b32_e32 v40, v40, v1
	v_lshlrev_b32_e32 v1, 29, v2
	v_cmp_gt_i64_e64 s[24:25], 0, v[0:1]
	v_not_b32_e32 v1, v1
	v_ashrrev_i32_e32 v1, 31, v1
	v_mul_u32_u24_e32 v37, 36, v2
	v_xor_b32_e32 v2, s25, v1
	v_xor_b32_e32 v1, s24, v1
	v_cmp_gt_i64_e64 s[24:25], 0, v[38:39]
	v_not_b32_e32 v38, v39
	v_ashrrev_i32_e32 v38, 31, v38
	v_and_b32_e32 v41, v41, v42
	v_and_b32_e32 v1, v40, v1
	v_xor_b32_e32 v39, s25, v38
	v_xor_b32_e32 v38, s24, v38
	v_and_b32_e32 v2, v41, v2
	v_and_b32_e32 v1, v1, v38
	v_and_b32_e32 v2, v2, v39
	v_mbcnt_lo_u32_b32 v38, v1, 0
	v_mbcnt_hi_u32_b32 v38, v2, v38
	v_cmp_ne_u64_e64 s[24:25], 0, v[1:2]
	v_cmp_eq_u32_e64 s[26:27], 0, v38
	s_and_b64 s[26:27], s[24:25], s[26:27]
	; wave barrier
	s_and_saveexec_b64 s[24:25], s[26:27]
	s_cbranch_execz .LBB128_14
; %bb.13:                               ;   in Loop: Header=BB128_4 Depth=2
	v_bcnt_u32_b32 v1, v1, 0
	v_bcnt_u32_b32 v1, v2, v1
	s_waitcnt lgkmcnt(0)
	v_add_u32_e32 v1, v36, v1
	v_add_u32_e32 v2, v20, v37
	ds_write_b32 v2, v1 offset:32
.LBB128_14:                             ;   in Loop: Header=BB128_4 Depth=2
	;; [unrolled: 54-line block ×5, first 2 shown]
	s_or_b64 exec, exec, s[24:25]
	; wave barrier
	s_waitcnt lgkmcnt(0)
	s_barrier
	ds_read_b32 v1, v21 offset:32
	s_waitcnt lgkmcnt(0)
	s_nop 0
	v_mov_b32_dpp v2, v1 row_shr:1 row_mask:0xf bank_mask:0xf
	v_cndmask_b32_e64 v2, v2, 0, s[8:9]
	v_add_u32_e32 v1, v2, v1
	s_nop 1
	v_mov_b32_dpp v2, v1 row_shr:2 row_mask:0xf bank_mask:0xf
	v_cndmask_b32_e64 v2, 0, v2, s[10:11]
	v_add_u32_e32 v1, v1, v2
	;; [unrolled: 4-line block ×4, first 2 shown]
	s_nop 1
	v_mov_b32_dpp v2, v1 row_bcast:15 row_mask:0xf bank_mask:0xf
	v_cndmask_b32_e64 v2, v2, 0, s[16:17]
	v_add_u32_e32 v1, v1, v2
	s_nop 1
	v_mov_b32_dpp v2, v1 row_bcast:31 row_mask:0xf bank_mask:0xf
	v_cndmask_b32_e64 v2, 0, v2, s[6:7]
	v_add_u32_e32 v1, v1, v2
	s_and_saveexec_b64 s[24:25], s[2:3]
; %bb.21:                               ;   in Loop: Header=BB128_4 Depth=2
	ds_write_b32 v22, v1
; %bb.22:                               ;   in Loop: Header=BB128_4 Depth=2
	s_or_b64 exec, exec, s[24:25]
	s_waitcnt lgkmcnt(0)
	s_barrier
	s_and_saveexec_b64 s[24:25], vcc
	s_cbranch_execz .LBB128_24
; %bb.23:                               ;   in Loop: Header=BB128_4 Depth=2
	ds_read_b32 v2, v21
	s_waitcnt lgkmcnt(0)
	s_nop 0
	v_mov_b32_dpp v48, v2 row_shr:1 row_mask:0xf bank_mask:0xf
	v_cndmask_b32_e64 v48, v48, 0, s[18:19]
	v_add_u32_e32 v2, v48, v2
	s_nop 1
	v_mov_b32_dpp v48, v2 row_shr:2 row_mask:0xf bank_mask:0xf
	v_cndmask_b32_e64 v48, 0, v48, s[20:21]
	v_add_u32_e32 v2, v2, v48
	s_nop 1
	v_mov_b32_dpp v48, v2 row_shr:4 row_mask:0xf bank_mask:0xf
	v_cndmask_b32_e64 v48, 0, v48, s[22:23]
	v_add_u32_e32 v2, v2, v48
	ds_write_b32 v21, v2
.LBB128_24:                             ;   in Loop: Header=BB128_4 Depth=2
	s_or_b64 exec, exec, s[24:25]
	v_mov_b32_e32 v2, 0
	s_waitcnt lgkmcnt(0)
	s_barrier
	s_and_saveexec_b64 s[24:25], s[0:1]
	s_cbranch_execz .LBB128_3
; %bb.25:                               ;   in Loop: Header=BB128_4 Depth=2
	ds_read_b32 v2, v23
	s_branch .LBB128_3
.LBB128_26:
	v_add_u32_e32 v0, v20, v31
	v_add_u32_e32 v1, v20, v28
	;; [unrolled: 1-line block ×3, first 2 shown]
	ds_read_b32 v1, v1 offset:32
	ds_read_b32 v3, v2 offset:32
	;; [unrolled: 1-line block ×3, first 2 shown]
	v_add_u32_e32 v2, v20, v34
	ds_read_b32 v4, v2 offset:32
	v_add_u32_e32 v6, v20, v40
	v_add_u32_e32 v7, v20, v37
	s_waitcnt lgkmcnt(1)
	v_add3_u32 v2, v32, v30, v0
	v_add_u32_e32 v0, v3, v26
	v_add_u32_e32 v3, v20, v46
	;; [unrolled: 1-line block ×3, first 2 shown]
	ds_read_b32 v7, v7 offset:32
	ds_read_b32 v6, v6 offset:32
	;; [unrolled: 1-line block ×4, first 2 shown]
	s_lshl_b64 s[0:1], s[34:35], 2
	s_add_u32 s0, s30, s0
	v_add3_u32 v1, v29, v27, v1
	s_waitcnt lgkmcnt(4)
	v_add3_u32 v3, v35, v33, v4
	s_waitcnt lgkmcnt(2)
	;; [unrolled: 2-line block ×3, first 2 shown]
	v_add3_u32 v6, v44, v42, v8
	s_addc_u32 s1, s31, s1
	v_lshlrev_b32_e32 v8, 2, v19
	v_add3_u32 v4, v38, v36, v7
	s_waitcnt lgkmcnt(0)
	v_add3_u32 v7, v47, v45, v9
	global_store_dwordx4 v8, v[0:3], s[0:1]
	global_store_dwordx4 v8, v[4:7], s[0:1] offset:16
	s_endpgm
	.section	.rodata,"a",@progbits
	.p2align	6, 0x0
	.amdhsa_kernel _Z11rank_kernelIxLj4ELb0EL18RadixRankAlgorithm2ELj512ELj8ELj10EEvPKT_Pi
		.amdhsa_group_segment_fixed_size 2080
		.amdhsa_private_segment_fixed_size 0
		.amdhsa_kernarg_size 272
		.amdhsa_user_sgpr_count 6
		.amdhsa_user_sgpr_private_segment_buffer 1
		.amdhsa_user_sgpr_dispatch_ptr 0
		.amdhsa_user_sgpr_queue_ptr 0
		.amdhsa_user_sgpr_kernarg_segment_ptr 1
		.amdhsa_user_sgpr_dispatch_id 0
		.amdhsa_user_sgpr_flat_scratch_init 0
		.amdhsa_user_sgpr_private_segment_size 0
		.amdhsa_uses_dynamic_stack 0
		.amdhsa_system_sgpr_private_segment_wavefront_offset 0
		.amdhsa_system_sgpr_workgroup_id_x 1
		.amdhsa_system_sgpr_workgroup_id_y 0
		.amdhsa_system_sgpr_workgroup_id_z 0
		.amdhsa_system_sgpr_workgroup_info 0
		.amdhsa_system_vgpr_workitem_id 2
		.amdhsa_next_free_vgpr 52
		.amdhsa_next_free_sgpr 37
		.amdhsa_reserve_vcc 1
		.amdhsa_reserve_flat_scratch 0
		.amdhsa_float_round_mode_32 0
		.amdhsa_float_round_mode_16_64 0
		.amdhsa_float_denorm_mode_32 3
		.amdhsa_float_denorm_mode_16_64 3
		.amdhsa_dx10_clamp 1
		.amdhsa_ieee_mode 1
		.amdhsa_fp16_overflow 0
		.amdhsa_exception_fp_ieee_invalid_op 0
		.amdhsa_exception_fp_denorm_src 0
		.amdhsa_exception_fp_ieee_div_zero 0
		.amdhsa_exception_fp_ieee_overflow 0
		.amdhsa_exception_fp_ieee_underflow 0
		.amdhsa_exception_fp_ieee_inexact 0
		.amdhsa_exception_int_div_zero 0
	.end_amdhsa_kernel
	.section	.text._Z11rank_kernelIxLj4ELb0EL18RadixRankAlgorithm2ELj512ELj8ELj10EEvPKT_Pi,"axG",@progbits,_Z11rank_kernelIxLj4ELb0EL18RadixRankAlgorithm2ELj512ELj8ELj10EEvPKT_Pi,comdat
.Lfunc_end128:
	.size	_Z11rank_kernelIxLj4ELb0EL18RadixRankAlgorithm2ELj512ELj8ELj10EEvPKT_Pi, .Lfunc_end128-_Z11rank_kernelIxLj4ELb0EL18RadixRankAlgorithm2ELj512ELj8ELj10EEvPKT_Pi
                                        ; -- End function
	.set _Z11rank_kernelIxLj4ELb0EL18RadixRankAlgorithm2ELj512ELj8ELj10EEvPKT_Pi.num_vgpr, 52
	.set _Z11rank_kernelIxLj4ELb0EL18RadixRankAlgorithm2ELj512ELj8ELj10EEvPKT_Pi.num_agpr, 0
	.set _Z11rank_kernelIxLj4ELb0EL18RadixRankAlgorithm2ELj512ELj8ELj10EEvPKT_Pi.numbered_sgpr, 37
	.set _Z11rank_kernelIxLj4ELb0EL18RadixRankAlgorithm2ELj512ELj8ELj10EEvPKT_Pi.num_named_barrier, 0
	.set _Z11rank_kernelIxLj4ELb0EL18RadixRankAlgorithm2ELj512ELj8ELj10EEvPKT_Pi.private_seg_size, 0
	.set _Z11rank_kernelIxLj4ELb0EL18RadixRankAlgorithm2ELj512ELj8ELj10EEvPKT_Pi.uses_vcc, 1
	.set _Z11rank_kernelIxLj4ELb0EL18RadixRankAlgorithm2ELj512ELj8ELj10EEvPKT_Pi.uses_flat_scratch, 0
	.set _Z11rank_kernelIxLj4ELb0EL18RadixRankAlgorithm2ELj512ELj8ELj10EEvPKT_Pi.has_dyn_sized_stack, 0
	.set _Z11rank_kernelIxLj4ELb0EL18RadixRankAlgorithm2ELj512ELj8ELj10EEvPKT_Pi.has_recursion, 0
	.set _Z11rank_kernelIxLj4ELb0EL18RadixRankAlgorithm2ELj512ELj8ELj10EEvPKT_Pi.has_indirect_call, 0
	.section	.AMDGPU.csdata,"",@progbits
; Kernel info:
; codeLenInByte = 3144
; TotalNumSgprs: 41
; NumVgprs: 52
; ScratchSize: 0
; MemoryBound: 0
; FloatMode: 240
; IeeeMode: 1
; LDSByteSize: 2080 bytes/workgroup (compile time only)
; SGPRBlocks: 5
; VGPRBlocks: 12
; NumSGPRsForWavesPerEU: 41
; NumVGPRsForWavesPerEU: 52
; Occupancy: 4
; WaveLimiterHint : 0
; COMPUTE_PGM_RSRC2:SCRATCH_EN: 0
; COMPUTE_PGM_RSRC2:USER_SGPR: 6
; COMPUTE_PGM_RSRC2:TRAP_HANDLER: 0
; COMPUTE_PGM_RSRC2:TGID_X_EN: 1
; COMPUTE_PGM_RSRC2:TGID_Y_EN: 0
; COMPUTE_PGM_RSRC2:TGID_Z_EN: 0
; COMPUTE_PGM_RSRC2:TIDIG_COMP_CNT: 2
	.section	.text._Z11rank_kernelIxLj4ELb0EL18RadixRankAlgorithm0ELj512ELj16ELj10EEvPKT_Pi,"axG",@progbits,_Z11rank_kernelIxLj4ELb0EL18RadixRankAlgorithm0ELj512ELj16ELj10EEvPKT_Pi,comdat
	.protected	_Z11rank_kernelIxLj4ELb0EL18RadixRankAlgorithm0ELj512ELj16ELj10EEvPKT_Pi ; -- Begin function _Z11rank_kernelIxLj4ELb0EL18RadixRankAlgorithm0ELj512ELj16ELj10EEvPKT_Pi
	.globl	_Z11rank_kernelIxLj4ELb0EL18RadixRankAlgorithm0ELj512ELj16ELj10EEvPKT_Pi
	.p2align	8
	.type	_Z11rank_kernelIxLj4ELb0EL18RadixRankAlgorithm0ELj512ELj16ELj10EEvPKT_Pi,@function
_Z11rank_kernelIxLj4ELb0EL18RadixRankAlgorithm0ELj512ELj16ELj10EEvPKT_Pi: ; @_Z11rank_kernelIxLj4ELb0EL18RadixRankAlgorithm0ELj512ELj16ELj10EEvPKT_Pi
; %bb.0:
	s_load_dwordx4 s[24:27], s[4:5], 0x0
	s_lshl_b32 s28, s6, 13
	s_mov_b32 s29, 0
	s_lshl_b64 s[0:1], s[28:29], 3
	v_lshlrev_b32_e32 v33, 7, v0
	s_waitcnt lgkmcnt(0)
	s_add_u32 s0, s24, s0
	s_addc_u32 s1, s25, s1
	global_load_dwordx4 v[1:4], v33, s[0:1]
	global_load_dwordx4 v[5:8], v33, s[0:1] offset:16
	global_load_dwordx4 v[9:12], v33, s[0:1] offset:32
	;; [unrolled: 1-line block ×7, first 2 shown]
	v_mbcnt_lo_u32_b32 v33, -1, 0
	v_mbcnt_hi_u32_b32 v39, -1, v33
	v_subrev_co_u32_e64 v43, s[6:7], 1, v39
	v_and_b32_e32 v44, 64, v39
	v_cmp_lt_i32_e64 s[18:19], v43, v44
	v_lshlrev_b32_e32 v35, 5, v0
	v_or_b32_e32 v37, 63, v0
	v_lshrrev_b32_e32 v38, 4, v0
	v_mul_i32_i24_e32 v40, 0xffffffe4, v0
	v_and_b32_e32 v41, 15, v39
	v_and_b32_e32 v42, 16, v39
	v_cmp_lt_u32_e64 s[4:5], 31, v39
	v_and_b32_e32 v45, 7, v39
	v_cndmask_b32_e64 v39, v43, v39, s[18:19]
	s_movk_i32 s33, 0xdff
	s_movk_i32 s34, 0xe00
	v_mov_b32_e32 v34, 0
	v_cmp_gt_u32_e32 vcc, 8, v0
	v_cmp_lt_u32_e64 s[0:1], 63, v0
	s_mov_b32 s35, s29
	v_lshlrev_b32_e32 v33, 4, v0
	v_lshlrev_b32_e32 v36, 2, v0
	v_cmp_eq_u32_e64 s[2:3], v0, v37
	v_and_b32_e32 v37, 28, v38
	v_add_u32_e32 v38, v35, v40
	v_cmp_eq_u32_e64 s[8:9], 0, v41
	v_cmp_lt_u32_e64 s[10:11], 1, v41
	v_cmp_lt_u32_e64 s[12:13], 3, v41
	;; [unrolled: 1-line block ×3, first 2 shown]
	v_cmp_eq_u32_e64 s[16:17], 0, v42
	v_cmp_eq_u32_e64 s[18:19], 0, v45
	v_cmp_lt_u32_e64 s[20:21], 1, v45
	v_cmp_lt_u32_e64 s[22:23], 3, v45
	v_lshlrev_b32_e32 v39, 2, v39
	v_or_b32_e32 v40, 0xfffffe00, v0
	s_waitcnt vmcnt(7)
	v_xor_b32_e32 v2, 0x80000000, v2
	v_xor_b32_e32 v4, 0x80000000, v4
	s_waitcnt vmcnt(6)
	v_xor_b32_e32 v6, 0x80000000, v6
	v_xor_b32_e32 v8, 0x80000000, v8
	;; [unrolled: 3-line block ×8, first 2 shown]
	s_branch .LBB129_2
.LBB129_1:                              ;   in Loop: Header=BB129_2 Depth=1
	s_add_i32 s35, s35, 1
	s_cmp_eq_u32 s35, 10
	s_cbranch_scc1 .LBB129_12
.LBB129_2:                              ; =>This Loop Header: Depth=1
                                        ;     Child Loop BB129_4 Depth 2
                                        ;       Child Loop BB129_5 Depth 3
	s_mov_b32 s36, 0
	s_branch .LBB129_4
.LBB129_3:                              ;   in Loop: Header=BB129_4 Depth=2
	s_or_b64 exec, exec, s[24:25]
	s_waitcnt lgkmcnt(0)
	v_add_u32_e32 v73, v74, v73
	ds_bpermute_b32 v73, v39, v73
	ds_read_b32 v81, v34 offset:16412
	ds_read2_b64 v[75:78], v35 offset1:1
	ds_read_b64 v[79:80], v35 offset:16
	ds_read_b32 v82, v35 offset:24
	s_add_i32 s24, s36, 4
	s_cmp_lt_u32 s36, 60
	s_mov_b32 s36, s24
	s_waitcnt lgkmcnt(4)
	v_cndmask_b32_e64 v73, v73, v74, s[6:7]
	s_waitcnt lgkmcnt(3)
	v_lshl_add_u32 v73, v81, 16, v73
	s_waitcnt lgkmcnt(2)
	v_add_u32_e32 v74, v73, v75
	v_add_u32_e32 v75, v76, v74
	;; [unrolled: 1-line block ×3, first 2 shown]
	ds_write2_b64 v35, v[73:74], v[75:76] offset1:1
	v_add_u32_e32 v73, v78, v76
	s_waitcnt lgkmcnt(2)
	v_add_u32_e32 v74, v79, v73
	v_add_u32_e32 v75, v80, v74
	s_waitcnt lgkmcnt(1)
	v_add_u32_e32 v76, v82, v75
	ds_write2_b64 v35, v[73:74], v[75:76] offset0:2 offset1:3
	s_waitcnt lgkmcnt(0)
	s_barrier
	s_cbranch_scc0 .LBB129_1
.LBB129_4:                              ;   Parent Loop BB129_2 Depth=1
                                        ; =>  This Loop Header: Depth=2
                                        ;       Child Loop BB129_5 Depth 3
	s_mov_b64 s[30:31], 0
	v_mov_b32_e32 v41, v40
	v_mov_b32_e32 v42, v36
.LBB129_5:                              ;   Parent Loop BB129_2 Depth=1
                                        ;     Parent Loop BB129_4 Depth=2
                                        ; =>    This Inner Loop Header: Depth=3
	v_add_u32_e32 v41, 0x200, v41
	v_cmp_lt_u32_e64 s[24:25], s33, v41
	ds_write_b32 v42, v34
	s_or_b64 s[30:31], s[24:25], s[30:31]
	v_add_u32_e32 v42, 0x800, v42
	s_andn2_b64 exec, exec, s[30:31]
	s_cbranch_execnz .LBB129_5
; %bb.6:                                ;   in Loop: Header=BB129_4 Depth=2
	s_or_b64 exec, exec, s[30:31]
	s_sub_i32 s24, 60, s36
	v_lshlrev_b64 v[41:42], s24, v[1:2]
	v_lshlrev_b64 v[43:44], s24, v[3:4]
	v_lshrrev_b32_e32 v41, 19, v42
	v_lshrrev_b32_e32 v42, 30, v42
	v_and_or_b32 v41, v41, s34, v0
	v_and_b32_e32 v42, 2, v42
	v_lshl_or_b32 v42, v41, 2, v42
	ds_read_u16 v41, v42
	v_lshrrev_b32_e32 v43, 19, v44
	v_lshrrev_b32_e32 v44, 30, v44
	v_and_or_b32 v43, v43, s34, v0
	v_and_b32_e32 v44, 2, v44
	s_waitcnt lgkmcnt(0)
	v_add_u16_e32 v45, 1, v41
	ds_write_b16 v42, v45
	v_lshl_or_b32 v44, v43, 2, v44
	ds_read_u16 v43, v44
	v_lshlrev_b64 v[45:46], s24, v[5:6]
	v_lshlrev_b64 v[48:49], s24, v[7:8]
	;; [unrolled: 1-line block ×3, first 2 shown]
	v_lshrrev_b32_e32 v48, 30, v49
	s_waitcnt lgkmcnt(0)
	v_add_u16_e32 v45, 1, v43
	ds_write_b16 v44, v45
	v_lshrrev_b32_e32 v45, 19, v46
	v_lshrrev_b32_e32 v46, 30, v46
	v_and_or_b32 v45, v45, s34, v0
	v_and_b32_e32 v46, 2, v46
	v_lshl_or_b32 v47, v45, 2, v46
	ds_read_u16 v45, v47
	v_and_b32_e32 v48, 2, v48
	v_lshrrev_b32_e32 v50, 30, v51
	v_and_b32_e32 v50, 2, v50
	v_lshlrev_b64 v[52:53], s24, v[11:12]
	s_waitcnt lgkmcnt(0)
	v_add_u16_e32 v46, 1, v45
	ds_write_b16 v47, v46
	v_lshrrev_b32_e32 v46, 19, v49
	v_and_or_b32 v46, v46, s34, v0
	v_lshl_or_b32 v49, v46, 2, v48
	ds_read_u16 v46, v49
	v_lshrrev_b32_e32 v52, 30, v53
	v_and_b32_e32 v52, 2, v52
	v_lshlrev_b64 v[54:55], s24, v[13:14]
	v_lshlrev_b64 v[56:57], s24, v[15:16]
	s_waitcnt lgkmcnt(0)
	v_add_u16_e32 v48, 1, v46
	ds_write_b16 v49, v48
	v_lshrrev_b32_e32 v48, 19, v51
	v_and_or_b32 v48, v48, s34, v0
	v_lshl_or_b32 v51, v48, 2, v50
	ds_read_u16 v48, v51
	v_lshrrev_b32_e32 v54, 30, v55
	v_and_b32_e32 v54, 2, v54
	v_lshrrev_b32_e32 v56, 30, v57
	v_and_b32_e32 v56, 2, v56
	s_waitcnt lgkmcnt(0)
	v_add_u16_e32 v50, 1, v48
	ds_write_b16 v51, v50
	v_lshrrev_b32_e32 v50, 19, v53
	v_and_or_b32 v50, v50, s34, v0
	v_lshl_or_b32 v53, v50, 2, v52
	ds_read_u16 v50, v53
	v_lshlrev_b64 v[60:61], s24, v[19:20]
	v_lshlrev_b64 v[64:65], s24, v[23:24]
	v_lshrrev_b32_e32 v60, 30, v61
	v_and_b32_e32 v60, 2, v60
	s_waitcnt lgkmcnt(0)
	v_add_u16_e32 v52, 1, v50
	ds_write_b16 v53, v52
	v_lshrrev_b32_e32 v52, 19, v55
	v_and_or_b32 v52, v52, s34, v0
	v_lshl_or_b32 v55, v52, 2, v54
	ds_read_u16 v52, v55
	v_lshrrev_b32_e32 v64, 30, v65
	v_and_b32_e32 v64, 2, v64
	v_lshlrev_b64 v[66:67], s24, v[25:26]
	v_lshlrev_b64 v[68:69], s24, v[27:28]
	s_waitcnt lgkmcnt(0)
	v_add_u16_e32 v54, 1, v52
	ds_write_b16 v55, v54
	v_lshrrev_b32_e32 v54, 19, v57
	v_and_or_b32 v54, v54, s34, v0
	v_lshl_or_b32 v59, v54, 2, v56
	ds_read_u16 v54, v59
	v_lshlrev_b64 v[56:57], s24, v[17:18]
	v_lshrrev_b32_e32 v66, 30, v67
	v_lshrrev_b32_e32 v56, 19, v57
	;; [unrolled: 1-line block ×3, first 2 shown]
	s_waitcnt lgkmcnt(0)
	v_add_u16_e32 v58, 1, v54
	v_and_or_b32 v56, v56, s34, v0
	v_and_b32_e32 v57, 2, v57
	ds_write_b16 v59, v58
	v_lshl_or_b32 v57, v56, 2, v57
	ds_read_u16 v56, v57
	v_and_b32_e32 v66, 2, v66
	v_lshrrev_b32_e32 v68, 30, v69
	v_and_b32_e32 v68, 2, v68
	v_lshlrev_b64 v[70:71], s24, v[29:30]
	s_waitcnt lgkmcnt(0)
	v_add_u16_e32 v58, 1, v56
	ds_write_b16 v57, v58
	v_lshrrev_b32_e32 v58, 19, v61
	v_and_or_b32 v58, v58, s34, v0
	v_lshl_or_b32 v60, v58, 2, v60
	ds_read_u16 v58, v60
	v_lshlrev_b64 v[61:62], s24, v[21:22]
	v_lshrrev_b32_e32 v70, 30, v71
	v_lshrrev_b32_e32 v61, 19, v62
	v_lshrrev_b32_e32 v62, 30, v62
	s_waitcnt lgkmcnt(0)
	v_add_u16_e32 v63, 1, v58
	v_and_or_b32 v61, v61, s34, v0
	v_and_b32_e32 v62, 2, v62
	ds_write_b16 v60, v63
	v_lshl_or_b32 v63, v61, 2, v62
	ds_read_u16 v61, v63
	v_and_b32_e32 v70, 2, v70
	v_lshlrev_b64 v[72:73], s24, v[31:32]
	v_lshrrev_b32_e32 v72, 30, v73
	s_waitcnt lgkmcnt(0)
	v_add_u16_e32 v62, 1, v61
	ds_write_b16 v63, v62
	v_lshrrev_b32_e32 v62, 19, v65
	v_and_or_b32 v62, v62, s34, v0
	v_lshl_or_b32 v65, v62, 2, v64
	ds_read_u16 v62, v65
	v_and_b32_e32 v72, 2, v72
	s_waitcnt lgkmcnt(0)
	v_add_u16_e32 v64, 1, v62
	ds_write_b16 v65, v64
	v_lshrrev_b32_e32 v64, 19, v67
	v_and_or_b32 v64, v64, s34, v0
	v_lshl_or_b32 v67, v64, 2, v66
	ds_read_u16 v64, v67
	s_waitcnt lgkmcnt(0)
	v_add_u16_e32 v66, 1, v64
	ds_write_b16 v67, v66
	v_lshrrev_b32_e32 v66, 19, v69
	v_and_or_b32 v66, v66, s34, v0
	v_lshl_or_b32 v69, v66, 2, v68
	ds_read_u16 v66, v69
	;; [unrolled: 7-line block ×4, first 2 shown]
	s_waitcnt lgkmcnt(0)
	v_add_u16_e32 v73, 1, v70
	ds_write_b16 v72, v73
	s_waitcnt lgkmcnt(0)
	s_barrier
	ds_read2_b64 v[73:76], v35 offset1:1
	ds_read2_b64 v[77:80], v35 offset0:2 offset1:3
	s_waitcnt lgkmcnt(1)
	v_add_u32_e32 v73, v74, v73
	v_add3_u32 v73, v73, v75, v76
	s_waitcnt lgkmcnt(0)
	v_add3_u32 v73, v73, v77, v78
	v_add3_u32 v73, v73, v79, v80
	s_nop 1
	v_mov_b32_dpp v74, v73 row_shr:1 row_mask:0xf bank_mask:0xf
	v_cndmask_b32_e64 v74, v74, 0, s[8:9]
	v_add_u32_e32 v73, v74, v73
	s_nop 1
	v_mov_b32_dpp v74, v73 row_shr:2 row_mask:0xf bank_mask:0xf
	v_cndmask_b32_e64 v74, 0, v74, s[10:11]
	v_add_u32_e32 v73, v73, v74
	;; [unrolled: 4-line block ×4, first 2 shown]
	s_nop 1
	v_mov_b32_dpp v74, v73 row_bcast:15 row_mask:0xf bank_mask:0xf
	v_cndmask_b32_e64 v74, v74, 0, s[16:17]
	v_add_u32_e32 v73, v73, v74
	s_nop 1
	v_mov_b32_dpp v74, v73 row_bcast:31 row_mask:0xf bank_mask:0xf
	v_cndmask_b32_e64 v74, 0, v74, s[4:5]
	v_add_u32_e32 v73, v73, v74
	s_and_saveexec_b64 s[24:25], s[2:3]
; %bb.7:                                ;   in Loop: Header=BB129_4 Depth=2
	ds_write_b32 v37, v73 offset:16384
; %bb.8:                                ;   in Loop: Header=BB129_4 Depth=2
	s_or_b64 exec, exec, s[24:25]
	s_waitcnt lgkmcnt(0)
	s_barrier
	s_and_saveexec_b64 s[24:25], vcc
	s_cbranch_execz .LBB129_10
; %bb.9:                                ;   in Loop: Header=BB129_4 Depth=2
	ds_read_b32 v74, v38 offset:16384
	s_waitcnt lgkmcnt(0)
	s_nop 0
	v_mov_b32_dpp v75, v74 row_shr:1 row_mask:0xf bank_mask:0xf
	v_cndmask_b32_e64 v75, v75, 0, s[18:19]
	v_add_u32_e32 v74, v75, v74
	s_nop 1
	v_mov_b32_dpp v75, v74 row_shr:2 row_mask:0xf bank_mask:0xf
	v_cndmask_b32_e64 v75, 0, v75, s[20:21]
	v_add_u32_e32 v74, v74, v75
	;; [unrolled: 4-line block ×3, first 2 shown]
	ds_write_b32 v38, v74 offset:16384
.LBB129_10:                             ;   in Loop: Header=BB129_4 Depth=2
	s_or_b64 exec, exec, s[24:25]
	v_mov_b32_e32 v74, 0
	s_waitcnt lgkmcnt(0)
	s_barrier
	s_and_saveexec_b64 s[24:25], s[0:1]
	s_cbranch_execz .LBB129_3
; %bb.11:                               ;   in Loop: Header=BB129_4 Depth=2
	ds_read_b32 v74, v37 offset:16380
	s_branch .LBB129_3
.LBB129_12:
	ds_read_u16 v7, v59
	ds_read_u16 v6, v55
	;; [unrolled: 1-line block ×16, first 2 shown]
	s_lshl_b64 s[0:1], s[28:29], 2
	s_add_u32 s0, s26, s0
	s_waitcnt lgkmcnt(8)
	v_add_u32_sdwa v0, v0, v41 dst_sel:DWORD dst_unused:UNUSED_PAD src0_sel:DWORD src1_sel:WORD_0
	v_add_u32_sdwa v1, v1, v43 dst_sel:DWORD dst_unused:UNUSED_PAD src0_sel:DWORD src1_sel:WORD_0
	;; [unrolled: 1-line block ×4, first 2 shown]
	s_addc_u32 s1, s27, s1
	v_lshlrev_b32_e32 v16, 2, v33
	v_add_u32_sdwa v4, v4, v48 dst_sel:DWORD dst_unused:UNUSED_PAD src0_sel:DWORD src1_sel:WORD_0
	v_add_u32_sdwa v5, v5, v50 dst_sel:DWORD dst_unused:UNUSED_PAD src0_sel:DWORD src1_sel:WORD_0
	;; [unrolled: 1-line block ×4, first 2 shown]
	s_waitcnt lgkmcnt(0)
	v_add_u32_sdwa v8, v8, v56 dst_sel:DWORD dst_unused:UNUSED_PAD src0_sel:DWORD src1_sel:WORD_0
	v_add_u32_sdwa v9, v9, v58 dst_sel:DWORD dst_unused:UNUSED_PAD src0_sel:DWORD src1_sel:WORD_0
	;; [unrolled: 1-line block ×8, first 2 shown]
	global_store_dwordx4 v16, v[0:3], s[0:1]
	global_store_dwordx4 v16, v[4:7], s[0:1] offset:16
	global_store_dwordx4 v16, v[8:11], s[0:1] offset:32
	global_store_dwordx4 v16, v[12:15], s[0:1] offset:48
	s_endpgm
	.section	.rodata,"a",@progbits
	.p2align	6, 0x0
	.amdhsa_kernel _Z11rank_kernelIxLj4ELb0EL18RadixRankAlgorithm0ELj512ELj16ELj10EEvPKT_Pi
		.amdhsa_group_segment_fixed_size 16416
		.amdhsa_private_segment_fixed_size 0
		.amdhsa_kernarg_size 16
		.amdhsa_user_sgpr_count 6
		.amdhsa_user_sgpr_private_segment_buffer 1
		.amdhsa_user_sgpr_dispatch_ptr 0
		.amdhsa_user_sgpr_queue_ptr 0
		.amdhsa_user_sgpr_kernarg_segment_ptr 1
		.amdhsa_user_sgpr_dispatch_id 0
		.amdhsa_user_sgpr_flat_scratch_init 0
		.amdhsa_user_sgpr_private_segment_size 0
		.amdhsa_uses_dynamic_stack 0
		.amdhsa_system_sgpr_private_segment_wavefront_offset 0
		.amdhsa_system_sgpr_workgroup_id_x 1
		.amdhsa_system_sgpr_workgroup_id_y 0
		.amdhsa_system_sgpr_workgroup_id_z 0
		.amdhsa_system_sgpr_workgroup_info 0
		.amdhsa_system_vgpr_workitem_id 0
		.amdhsa_next_free_vgpr 83
		.amdhsa_next_free_sgpr 93
		.amdhsa_reserve_vcc 1
		.amdhsa_reserve_flat_scratch 0
		.amdhsa_float_round_mode_32 0
		.amdhsa_float_round_mode_16_64 0
		.amdhsa_float_denorm_mode_32 3
		.amdhsa_float_denorm_mode_16_64 3
		.amdhsa_dx10_clamp 1
		.amdhsa_ieee_mode 1
		.amdhsa_fp16_overflow 0
		.amdhsa_exception_fp_ieee_invalid_op 0
		.amdhsa_exception_fp_denorm_src 0
		.amdhsa_exception_fp_ieee_div_zero 0
		.amdhsa_exception_fp_ieee_overflow 0
		.amdhsa_exception_fp_ieee_underflow 0
		.amdhsa_exception_fp_ieee_inexact 0
		.amdhsa_exception_int_div_zero 0
	.end_amdhsa_kernel
	.section	.text._Z11rank_kernelIxLj4ELb0EL18RadixRankAlgorithm0ELj512ELj16ELj10EEvPKT_Pi,"axG",@progbits,_Z11rank_kernelIxLj4ELb0EL18RadixRankAlgorithm0ELj512ELj16ELj10EEvPKT_Pi,comdat
.Lfunc_end129:
	.size	_Z11rank_kernelIxLj4ELb0EL18RadixRankAlgorithm0ELj512ELj16ELj10EEvPKT_Pi, .Lfunc_end129-_Z11rank_kernelIxLj4ELb0EL18RadixRankAlgorithm0ELj512ELj16ELj10EEvPKT_Pi
                                        ; -- End function
	.set _Z11rank_kernelIxLj4ELb0EL18RadixRankAlgorithm0ELj512ELj16ELj10EEvPKT_Pi.num_vgpr, 83
	.set _Z11rank_kernelIxLj4ELb0EL18RadixRankAlgorithm0ELj512ELj16ELj10EEvPKT_Pi.num_agpr, 0
	.set _Z11rank_kernelIxLj4ELb0EL18RadixRankAlgorithm0ELj512ELj16ELj10EEvPKT_Pi.numbered_sgpr, 37
	.set _Z11rank_kernelIxLj4ELb0EL18RadixRankAlgorithm0ELj512ELj16ELj10EEvPKT_Pi.num_named_barrier, 0
	.set _Z11rank_kernelIxLj4ELb0EL18RadixRankAlgorithm0ELj512ELj16ELj10EEvPKT_Pi.private_seg_size, 0
	.set _Z11rank_kernelIxLj4ELb0EL18RadixRankAlgorithm0ELj512ELj16ELj10EEvPKT_Pi.uses_vcc, 1
	.set _Z11rank_kernelIxLj4ELb0EL18RadixRankAlgorithm0ELj512ELj16ELj10EEvPKT_Pi.uses_flat_scratch, 0
	.set _Z11rank_kernelIxLj4ELb0EL18RadixRankAlgorithm0ELj512ELj16ELj10EEvPKT_Pi.has_dyn_sized_stack, 0
	.set _Z11rank_kernelIxLj4ELb0EL18RadixRankAlgorithm0ELj512ELj16ELj10EEvPKT_Pi.has_recursion, 0
	.set _Z11rank_kernelIxLj4ELb0EL18RadixRankAlgorithm0ELj512ELj16ELj10EEvPKT_Pi.has_indirect_call, 0
	.section	.AMDGPU.csdata,"",@progbits
; Kernel info:
; codeLenInByte = 2356
; TotalNumSgprs: 41
; NumVgprs: 83
; ScratchSize: 0
; MemoryBound: 0
; FloatMode: 240
; IeeeMode: 1
; LDSByteSize: 16416 bytes/workgroup (compile time only)
; SGPRBlocks: 12
; VGPRBlocks: 20
; NumSGPRsForWavesPerEU: 97
; NumVGPRsForWavesPerEU: 83
; Occupancy: 3
; WaveLimiterHint : 0
; COMPUTE_PGM_RSRC2:SCRATCH_EN: 0
; COMPUTE_PGM_RSRC2:USER_SGPR: 6
; COMPUTE_PGM_RSRC2:TRAP_HANDLER: 0
; COMPUTE_PGM_RSRC2:TGID_X_EN: 1
; COMPUTE_PGM_RSRC2:TGID_Y_EN: 0
; COMPUTE_PGM_RSRC2:TGID_Z_EN: 0
; COMPUTE_PGM_RSRC2:TIDIG_COMP_CNT: 0
	.section	.text._Z11rank_kernelIxLj4ELb0EL18RadixRankAlgorithm1ELj512ELj16ELj10EEvPKT_Pi,"axG",@progbits,_Z11rank_kernelIxLj4ELb0EL18RadixRankAlgorithm1ELj512ELj16ELj10EEvPKT_Pi,comdat
	.protected	_Z11rank_kernelIxLj4ELb0EL18RadixRankAlgorithm1ELj512ELj16ELj10EEvPKT_Pi ; -- Begin function _Z11rank_kernelIxLj4ELb0EL18RadixRankAlgorithm1ELj512ELj16ELj10EEvPKT_Pi
	.globl	_Z11rank_kernelIxLj4ELb0EL18RadixRankAlgorithm1ELj512ELj16ELj10EEvPKT_Pi
	.p2align	8
	.type	_Z11rank_kernelIxLj4ELb0EL18RadixRankAlgorithm1ELj512ELj16ELj10EEvPKT_Pi,@function
_Z11rank_kernelIxLj4ELb0EL18RadixRankAlgorithm1ELj512ELj16ELj10EEvPKT_Pi: ; @_Z11rank_kernelIxLj4ELb0EL18RadixRankAlgorithm1ELj512ELj16ELj10EEvPKT_Pi
; %bb.0:
	s_load_dwordx4 s[24:27], s[4:5], 0x0
	s_lshl_b32 s28, s6, 13
	s_mov_b32 s29, 0
	s_lshl_b64 s[0:1], s[28:29], 3
	v_lshlrev_b32_e32 v33, 7, v0
	s_waitcnt lgkmcnt(0)
	s_add_u32 s0, s24, s0
	s_addc_u32 s1, s25, s1
	global_load_dwordx4 v[1:4], v33, s[0:1]
	global_load_dwordx4 v[5:8], v33, s[0:1] offset:16
	global_load_dwordx4 v[9:12], v33, s[0:1] offset:32
	;; [unrolled: 1-line block ×7, first 2 shown]
	v_mbcnt_lo_u32_b32 v33, -1, 0
	v_mbcnt_hi_u32_b32 v33, -1, v33
	v_subrev_co_u32_e64 v38, s[6:7], 1, v33
	v_and_b32_e32 v39, 64, v33
	v_or_b32_e32 v34, 63, v0
	v_lshrrev_b32_e32 v35, 4, v0
	v_cmp_lt_i32_e64 s[18:19], v38, v39
	v_lshlrev_b32_e32 v43, 5, v0
	v_mul_i32_i24_e32 v36, 0xffffffe4, v0
	v_and_b32_e32 v37, 15, v33
	v_cmp_eq_u32_e64 s[2:3], v0, v34
	v_and_b32_e32 v34, 16, v33
	v_cmp_lt_u32_e64 s[4:5], 31, v33
	v_and_b32_e32 v45, 28, v35
	v_and_b32_e32 v35, 7, v33
	v_cndmask_b32_e64 v33, v38, v33, s[18:19]
	s_movk_i32 s33, 0xdff
	s_movk_i32 s34, 0xe00
	v_mov_b32_e32 v42, 0
	v_cmp_gt_u32_e32 vcc, 8, v0
	v_cmp_lt_u32_e64 s[0:1], 63, v0
	s_mov_b32 s35, s29
	v_lshlrev_b32_e32 v41, 4, v0
	v_lshlrev_b32_e32 v44, 2, v0
	v_add_u32_e32 v46, v43, v36
	v_cmp_eq_u32_e64 s[8:9], 0, v37
	v_cmp_lt_u32_e64 s[10:11], 1, v37
	v_cmp_lt_u32_e64 s[12:13], 3, v37
	;; [unrolled: 1-line block ×3, first 2 shown]
	v_cmp_eq_u32_e64 s[16:17], 0, v34
	v_cmp_eq_u32_e64 s[18:19], 0, v35
	v_cmp_lt_u32_e64 s[20:21], 1, v35
	v_cmp_lt_u32_e64 s[22:23], 3, v35
	v_lshlrev_b32_e32 v47, 2, v33
	v_or_b32_e32 v48, 0xfffffe00, v0
	s_waitcnt vmcnt(7)
	v_xor_b32_e32 v2, 0x80000000, v2
	v_xor_b32_e32 v4, 0x80000000, v4
	s_waitcnt vmcnt(6)
	v_xor_b32_e32 v6, 0x80000000, v6
	v_xor_b32_e32 v8, 0x80000000, v8
	s_waitcnt vmcnt(5)
	v_xor_b32_e32 v10, 0x80000000, v10
	v_xor_b32_e32 v12, 0x80000000, v12
	s_waitcnt vmcnt(4)
	v_xor_b32_e32 v14, 0x80000000, v14
	v_xor_b32_e32 v16, 0x80000000, v16
	s_waitcnt vmcnt(3)
	v_xor_b32_e32 v18, 0x80000000, v18
	v_xor_b32_e32 v20, 0x80000000, v20
	s_waitcnt vmcnt(2)
	v_xor_b32_e32 v22, 0x80000000, v22
	v_xor_b32_e32 v24, 0x80000000, v24
	s_waitcnt vmcnt(1)
	v_xor_b32_e32 v26, 0x80000000, v26
	v_xor_b32_e32 v28, 0x80000000, v28
	s_waitcnt vmcnt(0)
	v_xor_b32_e32 v30, 0x80000000, v30
	v_xor_b32_e32 v32, 0x80000000, v32
	s_branch .LBB130_2
.LBB130_1:                              ;   in Loop: Header=BB130_2 Depth=1
	s_add_i32 s35, s35, 1
	s_cmp_eq_u32 s35, 10
	s_cbranch_scc1 .LBB130_12
.LBB130_2:                              ; =>This Loop Header: Depth=1
                                        ;     Child Loop BB130_4 Depth 2
                                        ;       Child Loop BB130_5 Depth 3
	s_mov_b32 s36, 0
	s_branch .LBB130_4
.LBB130_3:                              ;   in Loop: Header=BB130_4 Depth=2
	s_or_b64 exec, exec, s[24:25]
	s_waitcnt lgkmcnt(0)
	v_add_u32_e32 v36, v81, v36
	ds_bpermute_b32 v36, v47, v36
	ds_read_b32 v82, v42 offset:16412
	s_add_i32 s24, s36, 4
	s_cmp_lt_u32 s36, 60
	s_mov_b32 s36, s24
	s_waitcnt lgkmcnt(1)
	v_cndmask_b32_e64 v36, v36, v81, s[6:7]
	s_waitcnt lgkmcnt(0)
	v_lshl_add_u32 v36, v82, 16, v36
	v_add_u32_e32 v37, v36, v37
	v_add_u32_e32 v38, v37, v38
	;; [unrolled: 1-line block ×7, first 2 shown]
	ds_write2_b64 v43, v[36:37], v[38:39] offset1:1
	ds_write2_b64 v43, v[81:82], v[33:34] offset0:2 offset1:3
	s_waitcnt lgkmcnt(0)
	s_barrier
	s_cbranch_scc0 .LBB130_1
.LBB130_4:                              ;   Parent Loop BB130_2 Depth=1
                                        ; =>  This Loop Header: Depth=2
                                        ;       Child Loop BB130_5 Depth 3
	s_mov_b64 s[30:31], 0
	v_mov_b32_e32 v33, v48
	v_mov_b32_e32 v34, v44
.LBB130_5:                              ;   Parent Loop BB130_2 Depth=1
                                        ;     Parent Loop BB130_4 Depth=2
                                        ; =>    This Inner Loop Header: Depth=3
	v_add_u32_e32 v33, 0x200, v33
	v_cmp_lt_u32_e64 s[24:25], s33, v33
	ds_write_b32 v34, v42
	s_or_b64 s[30:31], s[24:25], s[30:31]
	v_add_u32_e32 v34, 0x800, v34
	s_andn2_b64 exec, exec, s[30:31]
	s_cbranch_execnz .LBB130_5
; %bb.6:                                ;   in Loop: Header=BB130_4 Depth=2
	s_or_b64 exec, exec, s[30:31]
	s_sub_i32 s24, 60, s36
	v_lshlrev_b64 v[33:34], s24, v[1:2]
	v_lshrrev_b32_e32 v33, 19, v34
	v_lshrrev_b32_e32 v34, 30, v34
	v_and_or_b32 v33, v33, s34, v0
	v_and_b32_e32 v34, 2, v34
	v_lshl_or_b32 v50, v33, 2, v34
	ds_read_u16 v49, v50
	v_lshlrev_b64 v[33:34], s24, v[3:4]
	v_lshrrev_b32_e32 v33, 19, v34
	v_lshrrev_b32_e32 v34, 30, v34
	v_and_or_b32 v33, v33, s34, v0
	s_waitcnt lgkmcnt(0)
	v_add_u16_e32 v35, 1, v49
	v_and_b32_e32 v34, 2, v34
	ds_write_b16 v50, v35
	v_lshl_or_b32 v52, v33, 2, v34
	ds_read_u16 v51, v52
	v_lshlrev_b64 v[33:34], s24, v[5:6]
	s_waitcnt lgkmcnt(0)
	v_add_u16_e32 v33, 1, v51
	ds_write_b16 v52, v33
	v_lshrrev_b32_e32 v33, 19, v34
	v_lshrrev_b32_e32 v34, 30, v34
	v_and_or_b32 v33, v33, s34, v0
	v_and_b32_e32 v34, 2, v34
	v_lshl_or_b32 v55, v33, 2, v34
	ds_read_u16 v53, v55
	v_lshlrev_b64 v[33:34], s24, v[7:8]
	v_lshrrev_b32_e32 v33, 19, v34
	v_lshrrev_b32_e32 v34, 30, v34
	s_waitcnt lgkmcnt(0)
	v_add_u16_e32 v35, 1, v53
	v_and_or_b32 v33, v33, s34, v0
	v_and_b32_e32 v34, 2, v34
	ds_write_b16 v55, v35
	v_lshl_or_b32 v57, v33, 2, v34
	ds_read_u16 v54, v57
	v_lshlrev_b64 v[33:34], s24, v[9:10]
	v_lshrrev_b32_e32 v33, 19, v34
	v_lshrrev_b32_e32 v34, 30, v34
	s_waitcnt lgkmcnt(0)
	v_add_u16_e32 v35, 1, v54
	v_and_or_b32 v33, v33, s34, v0
	v_and_b32_e32 v34, 2, v34
	ds_write_b16 v57, v35
	;; [unrolled: 10-line block ×13, first 2 shown]
	v_lshl_or_b32 v80, v33, 2, v34
	ds_read_u16 v78, v80
	s_waitcnt lgkmcnt(0)
	v_add_u16_e32 v33, 1, v78
	ds_write_b16 v80, v33
	s_waitcnt lgkmcnt(0)
	s_barrier
	ds_read2_b64 v[37:40], v43 offset1:1
	ds_read2_b64 v[33:36], v43 offset0:2 offset1:3
	s_waitcnt lgkmcnt(1)
	v_add_u32_e32 v81, v38, v37
	v_add3_u32 v81, v81, v39, v40
	s_waitcnt lgkmcnt(0)
	v_add3_u32 v81, v81, v33, v34
	v_add3_u32 v36, v81, v35, v36
	s_nop 1
	v_mov_b32_dpp v81, v36 row_shr:1 row_mask:0xf bank_mask:0xf
	v_cndmask_b32_e64 v81, v81, 0, s[8:9]
	v_add_u32_e32 v36, v81, v36
	s_nop 1
	v_mov_b32_dpp v81, v36 row_shr:2 row_mask:0xf bank_mask:0xf
	v_cndmask_b32_e64 v81, 0, v81, s[10:11]
	v_add_u32_e32 v36, v36, v81
	;; [unrolled: 4-line block ×4, first 2 shown]
	s_nop 1
	v_mov_b32_dpp v81, v36 row_bcast:15 row_mask:0xf bank_mask:0xf
	v_cndmask_b32_e64 v81, v81, 0, s[16:17]
	v_add_u32_e32 v36, v36, v81
	s_nop 1
	v_mov_b32_dpp v81, v36 row_bcast:31 row_mask:0xf bank_mask:0xf
	v_cndmask_b32_e64 v81, 0, v81, s[4:5]
	v_add_u32_e32 v36, v36, v81
	s_and_saveexec_b64 s[24:25], s[2:3]
; %bb.7:                                ;   in Loop: Header=BB130_4 Depth=2
	ds_write_b32 v45, v36 offset:16384
; %bb.8:                                ;   in Loop: Header=BB130_4 Depth=2
	s_or_b64 exec, exec, s[24:25]
	s_waitcnt lgkmcnt(0)
	s_barrier
	s_and_saveexec_b64 s[24:25], vcc
	s_cbranch_execz .LBB130_10
; %bb.9:                                ;   in Loop: Header=BB130_4 Depth=2
	ds_read_b32 v81, v46 offset:16384
	s_waitcnt lgkmcnt(0)
	s_nop 0
	v_mov_b32_dpp v82, v81 row_shr:1 row_mask:0xf bank_mask:0xf
	v_cndmask_b32_e64 v82, v82, 0, s[18:19]
	v_add_u32_e32 v81, v82, v81
	s_nop 1
	v_mov_b32_dpp v82, v81 row_shr:2 row_mask:0xf bank_mask:0xf
	v_cndmask_b32_e64 v82, 0, v82, s[20:21]
	v_add_u32_e32 v81, v81, v82
	;; [unrolled: 4-line block ×3, first 2 shown]
	ds_write_b32 v46, v81 offset:16384
.LBB130_10:                             ;   in Loop: Header=BB130_4 Depth=2
	s_or_b64 exec, exec, s[24:25]
	v_mov_b32_e32 v81, 0
	s_waitcnt lgkmcnt(0)
	s_barrier
	s_and_saveexec_b64 s[24:25], s[0:1]
	s_cbranch_execz .LBB130_3
; %bb.11:                               ;   in Loop: Header=BB130_4 Depth=2
	ds_read_b32 v81, v45 offset:16380
	s_branch .LBB130_3
.LBB130_12:
	ds_read_u16 v7, v67
	ds_read_u16 v6, v63
	;; [unrolled: 1-line block ×16, first 2 shown]
	s_lshl_b64 s[0:1], s[28:29], 2
	s_add_u32 s0, s26, s0
	s_waitcnt lgkmcnt(8)
	v_add_u32_sdwa v0, v0, v49 dst_sel:DWORD dst_unused:UNUSED_PAD src0_sel:DWORD src1_sel:WORD_0
	v_add_u32_sdwa v1, v1, v51 dst_sel:DWORD dst_unused:UNUSED_PAD src0_sel:DWORD src1_sel:WORD_0
	;; [unrolled: 1-line block ×4, first 2 shown]
	s_addc_u32 s1, s27, s1
	v_lshlrev_b32_e32 v16, 2, v41
	v_add_u32_sdwa v4, v4, v56 dst_sel:DWORD dst_unused:UNUSED_PAD src0_sel:DWORD src1_sel:WORD_0
	v_add_u32_sdwa v5, v5, v58 dst_sel:DWORD dst_unused:UNUSED_PAD src0_sel:DWORD src1_sel:WORD_0
	;; [unrolled: 1-line block ×4, first 2 shown]
	s_waitcnt lgkmcnt(0)
	v_add_u32_sdwa v8, v8, v64 dst_sel:DWORD dst_unused:UNUSED_PAD src0_sel:DWORD src1_sel:WORD_0
	v_add_u32_sdwa v9, v9, v66 dst_sel:DWORD dst_unused:UNUSED_PAD src0_sel:DWORD src1_sel:WORD_0
	;; [unrolled: 1-line block ×8, first 2 shown]
	global_store_dwordx4 v16, v[0:3], s[0:1]
	global_store_dwordx4 v16, v[4:7], s[0:1] offset:16
	global_store_dwordx4 v16, v[8:11], s[0:1] offset:32
	;; [unrolled: 1-line block ×3, first 2 shown]
	s_endpgm
	.section	.rodata,"a",@progbits
	.p2align	6, 0x0
	.amdhsa_kernel _Z11rank_kernelIxLj4ELb0EL18RadixRankAlgorithm1ELj512ELj16ELj10EEvPKT_Pi
		.amdhsa_group_segment_fixed_size 16416
		.amdhsa_private_segment_fixed_size 0
		.amdhsa_kernarg_size 16
		.amdhsa_user_sgpr_count 6
		.amdhsa_user_sgpr_private_segment_buffer 1
		.amdhsa_user_sgpr_dispatch_ptr 0
		.amdhsa_user_sgpr_queue_ptr 0
		.amdhsa_user_sgpr_kernarg_segment_ptr 1
		.amdhsa_user_sgpr_dispatch_id 0
		.amdhsa_user_sgpr_flat_scratch_init 0
		.amdhsa_user_sgpr_private_segment_size 0
		.amdhsa_uses_dynamic_stack 0
		.amdhsa_system_sgpr_private_segment_wavefront_offset 0
		.amdhsa_system_sgpr_workgroup_id_x 1
		.amdhsa_system_sgpr_workgroup_id_y 0
		.amdhsa_system_sgpr_workgroup_id_z 0
		.amdhsa_system_sgpr_workgroup_info 0
		.amdhsa_system_vgpr_workitem_id 0
		.amdhsa_next_free_vgpr 83
		.amdhsa_next_free_sgpr 93
		.amdhsa_reserve_vcc 1
		.amdhsa_reserve_flat_scratch 0
		.amdhsa_float_round_mode_32 0
		.amdhsa_float_round_mode_16_64 0
		.amdhsa_float_denorm_mode_32 3
		.amdhsa_float_denorm_mode_16_64 3
		.amdhsa_dx10_clamp 1
		.amdhsa_ieee_mode 1
		.amdhsa_fp16_overflow 0
		.amdhsa_exception_fp_ieee_invalid_op 0
		.amdhsa_exception_fp_denorm_src 0
		.amdhsa_exception_fp_ieee_div_zero 0
		.amdhsa_exception_fp_ieee_overflow 0
		.amdhsa_exception_fp_ieee_underflow 0
		.amdhsa_exception_fp_ieee_inexact 0
		.amdhsa_exception_int_div_zero 0
	.end_amdhsa_kernel
	.section	.text._Z11rank_kernelIxLj4ELb0EL18RadixRankAlgorithm1ELj512ELj16ELj10EEvPKT_Pi,"axG",@progbits,_Z11rank_kernelIxLj4ELb0EL18RadixRankAlgorithm1ELj512ELj16ELj10EEvPKT_Pi,comdat
.Lfunc_end130:
	.size	_Z11rank_kernelIxLj4ELb0EL18RadixRankAlgorithm1ELj512ELj16ELj10EEvPKT_Pi, .Lfunc_end130-_Z11rank_kernelIxLj4ELb0EL18RadixRankAlgorithm1ELj512ELj16ELj10EEvPKT_Pi
                                        ; -- End function
	.set _Z11rank_kernelIxLj4ELb0EL18RadixRankAlgorithm1ELj512ELj16ELj10EEvPKT_Pi.num_vgpr, 83
	.set _Z11rank_kernelIxLj4ELb0EL18RadixRankAlgorithm1ELj512ELj16ELj10EEvPKT_Pi.num_agpr, 0
	.set _Z11rank_kernelIxLj4ELb0EL18RadixRankAlgorithm1ELj512ELj16ELj10EEvPKT_Pi.numbered_sgpr, 37
	.set _Z11rank_kernelIxLj4ELb0EL18RadixRankAlgorithm1ELj512ELj16ELj10EEvPKT_Pi.num_named_barrier, 0
	.set _Z11rank_kernelIxLj4ELb0EL18RadixRankAlgorithm1ELj512ELj16ELj10EEvPKT_Pi.private_seg_size, 0
	.set _Z11rank_kernelIxLj4ELb0EL18RadixRankAlgorithm1ELj512ELj16ELj10EEvPKT_Pi.uses_vcc, 1
	.set _Z11rank_kernelIxLj4ELb0EL18RadixRankAlgorithm1ELj512ELj16ELj10EEvPKT_Pi.uses_flat_scratch, 0
	.set _Z11rank_kernelIxLj4ELb0EL18RadixRankAlgorithm1ELj512ELj16ELj10EEvPKT_Pi.has_dyn_sized_stack, 0
	.set _Z11rank_kernelIxLj4ELb0EL18RadixRankAlgorithm1ELj512ELj16ELj10EEvPKT_Pi.has_recursion, 0
	.set _Z11rank_kernelIxLj4ELb0EL18RadixRankAlgorithm1ELj512ELj16ELj10EEvPKT_Pi.has_indirect_call, 0
	.section	.AMDGPU.csdata,"",@progbits
; Kernel info:
; codeLenInByte = 2320
; TotalNumSgprs: 41
; NumVgprs: 83
; ScratchSize: 0
; MemoryBound: 0
; FloatMode: 240
; IeeeMode: 1
; LDSByteSize: 16416 bytes/workgroup (compile time only)
; SGPRBlocks: 12
; VGPRBlocks: 20
; NumSGPRsForWavesPerEU: 97
; NumVGPRsForWavesPerEU: 83
; Occupancy: 3
; WaveLimiterHint : 0
; COMPUTE_PGM_RSRC2:SCRATCH_EN: 0
; COMPUTE_PGM_RSRC2:USER_SGPR: 6
; COMPUTE_PGM_RSRC2:TRAP_HANDLER: 0
; COMPUTE_PGM_RSRC2:TGID_X_EN: 1
; COMPUTE_PGM_RSRC2:TGID_Y_EN: 0
; COMPUTE_PGM_RSRC2:TGID_Z_EN: 0
; COMPUTE_PGM_RSRC2:TIDIG_COMP_CNT: 0
	.section	.text._Z11rank_kernelIxLj4ELb0EL18RadixRankAlgorithm2ELj512ELj16ELj10EEvPKT_Pi,"axG",@progbits,_Z11rank_kernelIxLj4ELb0EL18RadixRankAlgorithm2ELj512ELj16ELj10EEvPKT_Pi,comdat
	.protected	_Z11rank_kernelIxLj4ELb0EL18RadixRankAlgorithm2ELj512ELj16ELj10EEvPKT_Pi ; -- Begin function _Z11rank_kernelIxLj4ELb0EL18RadixRankAlgorithm2ELj512ELj16ELj10EEvPKT_Pi
	.globl	_Z11rank_kernelIxLj4ELb0EL18RadixRankAlgorithm2ELj512ELj16ELj10EEvPKT_Pi
	.p2align	8
	.type	_Z11rank_kernelIxLj4ELb0EL18RadixRankAlgorithm2ELj512ELj16ELj10EEvPKT_Pi,@function
_Z11rank_kernelIxLj4ELb0EL18RadixRankAlgorithm2ELj512ELj16ELj10EEvPKT_Pi: ; @_Z11rank_kernelIxLj4ELb0EL18RadixRankAlgorithm2ELj512ELj16ELj10EEvPKT_Pi
; %bb.0:
	s_load_dwordx4 s[28:31], s[4:5], 0x0
	s_load_dword s22, s[4:5], 0x1c
	s_lshl_b32 s34, s6, 13
	s_mov_b32 s35, 0
	s_lshl_b64 s[0:1], s[34:35], 3
	s_waitcnt lgkmcnt(0)
	s_add_u32 s0, s28, s0
	s_addc_u32 s1, s29, s1
	v_lshlrev_b32_e32 v35, 7, v0
	global_load_dwordx4 v[3:6], v35, s[0:1]
	global_load_dwordx4 v[7:10], v35, s[0:1] offset:16
	global_load_dwordx4 v[11:14], v35, s[0:1] offset:32
	;; [unrolled: 1-line block ×7, first 2 shown]
	s_lshr_b32 s23, s22, 16
	v_or_b32_e32 v38, 63, v0
	s_and_b32 s22, s22, 0xffff
	v_mad_u32_u24 v1, v2, s23, v1
	v_mbcnt_lo_u32_b32 v36, -1, 0
	v_lshlrev_b32_e32 v35, 4, v0
	v_lshlrev_b32_e32 v37, 2, v0
	v_cmp_gt_u32_e32 vcc, 8, v0
	v_cmp_lt_u32_e64 s[0:1], 63, v0
	v_lshrrev_b32_e32 v39, 4, v0
	v_cmp_eq_u32_e64 s[2:3], v0, v38
	v_mad_u64_u32 v[0:1], s[22:23], v1, s22, v[0:1]
	v_mbcnt_hi_u32_b32 v36, -1, v36
	v_subrev_co_u32_e64 v42, s[4:5], 1, v36
	v_and_b32_e32 v43, 64, v36
	v_cmp_lt_i32_e64 s[18:19], v42, v43
	v_and_b32_e32 v40, 15, v36
	v_and_b32_e32 v41, 16, v36
	v_cmp_lt_u32_e64 s[6:7], 31, v36
	v_and_b32_e32 v38, 28, v39
	v_and_b32_e32 v39, 7, v36
	v_cndmask_b32_e64 v36, v42, v36, s[18:19]
	v_lshrrev_b32_e32 v0, 4, v0
	s_mov_b32 s33, s35
	v_cmp_eq_u32_e64 s[8:9], 0, v40
	v_cmp_lt_u32_e64 s[10:11], 1, v40
	v_cmp_lt_u32_e64 s[12:13], 3, v40
	;; [unrolled: 1-line block ×3, first 2 shown]
	v_cmp_eq_u32_e64 s[16:17], 0, v41
	v_cmp_eq_u32_e64 s[18:19], 0, v39
	v_cmp_lt_u32_e64 s[20:21], 1, v39
	v_cmp_lt_u32_e64 s[22:23], 3, v39
	v_add_u32_e32 v40, -4, v38
	v_lshlrev_b32_e32 v41, 2, v36
	v_and_b32_e32 v36, 0xffffffc, v0
	v_mov_b32_e32 v0, 0
	s_waitcnt vmcnt(7)
	v_xor_b32_e32 v4, 0x80000000, v4
	v_xor_b32_e32 v6, 0x80000000, v6
	s_waitcnt vmcnt(6)
	v_xor_b32_e32 v8, 0x80000000, v8
	v_xor_b32_e32 v10, 0x80000000, v10
	;; [unrolled: 3-line block ×8, first 2 shown]
	s_branch .LBB131_2
.LBB131_1:                              ;   in Loop: Header=BB131_2 Depth=1
	s_add_i32 s33, s33, 1
	s_cmp_eq_u32 s33, 10
	s_cbranch_scc1 .LBB131_42
.LBB131_2:                              ; =>This Loop Header: Depth=1
                                        ;     Child Loop BB131_4 Depth 2
	s_mov_b64 s[28:29], 60
	s_mov_b32 s36, -4
	s_branch .LBB131_4
.LBB131_3:                              ;   in Loop: Header=BB131_4 Depth=2
	s_or_b64 exec, exec, s[24:25]
	s_waitcnt lgkmcnt(0)
	v_add_u32_e32 v1, v2, v1
	ds_bpermute_b32 v1, v41, v1
	s_add_i32 s36, s36, 4
	s_add_u32 s28, s28, -4
	s_addc_u32 s29, s29, -1
	s_cmp_lt_u32 s36, 60
	s_waitcnt lgkmcnt(0)
	v_cndmask_b32_e64 v1, v1, v2, s[4:5]
	ds_write_b32 v37, v1 offset:32
	s_waitcnt lgkmcnt(0)
	s_barrier
	s_cbranch_scc0 .LBB131_1
.LBB131_4:                              ;   Parent Loop BB131_2 Depth=1
                                        ; =>  This Inner Loop Header: Depth=2
	v_lshlrev_b64 v[42:43], s28, v[3:4]
	ds_write_b32 v37, v0 offset:32
	v_bfe_u32 v1, v43, 28, 1
	v_add_co_u32_e64 v44, s[24:25], -1, v1
	v_addc_co_u32_e64 v45, s[24:25], 0, -1, s[24:25]
	v_cmp_ne_u32_e64 s[24:25], 0, v1
	v_lshrrev_b32_e32 v2, 28, v43
	v_xor_b32_e32 v1, s25, v45
	v_and_b32_e32 v45, exec_hi, v1
	v_lshlrev_b32_e32 v1, 30, v2
	v_xor_b32_e32 v44, s24, v44
	v_cmp_gt_i64_e64 s[24:25], 0, v[0:1]
	v_not_b32_e32 v1, v1
	v_ashrrev_i32_e32 v1, 31, v1
	v_and_b32_e32 v44, exec_lo, v44
	v_xor_b32_e32 v46, s25, v1
	v_xor_b32_e32 v1, s24, v1
	v_and_b32_e32 v44, v44, v1
	v_lshlrev_b32_e32 v1, 29, v2
	v_cmp_gt_i64_e64 s[24:25], 0, v[0:1]
	v_not_b32_e32 v1, v1
	v_ashrrev_i32_e32 v1, 31, v1
	v_mul_u32_u24_e32 v39, 36, v2
	v_xor_b32_e32 v2, s25, v1
	v_xor_b32_e32 v1, s24, v1
	v_cmp_gt_i64_e64 s[24:25], 0, v[42:43]
	v_not_b32_e32 v42, v43
	v_ashrrev_i32_e32 v42, 31, v42
	v_and_b32_e32 v45, v45, v46
	v_and_b32_e32 v1, v44, v1
	v_xor_b32_e32 v43, s25, v42
	v_xor_b32_e32 v42, s24, v42
	v_and_b32_e32 v2, v45, v2
	v_and_b32_e32 v1, v1, v42
	;; [unrolled: 1-line block ×3, first 2 shown]
	v_mbcnt_lo_u32_b32 v42, v1, 0
	v_mbcnt_hi_u32_b32 v42, v2, v42
	v_cmp_ne_u64_e64 s[24:25], 0, v[1:2]
	v_cmp_eq_u32_e64 s[26:27], 0, v42
	s_and_b64 s[26:27], s[24:25], s[26:27]
	s_waitcnt lgkmcnt(0)
	s_barrier
	; wave barrier
	s_and_saveexec_b64 s[24:25], s[26:27]
; %bb.5:                                ;   in Loop: Header=BB131_4 Depth=2
	v_bcnt_u32_b32 v1, v1, 0
	v_bcnt_u32_b32 v1, v2, v1
	v_add_u32_e32 v2, v36, v39
	ds_write_b32 v2, v1 offset:32
; %bb.6:                                ;   in Loop: Header=BB131_4 Depth=2
	s_or_b64 exec, exec, s[24:25]
	v_lshlrev_b64 v[45:46], s28, v[5:6]
	v_lshrrev_b32_e32 v2, 28, v46
	v_mad_u32_u24 v1, v2, 36, v36
	; wave barrier
	ds_read_b32 v43, v1 offset:32
	v_bfe_u32 v1, v46, 28, 1
	v_add_co_u32_e64 v47, s[24:25], -1, v1
	v_addc_co_u32_e64 v48, s[24:25], 0, -1, s[24:25]
	v_cmp_ne_u32_e64 s[24:25], 0, v1
	v_xor_b32_e32 v1, s25, v48
	v_and_b32_e32 v48, exec_hi, v1
	v_lshlrev_b32_e32 v1, 30, v2
	v_xor_b32_e32 v47, s24, v47
	v_cmp_gt_i64_e64 s[24:25], 0, v[0:1]
	v_not_b32_e32 v1, v1
	v_ashrrev_i32_e32 v1, 31, v1
	v_and_b32_e32 v47, exec_lo, v47
	v_xor_b32_e32 v49, s25, v1
	v_xor_b32_e32 v1, s24, v1
	v_and_b32_e32 v47, v47, v1
	v_lshlrev_b32_e32 v1, 29, v2
	v_cmp_gt_i64_e64 s[24:25], 0, v[0:1]
	v_not_b32_e32 v1, v1
	v_ashrrev_i32_e32 v1, 31, v1
	v_mul_u32_u24_e32 v44, 36, v2
	v_xor_b32_e32 v2, s25, v1
	v_xor_b32_e32 v1, s24, v1
	v_cmp_gt_i64_e64 s[24:25], 0, v[45:46]
	v_not_b32_e32 v45, v46
	v_ashrrev_i32_e32 v45, 31, v45
	v_and_b32_e32 v48, v48, v49
	v_and_b32_e32 v1, v47, v1
	v_xor_b32_e32 v46, s25, v45
	v_xor_b32_e32 v45, s24, v45
	v_and_b32_e32 v2, v48, v2
	v_and_b32_e32 v1, v1, v45
	;; [unrolled: 1-line block ×3, first 2 shown]
	v_mbcnt_lo_u32_b32 v45, v1, 0
	v_mbcnt_hi_u32_b32 v45, v2, v45
	v_cmp_ne_u64_e64 s[24:25], 0, v[1:2]
	v_cmp_eq_u32_e64 s[26:27], 0, v45
	s_and_b64 s[26:27], s[24:25], s[26:27]
	; wave barrier
	s_and_saveexec_b64 s[24:25], s[26:27]
	s_cbranch_execz .LBB131_8
; %bb.7:                                ;   in Loop: Header=BB131_4 Depth=2
	v_bcnt_u32_b32 v1, v1, 0
	v_bcnt_u32_b32 v1, v2, v1
	s_waitcnt lgkmcnt(0)
	v_add_u32_e32 v1, v43, v1
	v_add_u32_e32 v2, v36, v44
	ds_write_b32 v2, v1 offset:32
.LBB131_8:                              ;   in Loop: Header=BB131_4 Depth=2
	s_or_b64 exec, exec, s[24:25]
	v_lshlrev_b64 v[48:49], s28, v[7:8]
	v_lshrrev_b32_e32 v2, 28, v49
	v_mad_u32_u24 v1, v2, 36, v36
	; wave barrier
	ds_read_b32 v46, v1 offset:32
	v_bfe_u32 v1, v49, 28, 1
	v_add_co_u32_e64 v50, s[24:25], -1, v1
	v_addc_co_u32_e64 v51, s[24:25], 0, -1, s[24:25]
	v_cmp_ne_u32_e64 s[24:25], 0, v1
	v_xor_b32_e32 v1, s25, v51
	v_and_b32_e32 v51, exec_hi, v1
	v_lshlrev_b32_e32 v1, 30, v2
	v_xor_b32_e32 v50, s24, v50
	v_cmp_gt_i64_e64 s[24:25], 0, v[0:1]
	v_not_b32_e32 v1, v1
	v_ashrrev_i32_e32 v1, 31, v1
	v_and_b32_e32 v50, exec_lo, v50
	v_xor_b32_e32 v52, s25, v1
	v_xor_b32_e32 v1, s24, v1
	v_and_b32_e32 v50, v50, v1
	v_lshlrev_b32_e32 v1, 29, v2
	v_cmp_gt_i64_e64 s[24:25], 0, v[0:1]
	v_not_b32_e32 v1, v1
	v_ashrrev_i32_e32 v1, 31, v1
	v_mul_u32_u24_e32 v47, 36, v2
	v_xor_b32_e32 v2, s25, v1
	v_xor_b32_e32 v1, s24, v1
	v_cmp_gt_i64_e64 s[24:25], 0, v[48:49]
	v_not_b32_e32 v48, v49
	v_ashrrev_i32_e32 v48, 31, v48
	v_and_b32_e32 v51, v51, v52
	v_and_b32_e32 v1, v50, v1
	v_xor_b32_e32 v49, s25, v48
	v_xor_b32_e32 v48, s24, v48
	v_and_b32_e32 v2, v51, v2
	v_and_b32_e32 v1, v1, v48
	;; [unrolled: 1-line block ×3, first 2 shown]
	v_mbcnt_lo_u32_b32 v48, v1, 0
	v_mbcnt_hi_u32_b32 v48, v2, v48
	v_cmp_ne_u64_e64 s[24:25], 0, v[1:2]
	v_cmp_eq_u32_e64 s[26:27], 0, v48
	s_and_b64 s[26:27], s[24:25], s[26:27]
	; wave barrier
	s_and_saveexec_b64 s[24:25], s[26:27]
	s_cbranch_execz .LBB131_10
; %bb.9:                                ;   in Loop: Header=BB131_4 Depth=2
	v_bcnt_u32_b32 v1, v1, 0
	v_bcnt_u32_b32 v1, v2, v1
	s_waitcnt lgkmcnt(0)
	v_add_u32_e32 v1, v46, v1
	v_add_u32_e32 v2, v36, v47
	ds_write_b32 v2, v1 offset:32
.LBB131_10:                             ;   in Loop: Header=BB131_4 Depth=2
	s_or_b64 exec, exec, s[24:25]
	v_lshlrev_b64 v[51:52], s28, v[9:10]
	v_lshrrev_b32_e32 v2, 28, v52
	v_mad_u32_u24 v1, v2, 36, v36
	; wave barrier
	ds_read_b32 v49, v1 offset:32
	v_bfe_u32 v1, v52, 28, 1
	v_add_co_u32_e64 v53, s[24:25], -1, v1
	v_addc_co_u32_e64 v54, s[24:25], 0, -1, s[24:25]
	v_cmp_ne_u32_e64 s[24:25], 0, v1
	v_xor_b32_e32 v1, s25, v54
	v_and_b32_e32 v54, exec_hi, v1
	v_lshlrev_b32_e32 v1, 30, v2
	v_xor_b32_e32 v53, s24, v53
	v_cmp_gt_i64_e64 s[24:25], 0, v[0:1]
	v_not_b32_e32 v1, v1
	v_ashrrev_i32_e32 v1, 31, v1
	v_and_b32_e32 v53, exec_lo, v53
	v_xor_b32_e32 v55, s25, v1
	v_xor_b32_e32 v1, s24, v1
	v_and_b32_e32 v53, v53, v1
	v_lshlrev_b32_e32 v1, 29, v2
	v_cmp_gt_i64_e64 s[24:25], 0, v[0:1]
	v_not_b32_e32 v1, v1
	v_ashrrev_i32_e32 v1, 31, v1
	v_mul_u32_u24_e32 v50, 36, v2
	v_xor_b32_e32 v2, s25, v1
	v_xor_b32_e32 v1, s24, v1
	v_cmp_gt_i64_e64 s[24:25], 0, v[51:52]
	v_not_b32_e32 v51, v52
	v_ashrrev_i32_e32 v51, 31, v51
	v_and_b32_e32 v54, v54, v55
	v_and_b32_e32 v1, v53, v1
	v_xor_b32_e32 v52, s25, v51
	v_xor_b32_e32 v51, s24, v51
	v_and_b32_e32 v2, v54, v2
	v_and_b32_e32 v1, v1, v51
	v_and_b32_e32 v2, v2, v52
	v_mbcnt_lo_u32_b32 v51, v1, 0
	v_mbcnt_hi_u32_b32 v51, v2, v51
	v_cmp_ne_u64_e64 s[24:25], 0, v[1:2]
	v_cmp_eq_u32_e64 s[26:27], 0, v51
	s_and_b64 s[26:27], s[24:25], s[26:27]
	; wave barrier
	s_and_saveexec_b64 s[24:25], s[26:27]
	s_cbranch_execz .LBB131_12
; %bb.11:                               ;   in Loop: Header=BB131_4 Depth=2
	v_bcnt_u32_b32 v1, v1, 0
	v_bcnt_u32_b32 v1, v2, v1
	s_waitcnt lgkmcnt(0)
	v_add_u32_e32 v1, v49, v1
	v_add_u32_e32 v2, v36, v50
	ds_write_b32 v2, v1 offset:32
.LBB131_12:                             ;   in Loop: Header=BB131_4 Depth=2
	s_or_b64 exec, exec, s[24:25]
	v_lshlrev_b64 v[54:55], s28, v[11:12]
	v_lshrrev_b32_e32 v2, 28, v55
	v_mad_u32_u24 v1, v2, 36, v36
	; wave barrier
	ds_read_b32 v52, v1 offset:32
	v_bfe_u32 v1, v55, 28, 1
	v_add_co_u32_e64 v56, s[24:25], -1, v1
	v_addc_co_u32_e64 v57, s[24:25], 0, -1, s[24:25]
	v_cmp_ne_u32_e64 s[24:25], 0, v1
	v_xor_b32_e32 v1, s25, v57
	v_and_b32_e32 v57, exec_hi, v1
	v_lshlrev_b32_e32 v1, 30, v2
	v_xor_b32_e32 v56, s24, v56
	v_cmp_gt_i64_e64 s[24:25], 0, v[0:1]
	v_not_b32_e32 v1, v1
	v_ashrrev_i32_e32 v1, 31, v1
	v_and_b32_e32 v56, exec_lo, v56
	v_xor_b32_e32 v58, s25, v1
	v_xor_b32_e32 v1, s24, v1
	v_and_b32_e32 v56, v56, v1
	v_lshlrev_b32_e32 v1, 29, v2
	v_cmp_gt_i64_e64 s[24:25], 0, v[0:1]
	v_not_b32_e32 v1, v1
	v_ashrrev_i32_e32 v1, 31, v1
	v_mul_u32_u24_e32 v53, 36, v2
	v_xor_b32_e32 v2, s25, v1
	v_xor_b32_e32 v1, s24, v1
	v_cmp_gt_i64_e64 s[24:25], 0, v[54:55]
	v_not_b32_e32 v54, v55
	v_ashrrev_i32_e32 v54, 31, v54
	v_and_b32_e32 v57, v57, v58
	v_and_b32_e32 v1, v56, v1
	v_xor_b32_e32 v55, s25, v54
	v_xor_b32_e32 v54, s24, v54
	v_and_b32_e32 v2, v57, v2
	v_and_b32_e32 v1, v1, v54
	v_and_b32_e32 v2, v2, v55
	v_mbcnt_lo_u32_b32 v54, v1, 0
	v_mbcnt_hi_u32_b32 v54, v2, v54
	v_cmp_ne_u64_e64 s[24:25], 0, v[1:2]
	v_cmp_eq_u32_e64 s[26:27], 0, v54
	s_and_b64 s[26:27], s[24:25], s[26:27]
	; wave barrier
	s_and_saveexec_b64 s[24:25], s[26:27]
	s_cbranch_execz .LBB131_14
; %bb.13:                               ;   in Loop: Header=BB131_4 Depth=2
	v_bcnt_u32_b32 v1, v1, 0
	v_bcnt_u32_b32 v1, v2, v1
	s_waitcnt lgkmcnt(0)
	v_add_u32_e32 v1, v52, v1
	v_add_u32_e32 v2, v36, v53
	ds_write_b32 v2, v1 offset:32
.LBB131_14:                             ;   in Loop: Header=BB131_4 Depth=2
	;; [unrolled: 54-line block ×5, first 2 shown]
	s_or_b64 exec, exec, s[24:25]
	v_lshlrev_b64 v[67:68], s28, v[19:20]
	v_lshrrev_b32_e32 v2, 28, v68
	v_mad_u32_u24 v1, v2, 36, v36
	; wave barrier
	ds_read_b32 v64, v1 offset:32
	v_bfe_u32 v1, v68, 28, 1
	v_add_co_u32_e64 v65, s[24:25], -1, v1
	v_addc_co_u32_e64 v69, s[24:25], 0, -1, s[24:25]
	v_cmp_ne_u32_e64 s[24:25], 0, v1
	v_xor_b32_e32 v1, s25, v69
	v_and_b32_e32 v69, exec_hi, v1
	v_lshlrev_b32_e32 v1, 30, v2
	v_xor_b32_e32 v65, s24, v65
	v_cmp_gt_i64_e64 s[24:25], 0, v[0:1]
	v_not_b32_e32 v1, v1
	v_ashrrev_i32_e32 v1, 31, v1
	v_and_b32_e32 v65, exec_lo, v65
	v_xor_b32_e32 v70, s25, v1
	v_xor_b32_e32 v1, s24, v1
	v_and_b32_e32 v65, v65, v1
	v_lshlrev_b32_e32 v1, 29, v2
	v_cmp_gt_i64_e64 s[24:25], 0, v[0:1]
	v_not_b32_e32 v1, v1
	v_ashrrev_i32_e32 v1, 31, v1
	v_mul_u32_u24_e32 v66, 36, v2
	v_xor_b32_e32 v2, s25, v1
	v_xor_b32_e32 v1, s24, v1
	v_and_b32_e32 v1, v65, v1
	v_cmp_gt_i64_e64 s[24:25], 0, v[67:68]
	v_not_b32_e32 v65, v68
	v_ashrrev_i32_e32 v65, 31, v65
	v_and_b32_e32 v69, v69, v70
	v_xor_b32_e32 v67, s25, v65
	v_xor_b32_e32 v65, s24, v65
	v_and_b32_e32 v2, v69, v2
	v_and_b32_e32 v1, v1, v65
	v_and_b32_e32 v2, v2, v67
	v_mbcnt_lo_u32_b32 v65, v1, 0
	v_mbcnt_hi_u32_b32 v65, v2, v65
	v_cmp_ne_u64_e64 s[24:25], 0, v[1:2]
	v_cmp_eq_u32_e64 s[26:27], 0, v65
	s_and_b64 s[26:27], s[24:25], s[26:27]
	; wave barrier
	s_and_saveexec_b64 s[24:25], s[26:27]
	s_cbranch_execz .LBB131_22
; %bb.21:                               ;   in Loop: Header=BB131_4 Depth=2
	v_bcnt_u32_b32 v1, v1, 0
	v_bcnt_u32_b32 v1, v2, v1
	s_waitcnt lgkmcnt(0)
	v_add_u32_e32 v1, v64, v1
	v_add_u32_e32 v2, v36, v66
	ds_write_b32 v2, v1 offset:32
.LBB131_22:                             ;   in Loop: Header=BB131_4 Depth=2
	s_or_b64 exec, exec, s[24:25]
	v_lshlrev_b64 v[69:70], s28, v[21:22]
	v_lshrrev_b32_e32 v2, 28, v70
	v_mad_u32_u24 v1, v2, 36, v36
	; wave barrier
	ds_read_b32 v67, v1 offset:32
	v_bfe_u32 v1, v70, 28, 1
	v_add_co_u32_e64 v71, s[24:25], -1, v1
	v_addc_co_u32_e64 v72, s[24:25], 0, -1, s[24:25]
	v_cmp_ne_u32_e64 s[24:25], 0, v1
	v_xor_b32_e32 v1, s25, v72
	v_and_b32_e32 v72, exec_hi, v1
	v_lshlrev_b32_e32 v1, 30, v2
	v_xor_b32_e32 v71, s24, v71
	v_cmp_gt_i64_e64 s[24:25], 0, v[0:1]
	v_not_b32_e32 v1, v1
	v_ashrrev_i32_e32 v1, 31, v1
	v_and_b32_e32 v71, exec_lo, v71
	v_xor_b32_e32 v73, s25, v1
	v_xor_b32_e32 v1, s24, v1
	v_and_b32_e32 v71, v71, v1
	v_lshlrev_b32_e32 v1, 29, v2
	v_cmp_gt_i64_e64 s[24:25], 0, v[0:1]
	v_not_b32_e32 v1, v1
	v_ashrrev_i32_e32 v1, 31, v1
	v_mul_u32_u24_e32 v68, 36, v2
	v_xor_b32_e32 v2, s25, v1
	v_xor_b32_e32 v1, s24, v1
	v_cmp_gt_i64_e64 s[24:25], 0, v[69:70]
	v_not_b32_e32 v69, v70
	v_ashrrev_i32_e32 v69, 31, v69
	v_and_b32_e32 v72, v72, v73
	v_and_b32_e32 v1, v71, v1
	v_xor_b32_e32 v70, s25, v69
	v_xor_b32_e32 v69, s24, v69
	v_and_b32_e32 v2, v72, v2
	v_and_b32_e32 v1, v1, v69
	v_and_b32_e32 v2, v2, v70
	v_mbcnt_lo_u32_b32 v69, v1, 0
	v_mbcnt_hi_u32_b32 v69, v2, v69
	v_cmp_ne_u64_e64 s[24:25], 0, v[1:2]
	v_cmp_eq_u32_e64 s[26:27], 0, v69
	s_and_b64 s[26:27], s[24:25], s[26:27]
	; wave barrier
	s_and_saveexec_b64 s[24:25], s[26:27]
	s_cbranch_execz .LBB131_24
; %bb.23:                               ;   in Loop: Header=BB131_4 Depth=2
	v_bcnt_u32_b32 v1, v1, 0
	v_bcnt_u32_b32 v1, v2, v1
	s_waitcnt lgkmcnt(0)
	v_add_u32_e32 v1, v67, v1
	v_add_u32_e32 v2, v36, v68
	ds_write_b32 v2, v1 offset:32
.LBB131_24:                             ;   in Loop: Header=BB131_4 Depth=2
	s_or_b64 exec, exec, s[24:25]
	v_lshlrev_b64 v[72:73], s28, v[23:24]
	v_lshrrev_b32_e32 v2, 28, v73
	v_mad_u32_u24 v1, v2, 36, v36
	; wave barrier
	ds_read_b32 v70, v1 offset:32
	v_bfe_u32 v1, v73, 28, 1
	v_add_co_u32_e64 v74, s[24:25], -1, v1
	v_addc_co_u32_e64 v75, s[24:25], 0, -1, s[24:25]
	v_cmp_ne_u32_e64 s[24:25], 0, v1
	v_xor_b32_e32 v1, s25, v75
	v_and_b32_e32 v75, exec_hi, v1
	v_lshlrev_b32_e32 v1, 30, v2
	v_xor_b32_e32 v74, s24, v74
	v_cmp_gt_i64_e64 s[24:25], 0, v[0:1]
	v_not_b32_e32 v1, v1
	v_ashrrev_i32_e32 v1, 31, v1
	v_and_b32_e32 v74, exec_lo, v74
	v_xor_b32_e32 v76, s25, v1
	v_xor_b32_e32 v1, s24, v1
	v_and_b32_e32 v74, v74, v1
	v_lshlrev_b32_e32 v1, 29, v2
	v_cmp_gt_i64_e64 s[24:25], 0, v[0:1]
	v_not_b32_e32 v1, v1
	v_ashrrev_i32_e32 v1, 31, v1
	v_mul_u32_u24_e32 v71, 36, v2
	v_xor_b32_e32 v2, s25, v1
	v_xor_b32_e32 v1, s24, v1
	v_cmp_gt_i64_e64 s[24:25], 0, v[72:73]
	v_not_b32_e32 v72, v73
	v_ashrrev_i32_e32 v72, 31, v72
	v_and_b32_e32 v75, v75, v76
	;; [unrolled: 54-line block ×7, first 2 shown]
	v_and_b32_e32 v1, v89, v1
	v_xor_b32_e32 v88, s25, v87
	v_xor_b32_e32 v87, s24, v87
	v_and_b32_e32 v2, v90, v2
	v_and_b32_e32 v1, v1, v87
	;; [unrolled: 1-line block ×3, first 2 shown]
	v_mbcnt_lo_u32_b32 v87, v1, 0
	v_mbcnt_hi_u32_b32 v87, v2, v87
	v_cmp_ne_u64_e64 s[24:25], 0, v[1:2]
	v_cmp_eq_u32_e64 s[26:27], 0, v87
	s_and_b64 s[26:27], s[24:25], s[26:27]
	; wave barrier
	s_and_saveexec_b64 s[24:25], s[26:27]
	s_cbranch_execz .LBB131_36
; %bb.35:                               ;   in Loop: Header=BB131_4 Depth=2
	v_bcnt_u32_b32 v1, v1, 0
	v_bcnt_u32_b32 v1, v2, v1
	s_waitcnt lgkmcnt(0)
	v_add_u32_e32 v1, v85, v1
	v_add_u32_e32 v2, v36, v86
	ds_write_b32 v2, v1 offset:32
.LBB131_36:                             ;   in Loop: Header=BB131_4 Depth=2
	s_or_b64 exec, exec, s[24:25]
	; wave barrier
	s_waitcnt lgkmcnt(0)
	s_barrier
	ds_read_b32 v1, v37 offset:32
	s_waitcnt lgkmcnt(0)
	s_nop 0
	v_mov_b32_dpp v2, v1 row_shr:1 row_mask:0xf bank_mask:0xf
	v_cndmask_b32_e64 v2, v2, 0, s[8:9]
	v_add_u32_e32 v1, v2, v1
	s_nop 1
	v_mov_b32_dpp v2, v1 row_shr:2 row_mask:0xf bank_mask:0xf
	v_cndmask_b32_e64 v2, 0, v2, s[10:11]
	v_add_u32_e32 v1, v1, v2
	;; [unrolled: 4-line block ×4, first 2 shown]
	s_nop 1
	v_mov_b32_dpp v2, v1 row_bcast:15 row_mask:0xf bank_mask:0xf
	v_cndmask_b32_e64 v2, v2, 0, s[16:17]
	v_add_u32_e32 v1, v1, v2
	s_nop 1
	v_mov_b32_dpp v2, v1 row_bcast:31 row_mask:0xf bank_mask:0xf
	v_cndmask_b32_e64 v2, 0, v2, s[6:7]
	v_add_u32_e32 v1, v1, v2
	s_and_saveexec_b64 s[24:25], s[2:3]
; %bb.37:                               ;   in Loop: Header=BB131_4 Depth=2
	ds_write_b32 v38, v1
; %bb.38:                               ;   in Loop: Header=BB131_4 Depth=2
	s_or_b64 exec, exec, s[24:25]
	s_waitcnt lgkmcnt(0)
	s_barrier
	s_and_saveexec_b64 s[24:25], vcc
	s_cbranch_execz .LBB131_40
; %bb.39:                               ;   in Loop: Header=BB131_4 Depth=2
	ds_read_b32 v2, v37
	s_waitcnt lgkmcnt(0)
	s_nop 0
	v_mov_b32_dpp v88, v2 row_shr:1 row_mask:0xf bank_mask:0xf
	v_cndmask_b32_e64 v88, v88, 0, s[18:19]
	v_add_u32_e32 v2, v88, v2
	s_nop 1
	v_mov_b32_dpp v88, v2 row_shr:2 row_mask:0xf bank_mask:0xf
	v_cndmask_b32_e64 v88, 0, v88, s[20:21]
	v_add_u32_e32 v2, v2, v88
	;; [unrolled: 4-line block ×3, first 2 shown]
	ds_write_b32 v37, v2
.LBB131_40:                             ;   in Loop: Header=BB131_4 Depth=2
	s_or_b64 exec, exec, s[24:25]
	v_mov_b32_e32 v2, 0
	s_waitcnt lgkmcnt(0)
	s_barrier
	s_and_saveexec_b64 s[24:25], s[0:1]
	s_cbranch_execz .LBB131_3
; %bb.41:                               ;   in Loop: Header=BB131_4 Depth=2
	ds_read_b32 v2, v40
	s_branch .LBB131_3
.LBB131_42:
	v_add_u32_e32 v0, v36, v86
	v_add_u32_e32 v1, v36, v83
	;; [unrolled: 1-line block ×8, first 2 shown]
	ds_read_b32 v0, v0 offset:32
	ds_read_b32 v1, v1 offset:32
	;; [unrolled: 1-line block ×8, first 2 shown]
	s_waitcnt lgkmcnt(7)
	v_add3_u32 v3, v87, v85, v0
	s_waitcnt lgkmcnt(6)
	v_add3_u32 v2, v84, v82, v1
	;; [unrolled: 2-line block ×5, first 2 shown]
	v_add_u32_e32 v4, v36, v62
	v_add_u32_e32 v8, v36, v59
	;; [unrolled: 1-line block ×5, first 2 shown]
	s_waitcnt lgkmcnt(2)
	v_add3_u32 v6, v72, v70, v5
	s_waitcnt lgkmcnt(1)
	v_add3_u32 v5, v69, v67, v10
	v_add_u32_e32 v10, v36, v53
	v_add_u32_e32 v14, v36, v44
	v_add_u32_e32 v15, v36, v39
	ds_read_b32 v16, v4 offset:32
	ds_read_b32 v8, v8 offset:32
	;; [unrolled: 1-line block ×8, first 2 shown]
	s_lshl_b64 s[0:1], s[34:35], 2
	s_add_u32 s0, s30, s0
	s_waitcnt lgkmcnt(8)
	v_add3_u32 v4, v65, v64, v11
	s_waitcnt lgkmcnt(7)
	v_add3_u32 v11, v63, v61, v16
	;; [unrolled: 2-line block ×5, first 2 shown]
	s_waitcnt lgkmcnt(0)
	v_add_u32_e32 v12, v19, v42
	s_addc_u32 s1, s31, s1
	v_lshlrev_b32_e32 v16, 2, v35
	v_add3_u32 v10, v60, v58, v8
	v_add3_u32 v9, v57, v55, v9
	;; [unrolled: 1-line block ×3, first 2 shown]
	global_store_dwordx4 v16, v[12:15], s[0:1]
	global_store_dwordx4 v16, v[8:11], s[0:1] offset:16
	global_store_dwordx4 v16, v[4:7], s[0:1] offset:32
	;; [unrolled: 1-line block ×3, first 2 shown]
	s_endpgm
	.section	.rodata,"a",@progbits
	.p2align	6, 0x0
	.amdhsa_kernel _Z11rank_kernelIxLj4ELb0EL18RadixRankAlgorithm2ELj512ELj16ELj10EEvPKT_Pi
		.amdhsa_group_segment_fixed_size 2080
		.amdhsa_private_segment_fixed_size 0
		.amdhsa_kernarg_size 272
		.amdhsa_user_sgpr_count 6
		.amdhsa_user_sgpr_private_segment_buffer 1
		.amdhsa_user_sgpr_dispatch_ptr 0
		.amdhsa_user_sgpr_queue_ptr 0
		.amdhsa_user_sgpr_kernarg_segment_ptr 1
		.amdhsa_user_sgpr_dispatch_id 0
		.amdhsa_user_sgpr_flat_scratch_init 0
		.amdhsa_user_sgpr_private_segment_size 0
		.amdhsa_uses_dynamic_stack 0
		.amdhsa_system_sgpr_private_segment_wavefront_offset 0
		.amdhsa_system_sgpr_workgroup_id_x 1
		.amdhsa_system_sgpr_workgroup_id_y 0
		.amdhsa_system_sgpr_workgroup_id_z 0
		.amdhsa_system_sgpr_workgroup_info 0
		.amdhsa_system_vgpr_workitem_id 2
		.amdhsa_next_free_vgpr 92
		.amdhsa_next_free_sgpr 37
		.amdhsa_reserve_vcc 1
		.amdhsa_reserve_flat_scratch 0
		.amdhsa_float_round_mode_32 0
		.amdhsa_float_round_mode_16_64 0
		.amdhsa_float_denorm_mode_32 3
		.amdhsa_float_denorm_mode_16_64 3
		.amdhsa_dx10_clamp 1
		.amdhsa_ieee_mode 1
		.amdhsa_fp16_overflow 0
		.amdhsa_exception_fp_ieee_invalid_op 0
		.amdhsa_exception_fp_denorm_src 0
		.amdhsa_exception_fp_ieee_div_zero 0
		.amdhsa_exception_fp_ieee_overflow 0
		.amdhsa_exception_fp_ieee_underflow 0
		.amdhsa_exception_fp_ieee_inexact 0
		.amdhsa_exception_int_div_zero 0
	.end_amdhsa_kernel
	.section	.text._Z11rank_kernelIxLj4ELb0EL18RadixRankAlgorithm2ELj512ELj16ELj10EEvPKT_Pi,"axG",@progbits,_Z11rank_kernelIxLj4ELb0EL18RadixRankAlgorithm2ELj512ELj16ELj10EEvPKT_Pi,comdat
.Lfunc_end131:
	.size	_Z11rank_kernelIxLj4ELb0EL18RadixRankAlgorithm2ELj512ELj16ELj10EEvPKT_Pi, .Lfunc_end131-_Z11rank_kernelIxLj4ELb0EL18RadixRankAlgorithm2ELj512ELj16ELj10EEvPKT_Pi
                                        ; -- End function
	.set _Z11rank_kernelIxLj4ELb0EL18RadixRankAlgorithm2ELj512ELj16ELj10EEvPKT_Pi.num_vgpr, 92
	.set _Z11rank_kernelIxLj4ELb0EL18RadixRankAlgorithm2ELj512ELj16ELj10EEvPKT_Pi.num_agpr, 0
	.set _Z11rank_kernelIxLj4ELb0EL18RadixRankAlgorithm2ELj512ELj16ELj10EEvPKT_Pi.numbered_sgpr, 37
	.set _Z11rank_kernelIxLj4ELb0EL18RadixRankAlgorithm2ELj512ELj16ELj10EEvPKT_Pi.num_named_barrier, 0
	.set _Z11rank_kernelIxLj4ELb0EL18RadixRankAlgorithm2ELj512ELj16ELj10EEvPKT_Pi.private_seg_size, 0
	.set _Z11rank_kernelIxLj4ELb0EL18RadixRankAlgorithm2ELj512ELj16ELj10EEvPKT_Pi.uses_vcc, 1
	.set _Z11rank_kernelIxLj4ELb0EL18RadixRankAlgorithm2ELj512ELj16ELj10EEvPKT_Pi.uses_flat_scratch, 0
	.set _Z11rank_kernelIxLj4ELb0EL18RadixRankAlgorithm2ELj512ELj16ELj10EEvPKT_Pi.has_dyn_sized_stack, 0
	.set _Z11rank_kernelIxLj4ELb0EL18RadixRankAlgorithm2ELj512ELj16ELj10EEvPKT_Pi.has_recursion, 0
	.set _Z11rank_kernelIxLj4ELb0EL18RadixRankAlgorithm2ELj512ELj16ELj10EEvPKT_Pi.has_indirect_call, 0
	.section	.AMDGPU.csdata,"",@progbits
; Kernel info:
; codeLenInByte = 5608
; TotalNumSgprs: 41
; NumVgprs: 92
; ScratchSize: 0
; MemoryBound: 0
; FloatMode: 240
; IeeeMode: 1
; LDSByteSize: 2080 bytes/workgroup (compile time only)
; SGPRBlocks: 5
; VGPRBlocks: 22
; NumSGPRsForWavesPerEU: 41
; NumVGPRsForWavesPerEU: 92
; Occupancy: 2
; WaveLimiterHint : 0
; COMPUTE_PGM_RSRC2:SCRATCH_EN: 0
; COMPUTE_PGM_RSRC2:USER_SGPR: 6
; COMPUTE_PGM_RSRC2:TRAP_HANDLER: 0
; COMPUTE_PGM_RSRC2:TGID_X_EN: 1
; COMPUTE_PGM_RSRC2:TGID_Y_EN: 0
; COMPUTE_PGM_RSRC2:TGID_Z_EN: 0
; COMPUTE_PGM_RSRC2:TIDIG_COMP_CNT: 2
	.section	.text._Z11rank_kernelIxLj4ELb0EL18RadixRankAlgorithm0ELj512ELj32ELj10EEvPKT_Pi,"axG",@progbits,_Z11rank_kernelIxLj4ELb0EL18RadixRankAlgorithm0ELj512ELj32ELj10EEvPKT_Pi,comdat
	.protected	_Z11rank_kernelIxLj4ELb0EL18RadixRankAlgorithm0ELj512ELj32ELj10EEvPKT_Pi ; -- Begin function _Z11rank_kernelIxLj4ELb0EL18RadixRankAlgorithm0ELj512ELj32ELj10EEvPKT_Pi
	.globl	_Z11rank_kernelIxLj4ELb0EL18RadixRankAlgorithm0ELj512ELj32ELj10EEvPKT_Pi
	.p2align	8
	.type	_Z11rank_kernelIxLj4ELb0EL18RadixRankAlgorithm0ELj512ELj32ELj10EEvPKT_Pi,@function
_Z11rank_kernelIxLj4ELb0EL18RadixRankAlgorithm0ELj512ELj32ELj10EEvPKT_Pi: ; @_Z11rank_kernelIxLj4ELb0EL18RadixRankAlgorithm0ELj512ELj32ELj10EEvPKT_Pi
; %bb.0:
	s_mov_b64 s[42:43], s[2:3]
	s_load_dwordx4 s[24:27], s[4:5], 0x0
	s_mov_b64 s[40:41], s[0:1]
	s_add_u32 s40, s40, s7
	s_addc_u32 s41, s41, 0
	s_lshl_b32 s28, s6, 14
	s_mov_b32 s29, 0
	s_lshl_b64 s[0:1], s[28:29], 3
	s_waitcnt lgkmcnt(0)
	s_add_u32 s0, s24, s0
	s_addc_u32 s1, s25, s1
	v_lshlrev_b32_e32 v1, 8, v0
	global_load_dwordx4 v[8:11], v1, s[0:1]
	global_load_dwordx4 v[66:69], v1, s[0:1] offset:16
	global_load_dwordx4 v[70:73], v1, s[0:1] offset:32
	;; [unrolled: 1-line block ×15, first 2 shown]
	v_mbcnt_lo_u32_b32 v1, -1, 0
	v_mbcnt_hi_u32_b32 v1, -1, v1
	v_subrev_co_u32_e64 v6, s[6:7], 1, v1
	v_and_b32_e32 v7, 64, v1
	v_or_b32_e32 v2, 63, v0
	v_lshrrev_b32_e32 v3, 4, v0
	v_cmp_lt_i32_e64 s[18:19], v6, v7
	v_lshlrev_b32_e32 v65, 5, v0
	v_mul_i32_i24_e32 v4, 0xffffffe4, v0
	v_and_b32_e32 v5, 15, v1
	v_cmp_eq_u32_e64 s[2:3], v0, v2
	v_and_b32_e32 v2, 16, v1
	v_cmp_lt_u32_e64 s[4:5], 31, v1
	v_and_b32_e32 v12, 28, v3
	v_and_b32_e32 v3, 7, v1
	v_cndmask_b32_e64 v1, v6, v1, s[18:19]
	v_add_u32_e32 v4, v65, v4
	v_lshlrev_b32_e32 v1, 2, v1
	s_movk_i32 s33, 0xdff
	s_movk_i32 s34, 0xe00
	v_cmp_gt_u32_e32 vcc, 8, v0
	v_cmp_lt_u32_e64 s[0:1], 63, v0
	v_cmp_eq_u32_e64 s[8:9], 0, v5
	v_cmp_lt_u32_e64 s[10:11], 1, v5
	v_cmp_lt_u32_e64 s[12:13], 3, v5
	;; [unrolled: 1-line block ×3, first 2 shown]
	v_cmp_eq_u32_e64 s[16:17], 0, v2
	v_cmp_eq_u32_e64 s[18:19], 0, v3
	v_cmp_lt_u32_e64 s[20:21], 1, v3
	v_cmp_lt_u32_e64 s[22:23], 3, v3
	s_mov_b32 s35, s29
	s_waitcnt vmcnt(15)
	v_xor_b32_e32 v9, 0x80000000, v9
	v_xor_b32_e32 v11, 0x80000000, v11
	s_waitcnt vmcnt(14)
	v_xor_b32_e32 v67, 0x80000000, v67
	v_xor_b32_e32 v69, 0x80000000, v69
	buffer_store_dword v8, off, s[40:43], 0 ; 4-byte Folded Spill
	s_nop 0
	buffer_store_dword v9, off, s[40:43], 0 offset:4 ; 4-byte Folded Spill
	buffer_store_dword v10, off, s[40:43], 0 offset:8 ; 4-byte Folded Spill
	buffer_store_dword v11, off, s[40:43], 0 offset:12 ; 4-byte Folded Spill
	buffer_store_dword v66, off, s[40:43], 0 offset:16 ; 4-byte Folded Spill
	s_nop 0
	buffer_store_dword v67, off, s[40:43], 0 offset:20 ; 4-byte Folded Spill
	buffer_store_dword v68, off, s[40:43], 0 offset:24 ; 4-byte Folded Spill
	;; [unrolled: 1-line block ×3, first 2 shown]
	v_mov_b32_e32 v11, v1
	v_mov_b32_e32 v10, v4
	s_waitcnt vmcnt(21)
	v_xor_b32_e32 v71, 0x80000000, v71
	v_xor_b32_e32 v73, 0x80000000, v73
	s_waitcnt vmcnt(20)
	v_xor_b32_e32 v14, 0x80000000, v14
	v_xor_b32_e32 v16, 0x80000000, v16
	;; [unrolled: 3-line block ×14, first 2 shown]
	v_mov_b32_e32 v69, 0
	buffer_store_dword v70, off, s[40:43], 0 offset:32 ; 4-byte Folded Spill
	s_nop 0
	buffer_store_dword v71, off, s[40:43], 0 offset:36 ; 4-byte Folded Spill
	buffer_store_dword v72, off, s[40:43], 0 offset:40 ; 4-byte Folded Spill
	;; [unrolled: 1-line block ×3, first 2 shown]
	s_branch .LBB132_2
.LBB132_1:                              ;   in Loop: Header=BB132_2 Depth=1
	s_add_i32 s35, s35, 1
	s_cmp_eq_u32 s35, 10
	s_cbranch_scc1 .LBB132_12
.LBB132_2:                              ; =>This Loop Header: Depth=1
                                        ;     Child Loop BB132_4 Depth 2
                                        ;       Child Loop BB132_5 Depth 3
	s_mov_b32 s36, 0
	s_branch .LBB132_4
.LBB132_3:                              ;   in Loop: Header=BB132_4 Depth=2
	s_or_b64 exec, exec, s[24:25]
	s_waitcnt lgkmcnt(0)
	v_add_u32_e32 v4, v5, v4
	ds_bpermute_b32 v4, v11, v4
	s_add_i32 s24, s36, 4
	s_cmp_lt_u32 s36, 60
	s_mov_b32 s36, s24
	s_waitcnt lgkmcnt(0)
	v_cndmask_b32_e64 v4, v4, v5, s[6:7]
	ds_read_b32 v5, v69 offset:16412
	s_waitcnt lgkmcnt(0)
	v_lshl_add_u32 v8, v5, 16, v4
	ds_read2_b64 v[4:7], v65 offset1:1
	s_waitcnt lgkmcnt(0)
	v_add_u32_e32 v9, v8, v4
	v_add_u32_e32 v4, v5, v9
	;; [unrolled: 1-line block ×3, first 2 shown]
	ds_write2_b64 v65, v[8:9], v[4:5] offset1:1
	v_add_u32_e32 v4, v7, v5
	ds_read_b64 v[5:6], v65 offset:16
	ds_read_b32 v7, v65 offset:24
	s_waitcnt lgkmcnt(1)
	v_add_u32_e32 v5, v5, v4
	v_add_u32_e32 v6, v6, v5
	s_waitcnt lgkmcnt(0)
	v_add_u32_e32 v7, v7, v6
	ds_write2_b64 v65, v[4:5], v[6:7] offset0:2 offset1:3
	s_waitcnt lgkmcnt(0)
	s_barrier
	s_cbranch_scc0 .LBB132_1
.LBB132_4:                              ;   Parent Loop BB132_2 Depth=1
                                        ; =>  This Loop Header: Depth=2
                                        ;       Child Loop BB132_5 Depth 3
	s_mov_b64 s[30:31], 0
	v_or_b32_e32 v1, 0xfffffe00, v0
	v_lshlrev_b32_e32 v2, 2, v0
.LBB132_5:                              ;   Parent Loop BB132_2 Depth=1
                                        ;     Parent Loop BB132_4 Depth=2
                                        ; =>    This Inner Loop Header: Depth=3
	v_add_u32_e32 v1, 0x200, v1
	v_cmp_lt_u32_e64 s[24:25], s33, v1
	ds_write_b32 v2, v69
	s_or_b64 s[30:31], s[24:25], s[30:31]
	v_add_u32_e32 v2, 0x800, v2
	s_andn2_b64 exec, exec, s[30:31]
	s_cbranch_execnz .LBB132_5
; %bb.6:                                ;   in Loop: Header=BB132_4 Depth=2
	s_or_b64 exec, exec, s[30:31]
	buffer_load_dword v1, off, s[40:43], 0  ; 4-byte Folded Reload
	buffer_load_dword v2, off, s[40:43], 0 offset:4 ; 4-byte Folded Reload
	buffer_load_dword v3, off, s[40:43], 0 offset:8 ; 4-byte Folded Reload
	;; [unrolled: 1-line block ×3, first 2 shown]
	s_sub_i32 s24, 60, s36
	s_waitcnt vmcnt(2)
	v_lshlrev_b64 v[1:2], s24, v[1:2]
	v_lshrrev_b32_e32 v1, 19, v2
	v_lshrrev_b32_e32 v2, 30, v2
	v_and_or_b32 v1, v1, s34, v0
	v_and_b32_e32 v2, 2, v2
	v_lshl_or_b32 v71, v1, 2, v2
	ds_read_u16 v70, v71
	s_waitcnt lgkmcnt(0)
	v_add_u16_e32 v1, 1, v70
	ds_write_b16 v71, v1
	s_waitcnt vmcnt(0)
	v_lshlrev_b64 v[1:2], s24, v[3:4]
	v_lshrrev_b32_e32 v1, 19, v2
	v_lshrrev_b32_e32 v2, 30, v2
	v_and_or_b32 v1, v1, s34, v0
	v_and_b32_e32 v2, 2, v2
	v_lshl_or_b32 v73, v1, 2, v2
	ds_read_u16 v72, v73
	s_waitcnt lgkmcnt(0)
	v_add_u16_e32 v1, 1, v72
	ds_write_b16 v73, v1
	buffer_load_dword v1, off, s[40:43], 0 offset:16 ; 4-byte Folded Reload
	buffer_load_dword v2, off, s[40:43], 0 offset:20 ; 4-byte Folded Reload
	;; [unrolled: 1-line block ×4, first 2 shown]
	s_waitcnt vmcnt(2)
	v_lshlrev_b64 v[1:2], s24, v[1:2]
	v_lshrrev_b32_e32 v1, 19, v2
	v_lshrrev_b32_e32 v2, 30, v2
	v_and_or_b32 v1, v1, s34, v0
	v_and_b32_e32 v2, 2, v2
	v_lshl_or_b32 v75, v1, 2, v2
	ds_read_u16 v74, v75
	s_waitcnt lgkmcnt(0)
	v_add_u16_e32 v1, 1, v74
	ds_write_b16 v75, v1
	s_waitcnt vmcnt(0)
	v_lshlrev_b64 v[1:2], s24, v[3:4]
	v_lshrrev_b32_e32 v1, 19, v2
	v_lshrrev_b32_e32 v2, 30, v2
	v_and_or_b32 v1, v1, s34, v0
	v_and_b32_e32 v2, 2, v2
	v_lshl_or_b32 v77, v1, 2, v2
	ds_read_u16 v76, v77
	s_waitcnt lgkmcnt(0)
	v_add_u16_e32 v1, 1, v76
	ds_write_b16 v77, v1
	buffer_load_dword v1, off, s[40:43], 0 offset:32 ; 4-byte Folded Reload
	buffer_load_dword v2, off, s[40:43], 0 offset:36 ; 4-byte Folded Reload
	;; [unrolled: 1-line block ×4, first 2 shown]
	s_waitcnt vmcnt(2)
	v_lshlrev_b64 v[1:2], s24, v[1:2]
	v_lshrrev_b32_e32 v1, 19, v2
	v_lshrrev_b32_e32 v2, 30, v2
	v_and_or_b32 v1, v1, s34, v0
	v_and_b32_e32 v2, 2, v2
	v_lshl_or_b32 v79, v1, 2, v2
	ds_read_u16 v78, v79
	s_waitcnt lgkmcnt(0)
	v_add_u16_e32 v1, 1, v78
	ds_write_b16 v79, v1
	s_waitcnt vmcnt(0)
	v_lshlrev_b64 v[1:2], s24, v[3:4]
	v_lshrrev_b32_e32 v1, 19, v2
	v_lshrrev_b32_e32 v2, 30, v2
	v_and_or_b32 v1, v1, s34, v0
	v_and_b32_e32 v2, 2, v2
	v_lshl_or_b32 v82, v1, 2, v2
	ds_read_u16 v80, v82
	s_waitcnt lgkmcnt(0)
	v_add_u16_e32 v1, 1, v80
	ds_write_b16 v82, v1
	v_lshlrev_b64 v[1:2], s24, v[13:14]
	v_lshrrev_b32_e32 v1, 19, v2
	v_lshrrev_b32_e32 v2, 30, v2
	v_and_or_b32 v1, v1, s34, v0
	v_and_b32_e32 v2, 2, v2
	v_lshl_or_b32 v84, v1, 2, v2
	ds_read_u16 v81, v84
	s_waitcnt lgkmcnt(0)
	v_add_u16_e32 v1, 1, v81
	ds_write_b16 v84, v1
	;; [unrolled: 10-line block ×27, first 2 shown]
	s_waitcnt lgkmcnt(0)
	s_barrier
	ds_read2_b64 v[4:7], v65 offset1:1
	s_waitcnt lgkmcnt(0)
	v_add_u32_e32 v4, v5, v4
	v_add3_u32 v8, v4, v6, v7
	ds_read2_b64 v[4:7], v65 offset0:2 offset1:3
	s_waitcnt lgkmcnt(0)
	v_add3_u32 v4, v8, v4, v5
	v_add3_u32 v4, v4, v6, v7
	s_nop 1
	v_mov_b32_dpp v5, v4 row_shr:1 row_mask:0xf bank_mask:0xf
	v_cndmask_b32_e64 v5, v5, 0, s[8:9]
	v_add_u32_e32 v4, v5, v4
	s_nop 1
	v_mov_b32_dpp v5, v4 row_shr:2 row_mask:0xf bank_mask:0xf
	v_cndmask_b32_e64 v5, 0, v5, s[10:11]
	v_add_u32_e32 v4, v4, v5
	;; [unrolled: 4-line block ×4, first 2 shown]
	s_nop 1
	v_mov_b32_dpp v5, v4 row_bcast:15 row_mask:0xf bank_mask:0xf
	v_cndmask_b32_e64 v5, v5, 0, s[16:17]
	v_add_u32_e32 v4, v4, v5
	s_nop 1
	v_mov_b32_dpp v5, v4 row_bcast:31 row_mask:0xf bank_mask:0xf
	v_cndmask_b32_e64 v5, 0, v5, s[4:5]
	v_add_u32_e32 v4, v4, v5
	s_and_saveexec_b64 s[24:25], s[2:3]
; %bb.7:                                ;   in Loop: Header=BB132_4 Depth=2
	ds_write_b32 v12, v4 offset:16384
; %bb.8:                                ;   in Loop: Header=BB132_4 Depth=2
	s_or_b64 exec, exec, s[24:25]
	s_waitcnt lgkmcnt(0)
	s_barrier
	s_and_saveexec_b64 s[24:25], vcc
	s_cbranch_execz .LBB132_10
; %bb.9:                                ;   in Loop: Header=BB132_4 Depth=2
	ds_read_b32 v5, v10 offset:16384
	s_waitcnt lgkmcnt(0)
	s_nop 0
	v_mov_b32_dpp v6, v5 row_shr:1 row_mask:0xf bank_mask:0xf
	v_cndmask_b32_e64 v6, v6, 0, s[18:19]
	v_add_u32_e32 v5, v6, v5
	s_nop 1
	v_mov_b32_dpp v6, v5 row_shr:2 row_mask:0xf bank_mask:0xf
	v_cndmask_b32_e64 v6, 0, v6, s[20:21]
	v_add_u32_e32 v5, v5, v6
	;; [unrolled: 4-line block ×3, first 2 shown]
	ds_write_b32 v10, v5 offset:16384
.LBB132_10:                             ;   in Loop: Header=BB132_4 Depth=2
	s_or_b64 exec, exec, s[24:25]
	v_mov_b32_e32 v5, 0
	s_waitcnt lgkmcnt(0)
	s_barrier
	s_and_saveexec_b64 s[24:25], s[0:1]
	s_cbranch_execz .LBB132_3
; %bb.11:                               ;   in Loop: Header=BB132_4 Depth=2
	ds_read_b32 v5, v12 offset:16380
	s_branch .LBB132_3
.LBB132_12:
	ds_read_u16 v31, v3
	ds_read_u16 v30, v2
	;; [unrolled: 1-line block ×32, first 2 shown]
	s_lshl_b64 s[0:1], s[28:29], 2
	s_add_u32 s0, s26, s0
	s_waitcnt lgkmcnt(8)
	v_add_u32_sdwa v0, v0, v70 dst_sel:DWORD dst_unused:UNUSED_PAD src0_sel:DWORD src1_sel:WORD_0
	v_add_u32_sdwa v1, v1, v72 dst_sel:DWORD dst_unused:UNUSED_PAD src0_sel:DWORD src1_sel:WORD_0
	;; [unrolled: 1-line block ×4, first 2 shown]
	s_addc_u32 s1, s27, s1
	v_lshlrev_b32_e32 v32, 2, v65
	v_add_u32_sdwa v4, v4, v78 dst_sel:DWORD dst_unused:UNUSED_PAD src0_sel:DWORD src1_sel:WORD_0
	v_add_u32_sdwa v5, v5, v80 dst_sel:DWORD dst_unused:UNUSED_PAD src0_sel:DWORD src1_sel:WORD_0
	v_add_u32_sdwa v6, v6, v81 dst_sel:DWORD dst_unused:UNUSED_PAD src0_sel:DWORD src1_sel:WORD_0
	v_add_u32_sdwa v7, v7, v83 dst_sel:DWORD dst_unused:UNUSED_PAD src0_sel:DWORD src1_sel:WORD_0
	s_waitcnt lgkmcnt(0)
	v_add_u32_sdwa v8, v8, v85 dst_sel:DWORD dst_unused:UNUSED_PAD src0_sel:DWORD src1_sel:WORD_0
	v_add_u32_sdwa v9, v9, v88 dst_sel:DWORD dst_unused:UNUSED_PAD src0_sel:DWORD src1_sel:WORD_0
	;; [unrolled: 1-line block ×24, first 2 shown]
	global_store_dwordx4 v32, v[0:3], s[0:1]
	global_store_dwordx4 v32, v[4:7], s[0:1] offset:16
	global_store_dwordx4 v32, v[8:11], s[0:1] offset:32
	;; [unrolled: 1-line block ×7, first 2 shown]
	s_endpgm
	.section	.rodata,"a",@progbits
	.p2align	6, 0x0
	.amdhsa_kernel _Z11rank_kernelIxLj4ELb0EL18RadixRankAlgorithm0ELj512ELj32ELj10EEvPKT_Pi
		.amdhsa_group_segment_fixed_size 16416
		.amdhsa_private_segment_fixed_size 52
		.amdhsa_kernarg_size 16
		.amdhsa_user_sgpr_count 6
		.amdhsa_user_sgpr_private_segment_buffer 1
		.amdhsa_user_sgpr_dispatch_ptr 0
		.amdhsa_user_sgpr_queue_ptr 0
		.amdhsa_user_sgpr_kernarg_segment_ptr 1
		.amdhsa_user_sgpr_dispatch_id 0
		.amdhsa_user_sgpr_flat_scratch_init 0
		.amdhsa_user_sgpr_private_segment_size 0
		.amdhsa_uses_dynamic_stack 0
		.amdhsa_system_sgpr_private_segment_wavefront_offset 1
		.amdhsa_system_sgpr_workgroup_id_x 1
		.amdhsa_system_sgpr_workgroup_id_y 0
		.amdhsa_system_sgpr_workgroup_id_z 0
		.amdhsa_system_sgpr_workgroup_info 0
		.amdhsa_system_vgpr_workitem_id 0
		.amdhsa_next_free_vgpr 128
		.amdhsa_next_free_sgpr 93
		.amdhsa_reserve_vcc 1
		.amdhsa_reserve_flat_scratch 0
		.amdhsa_float_round_mode_32 0
		.amdhsa_float_round_mode_16_64 0
		.amdhsa_float_denorm_mode_32 3
		.amdhsa_float_denorm_mode_16_64 3
		.amdhsa_dx10_clamp 1
		.amdhsa_ieee_mode 1
		.amdhsa_fp16_overflow 0
		.amdhsa_exception_fp_ieee_invalid_op 0
		.amdhsa_exception_fp_denorm_src 0
		.amdhsa_exception_fp_ieee_div_zero 0
		.amdhsa_exception_fp_ieee_overflow 0
		.amdhsa_exception_fp_ieee_underflow 0
		.amdhsa_exception_fp_ieee_inexact 0
		.amdhsa_exception_int_div_zero 0
	.end_amdhsa_kernel
	.section	.text._Z11rank_kernelIxLj4ELb0EL18RadixRankAlgorithm0ELj512ELj32ELj10EEvPKT_Pi,"axG",@progbits,_Z11rank_kernelIxLj4ELb0EL18RadixRankAlgorithm0ELj512ELj32ELj10EEvPKT_Pi,comdat
.Lfunc_end132:
	.size	_Z11rank_kernelIxLj4ELb0EL18RadixRankAlgorithm0ELj512ELj32ELj10EEvPKT_Pi, .Lfunc_end132-_Z11rank_kernelIxLj4ELb0EL18RadixRankAlgorithm0ELj512ELj32ELj10EEvPKT_Pi
                                        ; -- End function
	.set _Z11rank_kernelIxLj4ELb0EL18RadixRankAlgorithm0ELj512ELj32ELj10EEvPKT_Pi.num_vgpr, 128
	.set _Z11rank_kernelIxLj4ELb0EL18RadixRankAlgorithm0ELj512ELj32ELj10EEvPKT_Pi.num_agpr, 0
	.set _Z11rank_kernelIxLj4ELb0EL18RadixRankAlgorithm0ELj512ELj32ELj10EEvPKT_Pi.numbered_sgpr, 44
	.set _Z11rank_kernelIxLj4ELb0EL18RadixRankAlgorithm0ELj512ELj32ELj10EEvPKT_Pi.num_named_barrier, 0
	.set _Z11rank_kernelIxLj4ELb0EL18RadixRankAlgorithm0ELj512ELj32ELj10EEvPKT_Pi.private_seg_size, 52
	.set _Z11rank_kernelIxLj4ELb0EL18RadixRankAlgorithm0ELj512ELj32ELj10EEvPKT_Pi.uses_vcc, 1
	.set _Z11rank_kernelIxLj4ELb0EL18RadixRankAlgorithm0ELj512ELj32ELj10EEvPKT_Pi.uses_flat_scratch, 0
	.set _Z11rank_kernelIxLj4ELb0EL18RadixRankAlgorithm0ELj512ELj32ELj10EEvPKT_Pi.has_dyn_sized_stack, 0
	.set _Z11rank_kernelIxLj4ELb0EL18RadixRankAlgorithm0ELj512ELj32ELj10EEvPKT_Pi.has_recursion, 0
	.set _Z11rank_kernelIxLj4ELb0EL18RadixRankAlgorithm0ELj512ELj32ELj10EEvPKT_Pi.has_indirect_call, 0
	.section	.AMDGPU.csdata,"",@progbits
; Kernel info:
; codeLenInByte = 4068
; TotalNumSgprs: 48
; NumVgprs: 128
; ScratchSize: 52
; MemoryBound: 1
; FloatMode: 240
; IeeeMode: 1
; LDSByteSize: 16416 bytes/workgroup (compile time only)
; SGPRBlocks: 12
; VGPRBlocks: 31
; NumSGPRsForWavesPerEU: 97
; NumVGPRsForWavesPerEU: 128
; Occupancy: 2
; WaveLimiterHint : 0
; COMPUTE_PGM_RSRC2:SCRATCH_EN: 1
; COMPUTE_PGM_RSRC2:USER_SGPR: 6
; COMPUTE_PGM_RSRC2:TRAP_HANDLER: 0
; COMPUTE_PGM_RSRC2:TGID_X_EN: 1
; COMPUTE_PGM_RSRC2:TGID_Y_EN: 0
; COMPUTE_PGM_RSRC2:TGID_Z_EN: 0
; COMPUTE_PGM_RSRC2:TIDIG_COMP_CNT: 0
	.section	.text._Z11rank_kernelIxLj4ELb0EL18RadixRankAlgorithm1ELj512ELj32ELj10EEvPKT_Pi,"axG",@progbits,_Z11rank_kernelIxLj4ELb0EL18RadixRankAlgorithm1ELj512ELj32ELj10EEvPKT_Pi,comdat
	.protected	_Z11rank_kernelIxLj4ELb0EL18RadixRankAlgorithm1ELj512ELj32ELj10EEvPKT_Pi ; -- Begin function _Z11rank_kernelIxLj4ELb0EL18RadixRankAlgorithm1ELj512ELj32ELj10EEvPKT_Pi
	.globl	_Z11rank_kernelIxLj4ELb0EL18RadixRankAlgorithm1ELj512ELj32ELj10EEvPKT_Pi
	.p2align	8
	.type	_Z11rank_kernelIxLj4ELb0EL18RadixRankAlgorithm1ELj512ELj32ELj10EEvPKT_Pi,@function
_Z11rank_kernelIxLj4ELb0EL18RadixRankAlgorithm1ELj512ELj32ELj10EEvPKT_Pi: ; @_Z11rank_kernelIxLj4ELb0EL18RadixRankAlgorithm1ELj512ELj32ELj10EEvPKT_Pi
; %bb.0:
	s_mov_b64 s[42:43], s[2:3]
	s_load_dwordx4 s[24:27], s[4:5], 0x0
	s_mov_b64 s[40:41], s[0:1]
	s_add_u32 s40, s40, s7
	s_addc_u32 s41, s41, 0
	s_lshl_b32 s28, s6, 14
	s_mov_b32 s29, 0
	s_lshl_b64 s[0:1], s[28:29], 3
	s_waitcnt lgkmcnt(0)
	s_add_u32 s0, s24, s0
	s_addc_u32 s1, s25, s1
	v_lshlrev_b32_e32 v1, 8, v0
	global_load_dwordx4 v[8:11], v1, s[0:1]
	global_load_dwordx4 v[12:15], v1, s[0:1] offset:16
	global_load_dwordx4 v[65:68], v1, s[0:1] offset:32
	;; [unrolled: 1-line block ×15, first 2 shown]
	v_mbcnt_lo_u32_b32 v1, -1, 0
	v_mbcnt_hi_u32_b32 v1, -1, v1
	v_subrev_co_u32_e64 v6, s[6:7], 1, v1
	v_and_b32_e32 v7, 64, v1
	v_or_b32_e32 v2, 63, v0
	v_lshrrev_b32_e32 v3, 4, v0
	v_cmp_lt_i32_e64 s[18:19], v6, v7
	v_lshlrev_b32_e32 v73, 5, v0
	v_mul_i32_i24_e32 v4, 0xffffffe4, v0
	v_and_b32_e32 v5, 15, v1
	v_cmp_eq_u32_e64 s[2:3], v0, v2
	v_and_b32_e32 v2, 16, v1
	v_cmp_lt_u32_e64 s[4:5], 31, v1
	v_and_b32_e32 v16, 28, v3
	v_and_b32_e32 v3, 7, v1
	v_cndmask_b32_e64 v1, v6, v1, s[18:19]
	s_movk_i32 s33, 0xdff
	s_movk_i32 s34, 0xe00
	v_cmp_gt_u32_e32 vcc, 8, v0
	v_cmp_lt_u32_e64 s[0:1], 63, v0
	v_add_u32_e32 v4, v73, v4
	v_cmp_eq_u32_e64 s[8:9], 0, v5
	v_cmp_lt_u32_e64 s[10:11], 1, v5
	v_cmp_lt_u32_e64 s[12:13], 3, v5
	;; [unrolled: 1-line block ×3, first 2 shown]
	v_cmp_eq_u32_e64 s[16:17], 0, v2
	v_cmp_eq_u32_e64 s[18:19], 0, v3
	v_cmp_lt_u32_e64 s[20:21], 1, v3
	v_cmp_lt_u32_e64 s[22:23], 3, v3
	v_lshlrev_b32_e32 v1, 2, v1
	s_mov_b32 s35, s29
	v_mov_b32_e32 v78, 0
	buffer_store_dword v4, off, s[40:43], 0 offset:68 ; 4-byte Folded Spill
	buffer_store_dword v1, off, s[40:43], 0 offset:64 ; 4-byte Folded Spill
	s_waitcnt vmcnt(17)
	v_xor_b32_e32 v9, 0x80000000, v9
	v_xor_b32_e32 v11, 0x80000000, v11
	s_waitcnt vmcnt(16)
	v_xor_b32_e32 v13, 0x80000000, v13
	v_xor_b32_e32 v15, 0x80000000, v15
	;; [unrolled: 3-line block ×16, first 2 shown]
	buffer_store_dword v8, off, s[40:43], 0 ; 4-byte Folded Spill
	s_nop 0
	buffer_store_dword v9, off, s[40:43], 0 offset:4 ; 4-byte Folded Spill
	buffer_store_dword v10, off, s[40:43], 0 offset:8 ; 4-byte Folded Spill
	buffer_store_dword v11, off, s[40:43], 0 offset:12 ; 4-byte Folded Spill
	buffer_store_dword v12, off, s[40:43], 0 offset:16 ; 4-byte Folded Spill
	s_nop 0
	buffer_store_dword v13, off, s[40:43], 0 offset:20 ; 4-byte Folded Spill
	buffer_store_dword v14, off, s[40:43], 0 offset:24 ; 4-byte Folded Spill
	buffer_store_dword v15, off, s[40:43], 0 offset:28 ; 4-byte Folded Spill
	buffer_store_dword v65, off, s[40:43], 0 offset:32 ; 4-byte Folded Spill
	s_nop 0
	buffer_store_dword v66, off, s[40:43], 0 offset:36 ; 4-byte Folded Spill
	buffer_store_dword v67, off, s[40:43], 0 offset:40 ; 4-byte Folded Spill
	buffer_store_dword v68, off, s[40:43], 0 offset:44 ; 4-byte Folded Spill
	buffer_store_dword v69, off, s[40:43], 0 offset:48 ; 4-byte Folded Spill
	s_nop 0
	buffer_store_dword v70, off, s[40:43], 0 offset:52 ; 4-byte Folded Spill
	buffer_store_dword v71, off, s[40:43], 0 offset:56 ; 4-byte Folded Spill
	;; [unrolled: 1-line block ×3, first 2 shown]
	s_branch .LBB133_2
.LBB133_1:                              ;   in Loop: Header=BB133_2 Depth=1
	s_add_i32 s35, s35, 1
	s_cmp_eq_u32 s35, 10
	s_cbranch_scc1 .LBB133_12
.LBB133_2:                              ; =>This Loop Header: Depth=1
                                        ;     Child Loop BB133_4 Depth 2
                                        ;       Child Loop BB133_5 Depth 3
	s_mov_b32 s36, 0
	s_branch .LBB133_4
.LBB133_3:                              ;   in Loop: Header=BB133_4 Depth=2
	s_or_b64 exec, exec, s[24:25]
	buffer_load_dword v13, off, s[40:43], 0 offset:64 ; 4-byte Folded Reload
	s_waitcnt lgkmcnt(0)
	v_add_u32_e32 v12, v68, v12
	s_add_i32 s24, s36, 4
	s_cmp_lt_u32 s36, 60
	s_mov_b32 s36, s24
	s_waitcnt vmcnt(0)
	ds_bpermute_b32 v12, v13, v12
	ds_read_b32 v13, v78 offset:16412
	s_waitcnt lgkmcnt(1)
	v_cndmask_b32_e64 v12, v12, v68, s[6:7]
	s_waitcnt lgkmcnt(0)
	v_lshl_add_u32 v68, v13, 16, v12
	v_add_u32_e32 v69, v68, v69
	v_add_u32_e32 v70, v69, v70
	;; [unrolled: 1-line block ×7, first 2 shown]
	ds_write2_b64 v73, v[68:69], v[70:71] offset1:1
	ds_write2_b64 v73, v[12:13], v[14:15] offset0:2 offset1:3
	s_waitcnt lgkmcnt(0)
	s_barrier
	s_cbranch_scc0 .LBB133_1
.LBB133_4:                              ;   Parent Loop BB133_2 Depth=1
                                        ; =>  This Loop Header: Depth=2
                                        ;       Child Loop BB133_5 Depth 3
	s_mov_b64 s[30:31], 0
	v_or_b32_e32 v1, 0xfffffe00, v0
	v_lshlrev_b32_e32 v2, 2, v0
.LBB133_5:                              ;   Parent Loop BB133_2 Depth=1
                                        ;     Parent Loop BB133_4 Depth=2
                                        ; =>    This Inner Loop Header: Depth=3
	v_add_u32_e32 v1, 0x200, v1
	v_cmp_lt_u32_e64 s[24:25], s33, v1
	ds_write_b32 v2, v78
	s_or_b64 s[30:31], s[24:25], s[30:31]
	v_add_u32_e32 v2, 0x800, v2
	s_andn2_b64 exec, exec, s[30:31]
	s_cbranch_execnz .LBB133_5
; %bb.6:                                ;   in Loop: Header=BB133_4 Depth=2
	s_or_b64 exec, exec, s[30:31]
	buffer_load_dword v1, off, s[40:43], 0  ; 4-byte Folded Reload
	buffer_load_dword v2, off, s[40:43], 0 offset:4 ; 4-byte Folded Reload
	buffer_load_dword v3, off, s[40:43], 0 offset:8 ; 4-byte Folded Reload
	;; [unrolled: 1-line block ×3, first 2 shown]
	s_sub_i32 s24, 60, s36
	s_waitcnt vmcnt(2)
	v_lshlrev_b64 v[1:2], s24, v[1:2]
	v_lshrrev_b32_e32 v1, 19, v2
	v_lshrrev_b32_e32 v2, 30, v2
	v_and_or_b32 v1, v1, s34, v0
	v_and_b32_e32 v2, 2, v2
	v_lshl_or_b32 v79, v1, 2, v2
	ds_read_u16 v77, v79
	s_waitcnt vmcnt(0)
	v_lshlrev_b64 v[1:2], s24, v[3:4]
	v_lshrrev_b32_e32 v1, 19, v2
	v_lshrrev_b32_e32 v2, 30, v2
	v_and_or_b32 v1, v1, s34, v0
	s_waitcnt lgkmcnt(0)
	v_add_u16_e32 v3, 1, v77
	v_and_b32_e32 v2, 2, v2
	ds_write_b16 v79, v3
	v_lshl_or_b32 v81, v1, 2, v2
	ds_read_u16 v80, v81
	buffer_load_dword v2, off, s[40:43], 0 offset:16 ; 4-byte Folded Reload
	buffer_load_dword v3, off, s[40:43], 0 offset:20 ; 4-byte Folded Reload
	;; [unrolled: 1-line block ×4, first 2 shown]
	s_waitcnt vmcnt(2)
	v_lshlrev_b64 v[1:2], s24, v[2:3]
	s_waitcnt lgkmcnt(0)
	v_add_u16_e32 v1, 1, v80
	ds_write_b16 v81, v1
	v_lshrrev_b32_e32 v1, 19, v2
	v_lshrrev_b32_e32 v2, 30, v2
	v_and_or_b32 v1, v1, s34, v0
	v_and_b32_e32 v2, 2, v2
	v_lshl_or_b32 v84, v1, 2, v2
	ds_read_u16 v82, v84
	s_waitcnt vmcnt(0)
	v_lshlrev_b64 v[1:2], s24, v[4:5]
	v_lshrrev_b32_e32 v1, 19, v2
	v_lshrrev_b32_e32 v2, 30, v2
	s_waitcnt lgkmcnt(0)
	v_add_u16_e32 v3, 1, v82
	v_and_or_b32 v1, v1, s34, v0
	v_and_b32_e32 v2, 2, v2
	ds_write_b16 v84, v3
	v_lshl_or_b32 v86, v1, 2, v2
	ds_read_u16 v83, v86
	buffer_load_dword v4, off, s[40:43], 0 offset:32 ; 4-byte Folded Reload
	buffer_load_dword v5, off, s[40:43], 0 offset:36 ; 4-byte Folded Reload
	;; [unrolled: 1-line block ×4, first 2 shown]
	s_waitcnt lgkmcnt(0)
	v_add_u16_e32 v3, 1, v83
	ds_write_b16 v86, v3
	s_waitcnt vmcnt(2)
	v_lshlrev_b64 v[1:2], s24, v[4:5]
	v_lshrrev_b32_e32 v1, 19, v2
	v_lshrrev_b32_e32 v2, 30, v2
	v_and_or_b32 v1, v1, s34, v0
	v_and_b32_e32 v2, 2, v2
	v_lshl_or_b32 v88, v1, 2, v2
	ds_read_u16 v85, v88
	s_waitcnt vmcnt(0)
	v_lshlrev_b64 v[1:2], s24, v[6:7]
	v_lshrrev_b32_e32 v1, 19, v2
	v_lshrrev_b32_e32 v2, 30, v2
	s_waitcnt lgkmcnt(0)
	v_add_u16_e32 v3, 1, v85
	v_and_or_b32 v1, v1, s34, v0
	v_and_b32_e32 v2, 2, v2
	ds_write_b16 v88, v3
	v_lshl_or_b32 v90, v1, 2, v2
	ds_read_u16 v87, v90
	buffer_load_dword v4, off, s[40:43], 0 offset:48 ; 4-byte Folded Reload
	buffer_load_dword v5, off, s[40:43], 0 offset:52 ; 4-byte Folded Reload
	;; [unrolled: 1-line block ×4, first 2 shown]
	s_waitcnt lgkmcnt(0)
	v_add_u16_e32 v3, 1, v87
	ds_write_b16 v90, v3
	s_waitcnt vmcnt(2)
	v_lshlrev_b64 v[1:2], s24, v[4:5]
	v_lshrrev_b32_e32 v1, 19, v2
	v_lshrrev_b32_e32 v2, 30, v2
	v_and_or_b32 v1, v1, s34, v0
	v_and_b32_e32 v2, 2, v2
	v_lshl_or_b32 v92, v1, 2, v2
	ds_read_u16 v89, v92
	s_waitcnt vmcnt(0)
	v_lshlrev_b64 v[1:2], s24, v[6:7]
	v_lshlrev_b64 v[5:6], s24, v[53:54]
	v_lshrrev_b32_e32 v1, 19, v2
	v_lshrrev_b32_e32 v2, 30, v2
	s_waitcnt lgkmcnt(0)
	v_add_u16_e32 v3, 1, v89
	v_and_or_b32 v1, v1, s34, v0
	v_and_b32_e32 v2, 2, v2
	ds_write_b16 v92, v3
	v_lshl_or_b32 v94, v1, 2, v2
	ds_read_u16 v91, v94
	v_lshlrev_b64 v[1:2], s24, v[17:18]
	v_lshlrev_b64 v[7:8], s24, v[55:56]
	v_lshrrev_b32_e32 v1, 19, v2
	v_lshrrev_b32_e32 v2, 30, v2
	s_waitcnt lgkmcnt(0)
	v_add_u16_e32 v3, 1, v91
	v_and_or_b32 v1, v1, s34, v0
	v_and_b32_e32 v2, 2, v2
	ds_write_b16 v94, v3
	v_lshl_or_b32 v95, v1, 2, v2
	ds_read_u16 v93, v95
	v_lshlrev_b64 v[1:2], s24, v[19:20]
	v_lshrrev_b32_e32 v1, 19, v2
	v_lshrrev_b32_e32 v2, 30, v2
	s_waitcnt lgkmcnt(0)
	v_add_u16_e32 v3, 1, v93
	v_and_or_b32 v1, v1, s34, v0
	v_and_b32_e32 v2, 2, v2
	ds_write_b16 v95, v3
	v_lshl_or_b32 v97, v1, 2, v2
	ds_read_u16 v96, v97
	;; [unrolled: 10-line block ×17, first 2 shown]
	v_lshlrev_b64 v[3:4], s24, v[51:52]
	v_lshrrev_b32_e32 v3, 30, v4
	v_and_b32_e32 v3, 2, v3
	s_waitcnt lgkmcnt(0)
	v_add_u16_e32 v1, 1, v123
	ds_write_b16 v2, v1
	v_lshrrev_b32_e32 v1, 19, v4
	v_and_or_b32 v1, v1, s34, v0
	v_lshl_or_b32 v4, v1, 2, v3
	ds_read_u16 v125, v4
	v_lshrrev_b32_e32 v3, 30, v6
	v_and_b32_e32 v3, 2, v3
	s_waitcnt lgkmcnt(0)
	v_add_u16_e32 v1, 1, v125
	ds_write_b16 v4, v1
	v_lshrrev_b32_e32 v1, 19, v6
	v_and_or_b32 v1, v1, s34, v0
	v_lshl_or_b32 v6, v1, 2, v3
	ds_read_u16 v127, v6
	;; [unrolled: 9-line block ×3, first 2 shown]
	v_lshlrev_b64 v[8:9], s24, v[57:58]
	v_lshrrev_b32_e32 v3, 30, v9
	v_and_b32_e32 v3, 2, v3
	s_waitcnt lgkmcnt(0)
	v_add_u16_e32 v1, 1, v74
	ds_write_b16 v7, v1
	v_lshrrev_b32_e32 v1, 19, v9
	v_and_or_b32 v1, v1, s34, v0
	v_lshl_or_b32 v8, v1, 2, v3
	ds_read_u16 v76, v8
	v_lshlrev_b64 v[9:10], s24, v[59:60]
	v_lshrrev_b32_e32 v3, 30, v10
	v_and_b32_e32 v3, 2, v3
	s_waitcnt lgkmcnt(0)
	v_add_u16_e32 v1, 1, v76
	ds_write_b16 v8, v1
	v_lshrrev_b32_e32 v1, 19, v10
	v_and_or_b32 v1, v1, s34, v0
	v_lshl_or_b32 v9, v1, 2, v3
	ds_read_u16 v1, v9
	;; [unrolled: 10-line block ×4, first 2 shown]
	s_waitcnt lgkmcnt(0)
	v_add_u16_e32 v12, 1, v5
	ds_write_b16 v11, v12
	s_waitcnt lgkmcnt(0)
	s_barrier
	ds_read2_b64 v[69:72], v73 offset1:1
	ds_read2_b64 v[65:68], v73 offset0:2 offset1:3
	s_waitcnt lgkmcnt(1)
	v_add_u32_e32 v12, v70, v69
	v_add3_u32 v12, v12, v71, v72
	s_waitcnt lgkmcnt(0)
	v_add3_u32 v12, v12, v65, v66
	v_add3_u32 v12, v12, v67, v68
	s_nop 1
	v_mov_b32_dpp v13, v12 row_shr:1 row_mask:0xf bank_mask:0xf
	v_cndmask_b32_e64 v13, v13, 0, s[8:9]
	v_add_u32_e32 v12, v13, v12
	s_nop 1
	v_mov_b32_dpp v13, v12 row_shr:2 row_mask:0xf bank_mask:0xf
	v_cndmask_b32_e64 v13, 0, v13, s[10:11]
	v_add_u32_e32 v12, v12, v13
	;; [unrolled: 4-line block ×4, first 2 shown]
	s_nop 1
	v_mov_b32_dpp v13, v12 row_bcast:15 row_mask:0xf bank_mask:0xf
	v_cndmask_b32_e64 v13, v13, 0, s[16:17]
	v_add_u32_e32 v12, v12, v13
	s_nop 1
	v_mov_b32_dpp v13, v12 row_bcast:31 row_mask:0xf bank_mask:0xf
	v_cndmask_b32_e64 v13, 0, v13, s[4:5]
	v_add_u32_e32 v12, v12, v13
	s_and_saveexec_b64 s[24:25], s[2:3]
; %bb.7:                                ;   in Loop: Header=BB133_4 Depth=2
	ds_write_b32 v16, v12 offset:16384
; %bb.8:                                ;   in Loop: Header=BB133_4 Depth=2
	s_or_b64 exec, exec, s[24:25]
	s_waitcnt lgkmcnt(0)
	s_barrier
	s_and_saveexec_b64 s[24:25], vcc
	s_cbranch_execz .LBB133_10
; %bb.9:                                ;   in Loop: Header=BB133_4 Depth=2
	buffer_load_dword v15, off, s[40:43], 0 offset:68 ; 4-byte Folded Reload
	s_waitcnt vmcnt(0)
	ds_read_b32 v13, v15 offset:16384
	s_waitcnt lgkmcnt(0)
	s_nop 0
	v_mov_b32_dpp v14, v13 row_shr:1 row_mask:0xf bank_mask:0xf
	v_cndmask_b32_e64 v14, v14, 0, s[18:19]
	v_add_u32_e32 v13, v14, v13
	s_nop 1
	v_mov_b32_dpp v14, v13 row_shr:2 row_mask:0xf bank_mask:0xf
	v_cndmask_b32_e64 v14, 0, v14, s[20:21]
	v_add_u32_e32 v13, v13, v14
	;; [unrolled: 4-line block ×3, first 2 shown]
	ds_write_b32 v15, v13 offset:16384
.LBB133_10:                             ;   in Loop: Header=BB133_4 Depth=2
	s_or_b64 exec, exec, s[24:25]
	v_mov_b32_e32 v68, 0
	s_waitcnt lgkmcnt(0)
	s_barrier
	s_and_saveexec_b64 s[24:25], s[0:1]
	s_cbranch_execz .LBB133_3
; %bb.11:                               ;   in Loop: Header=BB133_4 Depth=2
	ds_read_b32 v68, v16 offset:16380
	s_branch .LBB133_3
.LBB133_12:
	ds_read_u16 v34, v11
	ds_read_u16 v35, v10
	;; [unrolled: 1-line block ×32, first 2 shown]
	s_lshl_b64 s[0:1], s[28:29], 2
	s_add_u32 s0, s26, s0
	s_waitcnt lgkmcnt(8)
	v_add_u32_sdwa v6, v6, v77 dst_sel:DWORD dst_unused:UNUSED_PAD src0_sel:DWORD src1_sel:WORD_0
	v_add_u32_sdwa v7, v7, v80 dst_sel:DWORD dst_unused:UNUSED_PAD src0_sel:DWORD src1_sel:WORD_0
	;; [unrolled: 1-line block ×5, first 2 shown]
	s_addc_u32 s1, s27, s1
	v_lshlrev_b32_e32 v4, 2, v73
	v_add_u32_sdwa v10, v10, v85 dst_sel:DWORD dst_unused:UNUSED_PAD src0_sel:DWORD src1_sel:WORD_0
	v_add_u32_sdwa v11, v11, v87 dst_sel:DWORD dst_unused:UNUSED_PAD src0_sel:DWORD src1_sel:WORD_0
	;; [unrolled: 1-line block ×4, first 2 shown]
	s_waitcnt lgkmcnt(0)
	v_add_u32_sdwa v14, v14, v93 dst_sel:DWORD dst_unused:UNUSED_PAD src0_sel:DWORD src1_sel:WORD_0
	v_add_u32_sdwa v15, v15, v96 dst_sel:DWORD dst_unused:UNUSED_PAD src0_sel:DWORD src1_sel:WORD_0
	;; [unrolled: 1-line block ×23, first 2 shown]
	global_store_dwordx4 v4, v[6:9], s[0:1]
	global_store_dwordx4 v4, v[10:13], s[0:1] offset:16
	global_store_dwordx4 v4, v[14:17], s[0:1] offset:32
	;; [unrolled: 1-line block ×7, first 2 shown]
	s_endpgm
	.section	.rodata,"a",@progbits
	.p2align	6, 0x0
	.amdhsa_kernel _Z11rank_kernelIxLj4ELb0EL18RadixRankAlgorithm1ELj512ELj32ELj10EEvPKT_Pi
		.amdhsa_group_segment_fixed_size 16416
		.amdhsa_private_segment_fixed_size 76
		.amdhsa_kernarg_size 16
		.amdhsa_user_sgpr_count 6
		.amdhsa_user_sgpr_private_segment_buffer 1
		.amdhsa_user_sgpr_dispatch_ptr 0
		.amdhsa_user_sgpr_queue_ptr 0
		.amdhsa_user_sgpr_kernarg_segment_ptr 1
		.amdhsa_user_sgpr_dispatch_id 0
		.amdhsa_user_sgpr_flat_scratch_init 0
		.amdhsa_user_sgpr_private_segment_size 0
		.amdhsa_uses_dynamic_stack 0
		.amdhsa_system_sgpr_private_segment_wavefront_offset 1
		.amdhsa_system_sgpr_workgroup_id_x 1
		.amdhsa_system_sgpr_workgroup_id_y 0
		.amdhsa_system_sgpr_workgroup_id_z 0
		.amdhsa_system_sgpr_workgroup_info 0
		.amdhsa_system_vgpr_workitem_id 0
		.amdhsa_next_free_vgpr 128
		.amdhsa_next_free_sgpr 93
		.amdhsa_reserve_vcc 1
		.amdhsa_reserve_flat_scratch 0
		.amdhsa_float_round_mode_32 0
		.amdhsa_float_round_mode_16_64 0
		.amdhsa_float_denorm_mode_32 3
		.amdhsa_float_denorm_mode_16_64 3
		.amdhsa_dx10_clamp 1
		.amdhsa_ieee_mode 1
		.amdhsa_fp16_overflow 0
		.amdhsa_exception_fp_ieee_invalid_op 0
		.amdhsa_exception_fp_denorm_src 0
		.amdhsa_exception_fp_ieee_div_zero 0
		.amdhsa_exception_fp_ieee_overflow 0
		.amdhsa_exception_fp_ieee_underflow 0
		.amdhsa_exception_fp_ieee_inexact 0
		.amdhsa_exception_int_div_zero 0
	.end_amdhsa_kernel
	.section	.text._Z11rank_kernelIxLj4ELb0EL18RadixRankAlgorithm1ELj512ELj32ELj10EEvPKT_Pi,"axG",@progbits,_Z11rank_kernelIxLj4ELb0EL18RadixRankAlgorithm1ELj512ELj32ELj10EEvPKT_Pi,comdat
.Lfunc_end133:
	.size	_Z11rank_kernelIxLj4ELb0EL18RadixRankAlgorithm1ELj512ELj32ELj10EEvPKT_Pi, .Lfunc_end133-_Z11rank_kernelIxLj4ELb0EL18RadixRankAlgorithm1ELj512ELj32ELj10EEvPKT_Pi
                                        ; -- End function
	.set _Z11rank_kernelIxLj4ELb0EL18RadixRankAlgorithm1ELj512ELj32ELj10EEvPKT_Pi.num_vgpr, 128
	.set _Z11rank_kernelIxLj4ELb0EL18RadixRankAlgorithm1ELj512ELj32ELj10EEvPKT_Pi.num_agpr, 0
	.set _Z11rank_kernelIxLj4ELb0EL18RadixRankAlgorithm1ELj512ELj32ELj10EEvPKT_Pi.numbered_sgpr, 44
	.set _Z11rank_kernelIxLj4ELb0EL18RadixRankAlgorithm1ELj512ELj32ELj10EEvPKT_Pi.num_named_barrier, 0
	.set _Z11rank_kernelIxLj4ELb0EL18RadixRankAlgorithm1ELj512ELj32ELj10EEvPKT_Pi.private_seg_size, 76
	.set _Z11rank_kernelIxLj4ELb0EL18RadixRankAlgorithm1ELj512ELj32ELj10EEvPKT_Pi.uses_vcc, 1
	.set _Z11rank_kernelIxLj4ELb0EL18RadixRankAlgorithm1ELj512ELj32ELj10EEvPKT_Pi.uses_flat_scratch, 0
	.set _Z11rank_kernelIxLj4ELb0EL18RadixRankAlgorithm1ELj512ELj32ELj10EEvPKT_Pi.has_dyn_sized_stack, 0
	.set _Z11rank_kernelIxLj4ELb0EL18RadixRankAlgorithm1ELj512ELj32ELj10EEvPKT_Pi.has_recursion, 0
	.set _Z11rank_kernelIxLj4ELb0EL18RadixRankAlgorithm1ELj512ELj32ELj10EEvPKT_Pi.has_indirect_call, 0
	.section	.AMDGPU.csdata,"",@progbits
; Kernel info:
; codeLenInByte = 4140
; TotalNumSgprs: 48
; NumVgprs: 128
; ScratchSize: 76
; MemoryBound: 1
; FloatMode: 240
; IeeeMode: 1
; LDSByteSize: 16416 bytes/workgroup (compile time only)
; SGPRBlocks: 12
; VGPRBlocks: 31
; NumSGPRsForWavesPerEU: 97
; NumVGPRsForWavesPerEU: 128
; Occupancy: 2
; WaveLimiterHint : 0
; COMPUTE_PGM_RSRC2:SCRATCH_EN: 1
; COMPUTE_PGM_RSRC2:USER_SGPR: 6
; COMPUTE_PGM_RSRC2:TRAP_HANDLER: 0
; COMPUTE_PGM_RSRC2:TGID_X_EN: 1
; COMPUTE_PGM_RSRC2:TGID_Y_EN: 0
; COMPUTE_PGM_RSRC2:TGID_Z_EN: 0
; COMPUTE_PGM_RSRC2:TIDIG_COMP_CNT: 0
	.section	.text._Z11rank_kernelIxLj4ELb0EL18RadixRankAlgorithm2ELj512ELj32ELj10EEvPKT_Pi,"axG",@progbits,_Z11rank_kernelIxLj4ELb0EL18RadixRankAlgorithm2ELj512ELj32ELj10EEvPKT_Pi,comdat
	.protected	_Z11rank_kernelIxLj4ELb0EL18RadixRankAlgorithm2ELj512ELj32ELj10EEvPKT_Pi ; -- Begin function _Z11rank_kernelIxLj4ELb0EL18RadixRankAlgorithm2ELj512ELj32ELj10EEvPKT_Pi
	.globl	_Z11rank_kernelIxLj4ELb0EL18RadixRankAlgorithm2ELj512ELj32ELj10EEvPKT_Pi
	.p2align	8
	.type	_Z11rank_kernelIxLj4ELb0EL18RadixRankAlgorithm2ELj512ELj32ELj10EEvPKT_Pi,@function
_Z11rank_kernelIxLj4ELb0EL18RadixRankAlgorithm2ELj512ELj32ELj10EEvPKT_Pi: ; @_Z11rank_kernelIxLj4ELb0EL18RadixRankAlgorithm2ELj512ELj32ELj10EEvPKT_Pi
; %bb.0:
	s_mov_b64 s[42:43], s[2:3]
	s_mov_b64 s[40:41], s[0:1]
	s_load_dwordx4 s[28:31], s[4:5], 0x0
	s_load_dword s20, s[4:5], 0x1c
	s_add_u32 s40, s40, s7
	s_addc_u32 s41, s41, 0
	s_lshl_b32 s34, s6, 14
	s_mov_b32 s35, 0
	s_lshl_b64 s[0:1], s[34:35], 3
	s_waitcnt lgkmcnt(0)
	s_add_u32 s0, s28, s0
	s_addc_u32 s1, s29, s1
	v_lshlrev_b32_e32 v3, 8, v0
	global_load_dwordx4 v[10:13], v3, s[0:1]
	global_load_dwordx4 v[18:21], v3, s[0:1] offset:16
	global_load_dwordx4 v[29:32], v3, s[0:1] offset:32
	;; [unrolled: 1-line block ×15, first 2 shown]
	v_mbcnt_lo_u32_b32 v3, -1, 0
	v_lshlrev_b32_e32 v4, 5, v0
	buffer_store_dword v4, off, s[40:43], 0 offset:168 ; 4-byte Folded Spill
	v_mbcnt_hi_u32_b32 v3, -1, v3
	v_or_b32_e32 v4, 63, v0
	v_cmp_eq_u32_e64 s[2:3], v0, v4
	v_subrev_co_u32_e64 v4, s[4:5], 1, v3
	v_and_b32_e32 v8, 64, v3
	v_cmp_lt_i32_e64 s[18:19], v4, v8
	v_and_b32_e32 v6, 15, v3
	v_and_b32_e32 v7, 16, v3
	v_cmp_lt_u32_e64 s[6:7], 31, v3
	v_and_b32_e32 v9, 7, v3
	v_cndmask_b32_e64 v3, v4, v3, s[18:19]
	s_lshr_b32 s18, s20, 16
	s_and_b32 s19, s20, 0xffff
	v_mad_u32_u24 v1, v2, s18, v1
	v_lshlrev_b32_e32 v72, 2, v0
	v_cmp_gt_u32_e32 vcc, 8, v0
	v_cmp_lt_u32_e64 s[0:1], 63, v0
	v_lshrrev_b32_e32 v5, 4, v0
	v_mad_u64_u32 v[0:1], s[18:19], v1, s19, v[0:1]
	v_lshlrev_b32_e32 v1, 2, v3
	v_cmp_eq_u32_e64 s[8:9], 0, v6
	v_lshrrev_b32_e32 v0, 4, v0
	v_cmp_lt_u32_e64 s[10:11], 1, v6
	v_cmp_lt_u32_e64 s[12:13], 3, v6
	;; [unrolled: 1-line block ×3, first 2 shown]
	v_cmp_eq_u32_e64 s[16:17], 0, v7
	v_cmp_eq_u32_e64 s[18:19], 0, v9
	v_cmp_lt_u32_e64 s[20:21], 1, v9
	v_cmp_lt_u32_e64 s[22:23], 3, v9
	s_mov_b32 s33, s35
	s_waitcnt vmcnt(16)
	v_xor_b32_e32 v11, 0x80000000, v11
	v_xor_b32_e32 v13, 0x80000000, v13
	s_waitcnt vmcnt(15)
	v_xor_b32_e32 v19, 0x80000000, v19
	v_xor_b32_e32 v21, 0x80000000, v21
	s_waitcnt vmcnt(14)
	v_xor_b32_e32 v30, 0x80000000, v30
	v_xor_b32_e32 v32, 0x80000000, v32
	s_waitcnt vmcnt(10)
	v_xor_b32_e32 v50, 0x80000000, v50
	v_xor_b32_e32 v52, 0x80000000, v52
	v_mov_b32_e32 v47, v49
	s_waitcnt vmcnt(9)
	v_xor_b32_e32 v54, 0x80000000, v54
	v_mov_b32_e32 v48, v50
	v_mov_b32_e32 v49, v51
	;; [unrolled: 1-line block ×3, first 2 shown]
	v_xor_b32_e32 v56, 0x80000000, v56
	v_mov_b32_e32 v51, v53
	s_waitcnt vmcnt(8)
	v_xor_b32_e32 v58, 0x80000000, v58
	v_xor_b32_e32 v34, 0x80000000, v34
	;; [unrolled: 1-line block ×7, first 2 shown]
	v_mov_b32_e32 v52, v54
	v_mov_b32_e32 v53, v55
	;; [unrolled: 1-line block ×3, first 2 shown]
	v_xor_b32_e32 v60, 0x80000000, v60
	v_mov_b32_e32 v55, v57
	s_waitcnt vmcnt(7)
	v_xor_b32_e32 v62, 0x80000000, v62
	buffer_store_dword v10, off, s[40:43], 0 ; 4-byte Folded Spill
	s_nop 0
	buffer_store_dword v11, off, s[40:43], 0 offset:4 ; 4-byte Folded Spill
	buffer_store_dword v12, off, s[40:43], 0 offset:8 ; 4-byte Folded Spill
	buffer_store_dword v13, off, s[40:43], 0 offset:12 ; 4-byte Folded Spill
	buffer_store_dword v18, off, s[40:43], 0 offset:16 ; 4-byte Folded Spill
	s_nop 0
	buffer_store_dword v19, off, s[40:43], 0 offset:20 ; 4-byte Folded Spill
	buffer_store_dword v20, off, s[40:43], 0 offset:24 ; 4-byte Folded Spill
	buffer_store_dword v21, off, s[40:43], 0 offset:28 ; 4-byte Folded Spill
	buffer_store_dword v29, off, s[40:43], 0 offset:32 ; 4-byte Folded Spill
	;; [unrolled: 5-line block ×5, first 2 shown]
	s_nop 0
	buffer_store_dword v42, off, s[40:43], 0 offset:84 ; 4-byte Folded Spill
	buffer_store_dword v43, off, s[40:43], 0 offset:88 ; 4-byte Folded Spill
	;; [unrolled: 1-line block ×3, first 2 shown]
	v_mov_b32_e32 v56, v58
	v_mov_b32_e32 v57, v59
	;; [unrolled: 1-line block ×3, first 2 shown]
	v_xor_b32_e32 v64, 0x80000000, v64
	v_mov_b32_e32 v59, v61
	s_waitcnt vmcnt(30)
	v_xor_b32_e32 v17, 0x80000000, v17
	v_mov_b32_e32 v60, v62
	v_mov_b32_e32 v61, v63
	;; [unrolled: 1-line block ×3, first 2 shown]
	v_xor_b32_e32 v15, 0x80000000, v15
	v_mov_b32_e32 v66, v17
	s_waitcnt vmcnt(28)
	v_xor_b32_e32 v68, 0x80000000, v68
	v_xor_b32_e32 v70, 0x80000000, v70
	v_mov_b32_e32 v29, v67
	s_waitcnt vmcnt(27)
	v_xor_b32_e32 v74, 0x80000000, v74
	;; [unrolled: 4-line block ×4, first 2 shown]
	v_xor_b32_e32 v84, 0x80000000, v84
	v_mov_b32_e32 v41, v81
	v_mov_b32_e32 v65, v16
	;; [unrolled: 1-line block ×4, first 2 shown]
	v_xor_b32_e32 v26, 0x80000000, v26
	v_xor_b32_e32 v28, 0x80000000, v28
	v_mov_b32_e32 v30, v68
	v_mov_b32_e32 v31, v69
	;; [unrolled: 1-line block ×12, first 2 shown]
	buffer_store_dword v1, off, s[40:43], 0 offset:160 ; 4-byte Folded Spill
	v_and_b32_e32 v1, 28, v5
	v_and_b32_e32 v68, 0xffffffc, v0
	v_mov_b32_e32 v0, 0
	buffer_store_dword v1, off, s[40:43], 0 offset:164 ; 4-byte Folded Spill
	s_branch .LBB134_2
.LBB134_1:                              ;   in Loop: Header=BB134_2 Depth=1
	s_add_i32 s33, s33, 1
	s_cmp_eq_u32 s33, 10
	s_cbranch_scc1 .LBB134_74
.LBB134_2:                              ; =>This Loop Header: Depth=1
                                        ;     Child Loop BB134_4 Depth 2
	s_mov_b64 s[28:29], 60
	s_mov_b32 s36, -4
	s_branch .LBB134_4
.LBB134_3:                              ;   in Loop: Header=BB134_4 Depth=2
	s_or_b64 exec, exec, s[24:25]
	buffer_load_dword v21, off, s[40:43], 0 offset:160 ; 4-byte Folded Reload
	s_waitcnt lgkmcnt(0)
	v_add_u32_e32 v1, v2, v1
	s_add_i32 s36, s36, 4
	s_add_u32 s28, s28, -4
	s_addc_u32 s29, s29, -1
	s_cmp_lt_u32 s36, 60
	s_waitcnt vmcnt(0)
	ds_bpermute_b32 v1, v21, v1
	s_waitcnt lgkmcnt(0)
	v_cndmask_b32_e64 v1, v1, v2, s[4:5]
	ds_write_b32 v72, v1 offset:32
	s_waitcnt lgkmcnt(0)
	s_barrier
	s_cbranch_scc0 .LBB134_1
.LBB134_4:                              ;   Parent Loop BB134_2 Depth=1
                                        ; =>  This Inner Loop Header: Depth=2
	ds_write_b32 v72, v0 offset:32
	s_waitcnt vmcnt(0) lgkmcnt(0)
	s_barrier
	buffer_load_dword v1, off, s[40:43], 0  ; 4-byte Folded Reload
	buffer_load_dword v2, off, s[40:43], 0 offset:4 ; 4-byte Folded Reload
	buffer_load_dword v3, off, s[40:43], 0 offset:8 ; 4-byte Folded Reload
	;; [unrolled: 1-line block ×3, first 2 shown]
	s_waitcnt vmcnt(1)
	; wave barrier
	v_lshlrev_b64 v[2:3], s28, v[1:2]
	v_bfe_u32 v1, v3, 28, 1
	v_add_co_u32_e64 v5, s[24:25], -1, v1
	v_addc_co_u32_e64 v6, s[24:25], 0, -1, s[24:25]
	v_cmp_ne_u32_e64 s[24:25], 0, v1
	s_waitcnt vmcnt(0)
	v_lshrrev_b32_e32 v4, 28, v3
	v_xor_b32_e32 v1, s25, v6
	v_and_b32_e32 v6, exec_hi, v1
	v_lshlrev_b32_e32 v1, 30, v4
	v_xor_b32_e32 v5, s24, v5
	v_cmp_gt_i64_e64 s[24:25], 0, v[0:1]
	v_not_b32_e32 v1, v1
	v_ashrrev_i32_e32 v1, 31, v1
	v_and_b32_e32 v5, exec_lo, v5
	v_xor_b32_e32 v7, s25, v1
	v_xor_b32_e32 v1, s24, v1
	v_and_b32_e32 v5, v5, v1
	v_lshlrev_b32_e32 v1, 29, v4
	v_cmp_gt_i64_e64 s[24:25], 0, v[0:1]
	v_not_b32_e32 v1, v1
	v_ashrrev_i32_e32 v1, 31, v1
	v_mul_u32_u24_e32 v45, 36, v4
	v_xor_b32_e32 v4, s25, v1
	v_xor_b32_e32 v1, s24, v1
	v_cmp_gt_i64_e64 s[24:25], 0, v[2:3]
	v_not_b32_e32 v2, v3
	v_ashrrev_i32_e32 v2, 31, v2
	v_and_b32_e32 v6, v6, v7
	v_and_b32_e32 v1, v5, v1
	v_xor_b32_e32 v5, s24, v2
	v_and_b32_e32 v4, v6, v4
	v_xor_b32_e32 v3, s25, v2
	v_and_b32_e32 v1, v1, v5
	v_and_b32_e32 v2, v4, v3
	v_mbcnt_lo_u32_b32 v3, v1, 0
	v_mbcnt_hi_u32_b32 v70, v2, v3
	v_cmp_ne_u64_e64 s[24:25], 0, v[1:2]
	v_cmp_eq_u32_e64 s[26:27], 0, v70
	s_and_b64 s[26:27], s[24:25], s[26:27]
	s_and_saveexec_b64 s[24:25], s[26:27]
; %bb.5:                                ;   in Loop: Header=BB134_4 Depth=2
	v_bcnt_u32_b32 v1, v1, 0
	v_bcnt_u32_b32 v1, v2, v1
	v_add_u32_e32 v2, v68, v45
	ds_write_b32 v2, v1 offset:32
; %bb.6:                                ;   in Loop: Header=BB134_4 Depth=2
	s_or_b64 exec, exec, s[24:25]
	; wave barrier
	buffer_load_dword v1, off, s[40:43], 0  ; 4-byte Folded Reload
	buffer_load_dword v2, off, s[40:43], 0 offset:4 ; 4-byte Folded Reload
	buffer_load_dword v3, off, s[40:43], 0 offset:8 ; 4-byte Folded Reload
	;; [unrolled: 1-line block ×3, first 2 shown]
	s_waitcnt vmcnt(0)
	v_lshlrev_b64 v[2:3], s28, v[3:4]
	v_lshrrev_b32_e32 v4, 28, v3
	v_mul_u32_u24_e32 v1, 36, v4
	buffer_store_dword v1, off, s[40:43], 0 offset:96 ; 4-byte Folded Spill
	v_mad_u32_u24 v1, v4, 36, v68
	ds_read_b32 v46, v1 offset:32
	v_bfe_u32 v1, v3, 28, 1
	v_add_co_u32_e64 v5, s[24:25], -1, v1
	v_addc_co_u32_e64 v6, s[24:25], 0, -1, s[24:25]
	v_cmp_ne_u32_e64 s[24:25], 0, v1
	v_xor_b32_e32 v1, s25, v6
	v_and_b32_e32 v6, exec_hi, v1
	v_lshlrev_b32_e32 v1, 30, v4
	v_xor_b32_e32 v5, s24, v5
	v_cmp_gt_i64_e64 s[24:25], 0, v[0:1]
	v_not_b32_e32 v1, v1
	v_ashrrev_i32_e32 v1, 31, v1
	v_and_b32_e32 v5, exec_lo, v5
	v_xor_b32_e32 v7, s25, v1
	v_xor_b32_e32 v1, s24, v1
	v_and_b32_e32 v5, v5, v1
	v_lshlrev_b32_e32 v1, 29, v4
	v_cmp_gt_i64_e64 s[24:25], 0, v[0:1]
	v_not_b32_e32 v1, v1
	v_ashrrev_i32_e32 v1, 31, v1
	v_xor_b32_e32 v4, s25, v1
	v_xor_b32_e32 v1, s24, v1
	v_cmp_gt_i64_e64 s[24:25], 0, v[2:3]
	v_not_b32_e32 v2, v3
	v_ashrrev_i32_e32 v2, 31, v2
	v_and_b32_e32 v6, v6, v7
	v_and_b32_e32 v1, v5, v1
	v_xor_b32_e32 v5, s24, v2
	v_and_b32_e32 v4, v6, v4
	v_xor_b32_e32 v3, s25, v2
	v_and_b32_e32 v1, v1, v5
	v_and_b32_e32 v2, v4, v3
	v_mbcnt_lo_u32_b32 v3, v1, 0
	v_mbcnt_hi_u32_b32 v74, v2, v3
	v_cmp_ne_u64_e64 s[24:25], 0, v[1:2]
	v_cmp_eq_u32_e64 s[26:27], 0, v74
	s_and_b64 s[26:27], s[24:25], s[26:27]
	; wave barrier
	s_and_saveexec_b64 s[24:25], s[26:27]
	s_cbranch_execz .LBB134_8
; %bb.7:                                ;   in Loop: Header=BB134_4 Depth=2
	v_bcnt_u32_b32 v1, v1, 0
	v_bcnt_u32_b32 v1, v2, v1
	buffer_load_dword v2, off, s[40:43], 0 offset:96 ; 4-byte Folded Reload
	s_waitcnt lgkmcnt(0)
	v_add_u32_e32 v1, v46, v1
	s_waitcnt vmcnt(0)
	v_add_u32_e32 v2, v68, v2
	ds_write_b32 v2, v1 offset:32
.LBB134_8:                              ;   in Loop: Header=BB134_4 Depth=2
	s_or_b64 exec, exec, s[24:25]
	; wave barrier
	buffer_load_dword v1, off, s[40:43], 0 offset:16 ; 4-byte Folded Reload
	buffer_load_dword v2, off, s[40:43], 0 offset:20 ; 4-byte Folded Reload
	;; [unrolled: 1-line block ×4, first 2 shown]
	s_waitcnt vmcnt(1)
	v_lshlrev_b64 v[2:3], s28, v[1:2]
	s_waitcnt vmcnt(0)
	v_lshrrev_b32_e32 v4, 28, v3
	v_mul_u32_u24_e32 v1, 36, v4
	buffer_store_dword v1, off, s[40:43], 0 offset:104 ; 4-byte Folded Spill
	v_mad_u32_u24 v1, v4, 36, v68
	ds_read_b32 v1, v1 offset:32
	s_waitcnt lgkmcnt(0)
	buffer_store_dword v1, off, s[40:43], 0 offset:100 ; 4-byte Folded Spill
	v_bfe_u32 v1, v3, 28, 1
	v_add_co_u32_e64 v5, s[24:25], -1, v1
	v_addc_co_u32_e64 v6, s[24:25], 0, -1, s[24:25]
	v_cmp_ne_u32_e64 s[24:25], 0, v1
	v_xor_b32_e32 v1, s25, v6
	v_and_b32_e32 v6, exec_hi, v1
	v_lshlrev_b32_e32 v1, 30, v4
	v_xor_b32_e32 v5, s24, v5
	v_cmp_gt_i64_e64 s[24:25], 0, v[0:1]
	v_not_b32_e32 v1, v1
	v_ashrrev_i32_e32 v1, 31, v1
	v_and_b32_e32 v5, exec_lo, v5
	v_xor_b32_e32 v7, s25, v1
	v_xor_b32_e32 v1, s24, v1
	v_and_b32_e32 v5, v5, v1
	v_lshlrev_b32_e32 v1, 29, v4
	v_cmp_gt_i64_e64 s[24:25], 0, v[0:1]
	v_not_b32_e32 v1, v1
	v_ashrrev_i32_e32 v1, 31, v1
	v_xor_b32_e32 v4, s25, v1
	v_xor_b32_e32 v1, s24, v1
	v_cmp_gt_i64_e64 s[24:25], 0, v[2:3]
	v_not_b32_e32 v2, v3
	v_ashrrev_i32_e32 v2, 31, v2
	v_and_b32_e32 v6, v6, v7
	v_and_b32_e32 v1, v5, v1
	v_xor_b32_e32 v5, s24, v2
	v_and_b32_e32 v4, v6, v4
	v_xor_b32_e32 v3, s25, v2
	v_and_b32_e32 v1, v1, v5
	v_and_b32_e32 v2, v4, v3
	v_mbcnt_lo_u32_b32 v3, v1, 0
	v_mbcnt_hi_u32_b32 v79, v2, v3
	v_cmp_ne_u64_e64 s[24:25], 0, v[1:2]
	v_cmp_eq_u32_e64 s[26:27], 0, v79
	s_and_b64 s[26:27], s[24:25], s[26:27]
	; wave barrier
	s_and_saveexec_b64 s[24:25], s[26:27]
	s_cbranch_execz .LBB134_10
; %bb.9:                                ;   in Loop: Header=BB134_4 Depth=2
	v_bcnt_u32_b32 v1, v1, 0
	v_bcnt_u32_b32 v1, v2, v1
	buffer_load_dword v2, off, s[40:43], 0 offset:100 ; 4-byte Folded Reload
	s_waitcnt vmcnt(0)
	v_add_u32_e32 v1, v2, v1
	buffer_load_dword v2, off, s[40:43], 0 offset:104 ; 4-byte Folded Reload
	s_waitcnt vmcnt(0)
	v_add_u32_e32 v2, v68, v2
	ds_write_b32 v2, v1 offset:32
.LBB134_10:                             ;   in Loop: Header=BB134_4 Depth=2
	s_or_b64 exec, exec, s[24:25]
	; wave barrier
	buffer_load_dword v1, off, s[40:43], 0 offset:16 ; 4-byte Folded Reload
	buffer_load_dword v2, off, s[40:43], 0 offset:20 ; 4-byte Folded Reload
	;; [unrolled: 1-line block ×4, first 2 shown]
	s_waitcnt vmcnt(0)
	v_lshlrev_b64 v[2:3], s28, v[3:4]
	v_lshrrev_b32_e32 v4, 28, v3
	v_mul_u32_u24_e32 v1, 36, v4
	buffer_store_dword v1, off, s[40:43], 0 offset:112 ; 4-byte Folded Spill
	v_mad_u32_u24 v1, v4, 36, v68
	ds_read_b32 v1, v1 offset:32
	s_waitcnt lgkmcnt(0)
	buffer_store_dword v1, off, s[40:43], 0 offset:108 ; 4-byte Folded Spill
	v_bfe_u32 v1, v3, 28, 1
	v_add_co_u32_e64 v5, s[24:25], -1, v1
	v_addc_co_u32_e64 v6, s[24:25], 0, -1, s[24:25]
	v_cmp_ne_u32_e64 s[24:25], 0, v1
	v_xor_b32_e32 v1, s25, v6
	v_and_b32_e32 v6, exec_hi, v1
	v_lshlrev_b32_e32 v1, 30, v4
	v_xor_b32_e32 v5, s24, v5
	v_cmp_gt_i64_e64 s[24:25], 0, v[0:1]
	v_not_b32_e32 v1, v1
	v_ashrrev_i32_e32 v1, 31, v1
	v_and_b32_e32 v5, exec_lo, v5
	v_xor_b32_e32 v7, s25, v1
	v_xor_b32_e32 v1, s24, v1
	v_and_b32_e32 v5, v5, v1
	v_lshlrev_b32_e32 v1, 29, v4
	v_cmp_gt_i64_e64 s[24:25], 0, v[0:1]
	v_not_b32_e32 v1, v1
	v_ashrrev_i32_e32 v1, 31, v1
	v_xor_b32_e32 v4, s25, v1
	v_xor_b32_e32 v1, s24, v1
	v_cmp_gt_i64_e64 s[24:25], 0, v[2:3]
	v_not_b32_e32 v2, v3
	v_ashrrev_i32_e32 v2, 31, v2
	v_and_b32_e32 v6, v6, v7
	v_and_b32_e32 v1, v5, v1
	v_xor_b32_e32 v5, s24, v2
	v_and_b32_e32 v4, v6, v4
	v_xor_b32_e32 v3, s25, v2
	v_and_b32_e32 v1, v1, v5
	v_and_b32_e32 v2, v4, v3
	v_mbcnt_lo_u32_b32 v3, v1, 0
	v_mbcnt_hi_u32_b32 v82, v2, v3
	v_cmp_ne_u64_e64 s[24:25], 0, v[1:2]
	v_cmp_eq_u32_e64 s[26:27], 0, v82
	s_and_b64 s[26:27], s[24:25], s[26:27]
	; wave barrier
	s_and_saveexec_b64 s[24:25], s[26:27]
	s_cbranch_execz .LBB134_12
; %bb.11:                               ;   in Loop: Header=BB134_4 Depth=2
	v_bcnt_u32_b32 v1, v1, 0
	v_bcnt_u32_b32 v1, v2, v1
	buffer_load_dword v2, off, s[40:43], 0 offset:108 ; 4-byte Folded Reload
	s_waitcnt vmcnt(0)
	v_add_u32_e32 v1, v2, v1
	buffer_load_dword v2, off, s[40:43], 0 offset:112 ; 4-byte Folded Reload
	s_waitcnt vmcnt(0)
	v_add_u32_e32 v2, v68, v2
	ds_write_b32 v2, v1 offset:32
.LBB134_12:                             ;   in Loop: Header=BB134_4 Depth=2
	s_or_b64 exec, exec, s[24:25]
	; wave barrier
	buffer_load_dword v1, off, s[40:43], 0 offset:32 ; 4-byte Folded Reload
	buffer_load_dword v2, off, s[40:43], 0 offset:36 ; 4-byte Folded Reload
	;; [unrolled: 1-line block ×4, first 2 shown]
	s_waitcnt vmcnt(1)
	v_lshlrev_b64 v[2:3], s28, v[1:2]
	s_waitcnt vmcnt(0)
	v_lshrrev_b32_e32 v4, 28, v3
	v_mul_u32_u24_e32 v1, 36, v4
	buffer_store_dword v1, off, s[40:43], 0 offset:120 ; 4-byte Folded Spill
	v_mad_u32_u24 v1, v4, 36, v68
	ds_read_b32 v1, v1 offset:32
	s_waitcnt lgkmcnt(0)
	buffer_store_dword v1, off, s[40:43], 0 offset:116 ; 4-byte Folded Spill
	v_bfe_u32 v1, v3, 28, 1
	v_add_co_u32_e64 v5, s[24:25], -1, v1
	v_addc_co_u32_e64 v6, s[24:25], 0, -1, s[24:25]
	v_cmp_ne_u32_e64 s[24:25], 0, v1
	v_xor_b32_e32 v1, s25, v6
	v_and_b32_e32 v6, exec_hi, v1
	v_lshlrev_b32_e32 v1, 30, v4
	v_xor_b32_e32 v5, s24, v5
	v_cmp_gt_i64_e64 s[24:25], 0, v[0:1]
	v_not_b32_e32 v1, v1
	v_ashrrev_i32_e32 v1, 31, v1
	v_and_b32_e32 v5, exec_lo, v5
	v_xor_b32_e32 v7, s25, v1
	v_xor_b32_e32 v1, s24, v1
	v_and_b32_e32 v5, v5, v1
	v_lshlrev_b32_e32 v1, 29, v4
	v_cmp_gt_i64_e64 s[24:25], 0, v[0:1]
	v_not_b32_e32 v1, v1
	v_ashrrev_i32_e32 v1, 31, v1
	v_xor_b32_e32 v4, s25, v1
	v_xor_b32_e32 v1, s24, v1
	v_cmp_gt_i64_e64 s[24:25], 0, v[2:3]
	v_not_b32_e32 v2, v3
	v_ashrrev_i32_e32 v2, 31, v2
	v_and_b32_e32 v6, v6, v7
	v_and_b32_e32 v1, v5, v1
	v_xor_b32_e32 v5, s24, v2
	v_and_b32_e32 v4, v6, v4
	v_xor_b32_e32 v3, s25, v2
	v_and_b32_e32 v1, v1, v5
	v_and_b32_e32 v2, v4, v3
	v_mbcnt_lo_u32_b32 v3, v1, 0
	v_mbcnt_hi_u32_b32 v85, v2, v3
	v_cmp_ne_u64_e64 s[24:25], 0, v[1:2]
	v_cmp_eq_u32_e64 s[26:27], 0, v85
	s_and_b64 s[26:27], s[24:25], s[26:27]
	; wave barrier
	s_and_saveexec_b64 s[24:25], s[26:27]
	s_cbranch_execz .LBB134_14
; %bb.13:                               ;   in Loop: Header=BB134_4 Depth=2
	v_bcnt_u32_b32 v1, v1, 0
	v_bcnt_u32_b32 v1, v2, v1
	buffer_load_dword v2, off, s[40:43], 0 offset:116 ; 4-byte Folded Reload
	s_waitcnt vmcnt(0)
	v_add_u32_e32 v1, v2, v1
	buffer_load_dword v2, off, s[40:43], 0 offset:120 ; 4-byte Folded Reload
	s_waitcnt vmcnt(0)
	v_add_u32_e32 v2, v68, v2
	ds_write_b32 v2, v1 offset:32
.LBB134_14:                             ;   in Loop: Header=BB134_4 Depth=2
	s_or_b64 exec, exec, s[24:25]
	; wave barrier
	buffer_load_dword v1, off, s[40:43], 0 offset:32 ; 4-byte Folded Reload
	buffer_load_dword v2, off, s[40:43], 0 offset:36 ; 4-byte Folded Reload
	;; [unrolled: 1-line block ×4, first 2 shown]
	s_waitcnt vmcnt(0)
	v_lshlrev_b64 v[2:3], s28, v[3:4]
	v_lshrrev_b32_e32 v4, 28, v3
	v_mul_u32_u24_e32 v1, 36, v4
	buffer_store_dword v1, off, s[40:43], 0 offset:128 ; 4-byte Folded Spill
	v_mad_u32_u24 v1, v4, 36, v68
	ds_read_b32 v1, v1 offset:32
	s_waitcnt lgkmcnt(0)
	buffer_store_dword v1, off, s[40:43], 0 offset:124 ; 4-byte Folded Spill
	v_bfe_u32 v1, v3, 28, 1
	v_add_co_u32_e64 v5, s[24:25], -1, v1
	v_addc_co_u32_e64 v6, s[24:25], 0, -1, s[24:25]
	v_cmp_ne_u32_e64 s[24:25], 0, v1
	v_xor_b32_e32 v1, s25, v6
	v_and_b32_e32 v6, exec_hi, v1
	v_lshlrev_b32_e32 v1, 30, v4
	v_xor_b32_e32 v5, s24, v5
	v_cmp_gt_i64_e64 s[24:25], 0, v[0:1]
	v_not_b32_e32 v1, v1
	v_ashrrev_i32_e32 v1, 31, v1
	v_and_b32_e32 v5, exec_lo, v5
	v_xor_b32_e32 v7, s25, v1
	v_xor_b32_e32 v1, s24, v1
	v_and_b32_e32 v5, v5, v1
	v_lshlrev_b32_e32 v1, 29, v4
	v_cmp_gt_i64_e64 s[24:25], 0, v[0:1]
	v_not_b32_e32 v1, v1
	v_ashrrev_i32_e32 v1, 31, v1
	v_xor_b32_e32 v4, s25, v1
	v_xor_b32_e32 v1, s24, v1
	v_cmp_gt_i64_e64 s[24:25], 0, v[2:3]
	v_not_b32_e32 v2, v3
	v_ashrrev_i32_e32 v2, 31, v2
	v_and_b32_e32 v6, v6, v7
	v_and_b32_e32 v1, v5, v1
	v_xor_b32_e32 v5, s24, v2
	v_and_b32_e32 v4, v6, v4
	v_xor_b32_e32 v3, s25, v2
	v_and_b32_e32 v1, v1, v5
	v_and_b32_e32 v2, v4, v3
	v_mbcnt_lo_u32_b32 v3, v1, 0
	v_mbcnt_hi_u32_b32 v88, v2, v3
	v_cmp_ne_u64_e64 s[24:25], 0, v[1:2]
	v_cmp_eq_u32_e64 s[26:27], 0, v88
	s_and_b64 s[26:27], s[24:25], s[26:27]
	; wave barrier
	s_and_saveexec_b64 s[24:25], s[26:27]
	s_cbranch_execz .LBB134_16
; %bb.15:                               ;   in Loop: Header=BB134_4 Depth=2
	v_bcnt_u32_b32 v1, v1, 0
	v_bcnt_u32_b32 v1, v2, v1
	buffer_load_dword v2, off, s[40:43], 0 offset:124 ; 4-byte Folded Reload
	s_waitcnt vmcnt(0)
	v_add_u32_e32 v1, v2, v1
	buffer_load_dword v2, off, s[40:43], 0 offset:128 ; 4-byte Folded Reload
	s_waitcnt vmcnt(0)
	v_add_u32_e32 v2, v68, v2
	ds_write_b32 v2, v1 offset:32
.LBB134_16:                             ;   in Loop: Header=BB134_4 Depth=2
	s_or_b64 exec, exec, s[24:25]
	; wave barrier
	buffer_load_dword v1, off, s[40:43], 0 offset:48 ; 4-byte Folded Reload
	buffer_load_dword v2, off, s[40:43], 0 offset:52 ; 4-byte Folded Reload
	;; [unrolled: 1-line block ×4, first 2 shown]
	s_waitcnt vmcnt(1)
	v_lshlrev_b64 v[2:3], s28, v[1:2]
	s_waitcnt vmcnt(0)
	v_lshrrev_b32_e32 v4, 28, v3
	v_mul_u32_u24_e32 v1, 36, v4
	buffer_store_dword v1, off, s[40:43], 0 offset:136 ; 4-byte Folded Spill
	v_mad_u32_u24 v1, v4, 36, v68
	ds_read_b32 v1, v1 offset:32
	s_waitcnt lgkmcnt(0)
	buffer_store_dword v1, off, s[40:43], 0 offset:132 ; 4-byte Folded Spill
	v_bfe_u32 v1, v3, 28, 1
	v_add_co_u32_e64 v5, s[24:25], -1, v1
	v_addc_co_u32_e64 v6, s[24:25], 0, -1, s[24:25]
	v_cmp_ne_u32_e64 s[24:25], 0, v1
	v_xor_b32_e32 v1, s25, v6
	v_and_b32_e32 v6, exec_hi, v1
	v_lshlrev_b32_e32 v1, 30, v4
	v_xor_b32_e32 v5, s24, v5
	v_cmp_gt_i64_e64 s[24:25], 0, v[0:1]
	v_not_b32_e32 v1, v1
	v_ashrrev_i32_e32 v1, 31, v1
	v_and_b32_e32 v5, exec_lo, v5
	v_xor_b32_e32 v7, s25, v1
	v_xor_b32_e32 v1, s24, v1
	v_and_b32_e32 v5, v5, v1
	v_lshlrev_b32_e32 v1, 29, v4
	v_cmp_gt_i64_e64 s[24:25], 0, v[0:1]
	v_not_b32_e32 v1, v1
	v_ashrrev_i32_e32 v1, 31, v1
	v_xor_b32_e32 v4, s25, v1
	v_xor_b32_e32 v1, s24, v1
	v_cmp_gt_i64_e64 s[24:25], 0, v[2:3]
	v_not_b32_e32 v2, v3
	v_ashrrev_i32_e32 v2, 31, v2
	v_and_b32_e32 v6, v6, v7
	v_and_b32_e32 v1, v5, v1
	v_xor_b32_e32 v5, s24, v2
	v_and_b32_e32 v4, v6, v4
	v_xor_b32_e32 v3, s25, v2
	v_and_b32_e32 v1, v1, v5
	v_and_b32_e32 v2, v4, v3
	v_mbcnt_lo_u32_b32 v3, v1, 0
	v_mbcnt_hi_u32_b32 v91, v2, v3
	v_cmp_ne_u64_e64 s[24:25], 0, v[1:2]
	v_cmp_eq_u32_e64 s[26:27], 0, v91
	s_and_b64 s[26:27], s[24:25], s[26:27]
	; wave barrier
	s_and_saveexec_b64 s[24:25], s[26:27]
	s_cbranch_execz .LBB134_18
; %bb.17:                               ;   in Loop: Header=BB134_4 Depth=2
	v_bcnt_u32_b32 v1, v1, 0
	v_bcnt_u32_b32 v1, v2, v1
	buffer_load_dword v2, off, s[40:43], 0 offset:132 ; 4-byte Folded Reload
	s_waitcnt vmcnt(0)
	v_add_u32_e32 v1, v2, v1
	buffer_load_dword v2, off, s[40:43], 0 offset:136 ; 4-byte Folded Reload
	s_waitcnt vmcnt(0)
	v_add_u32_e32 v2, v68, v2
	ds_write_b32 v2, v1 offset:32
.LBB134_18:                             ;   in Loop: Header=BB134_4 Depth=2
	s_or_b64 exec, exec, s[24:25]
	; wave barrier
	buffer_load_dword v1, off, s[40:43], 0 offset:48 ; 4-byte Folded Reload
	buffer_load_dword v2, off, s[40:43], 0 offset:52 ; 4-byte Folded Reload
	;; [unrolled: 1-line block ×4, first 2 shown]
	s_waitcnt vmcnt(0)
	v_lshlrev_b64 v[2:3], s28, v[3:4]
	v_lshrrev_b32_e32 v4, 28, v3
	v_mul_u32_u24_e32 v1, 36, v4
	buffer_store_dword v1, off, s[40:43], 0 offset:144 ; 4-byte Folded Spill
	v_mad_u32_u24 v1, v4, 36, v68
	ds_read_b32 v1, v1 offset:32
	s_waitcnt lgkmcnt(0)
	buffer_store_dword v1, off, s[40:43], 0 offset:140 ; 4-byte Folded Spill
	v_bfe_u32 v1, v3, 28, 1
	v_add_co_u32_e64 v5, s[24:25], -1, v1
	v_addc_co_u32_e64 v6, s[24:25], 0, -1, s[24:25]
	v_cmp_ne_u32_e64 s[24:25], 0, v1
	v_xor_b32_e32 v1, s25, v6
	v_and_b32_e32 v6, exec_hi, v1
	v_lshlrev_b32_e32 v1, 30, v4
	v_xor_b32_e32 v5, s24, v5
	v_cmp_gt_i64_e64 s[24:25], 0, v[0:1]
	v_not_b32_e32 v1, v1
	v_ashrrev_i32_e32 v1, 31, v1
	v_and_b32_e32 v5, exec_lo, v5
	v_xor_b32_e32 v7, s25, v1
	v_xor_b32_e32 v1, s24, v1
	v_and_b32_e32 v5, v5, v1
	v_lshlrev_b32_e32 v1, 29, v4
	v_cmp_gt_i64_e64 s[24:25], 0, v[0:1]
	v_not_b32_e32 v1, v1
	v_ashrrev_i32_e32 v1, 31, v1
	v_xor_b32_e32 v4, s25, v1
	v_xor_b32_e32 v1, s24, v1
	v_cmp_gt_i64_e64 s[24:25], 0, v[2:3]
	v_not_b32_e32 v2, v3
	v_ashrrev_i32_e32 v2, 31, v2
	v_and_b32_e32 v6, v6, v7
	v_and_b32_e32 v1, v5, v1
	v_xor_b32_e32 v5, s24, v2
	v_and_b32_e32 v4, v6, v4
	v_xor_b32_e32 v3, s25, v2
	v_and_b32_e32 v1, v1, v5
	v_and_b32_e32 v2, v4, v3
	v_mbcnt_lo_u32_b32 v3, v1, 0
	v_mbcnt_hi_u32_b32 v94, v2, v3
	v_cmp_ne_u64_e64 s[24:25], 0, v[1:2]
	v_cmp_eq_u32_e64 s[26:27], 0, v94
	s_and_b64 s[26:27], s[24:25], s[26:27]
	; wave barrier
	s_and_saveexec_b64 s[24:25], s[26:27]
	s_cbranch_execz .LBB134_20
; %bb.19:                               ;   in Loop: Header=BB134_4 Depth=2
	v_bcnt_u32_b32 v1, v1, 0
	v_bcnt_u32_b32 v1, v2, v1
	buffer_load_dword v2, off, s[40:43], 0 offset:140 ; 4-byte Folded Reload
	s_waitcnt vmcnt(0)
	v_add_u32_e32 v1, v2, v1
	buffer_load_dword v2, off, s[40:43], 0 offset:144 ; 4-byte Folded Reload
	s_waitcnt vmcnt(0)
	v_add_u32_e32 v2, v68, v2
	ds_write_b32 v2, v1 offset:32
.LBB134_20:                             ;   in Loop: Header=BB134_4 Depth=2
	s_or_b64 exec, exec, s[24:25]
	; wave barrier
	buffer_load_dword v1, off, s[40:43], 0 offset:64 ; 4-byte Folded Reload
	buffer_load_dword v2, off, s[40:43], 0 offset:68 ; 4-byte Folded Reload
	;; [unrolled: 1-line block ×4, first 2 shown]
	s_waitcnt vmcnt(1)
	v_lshlrev_b64 v[2:3], s28, v[1:2]
	s_waitcnt vmcnt(0)
	v_lshrrev_b32_e32 v4, 28, v3
	v_mul_u32_u24_e32 v1, 36, v4
	buffer_store_dword v1, off, s[40:43], 0 offset:152 ; 4-byte Folded Spill
	v_mad_u32_u24 v1, v4, 36, v68
	ds_read_b32 v1, v1 offset:32
	s_waitcnt lgkmcnt(0)
	buffer_store_dword v1, off, s[40:43], 0 offset:148 ; 4-byte Folded Spill
	v_bfe_u32 v1, v3, 28, 1
	v_add_co_u32_e64 v5, s[24:25], -1, v1
	v_addc_co_u32_e64 v6, s[24:25], 0, -1, s[24:25]
	v_cmp_ne_u32_e64 s[24:25], 0, v1
	v_xor_b32_e32 v1, s25, v6
	v_and_b32_e32 v6, exec_hi, v1
	v_lshlrev_b32_e32 v1, 30, v4
	v_xor_b32_e32 v5, s24, v5
	v_cmp_gt_i64_e64 s[24:25], 0, v[0:1]
	v_not_b32_e32 v1, v1
	v_ashrrev_i32_e32 v1, 31, v1
	v_and_b32_e32 v5, exec_lo, v5
	v_xor_b32_e32 v7, s25, v1
	v_xor_b32_e32 v1, s24, v1
	v_and_b32_e32 v5, v5, v1
	v_lshlrev_b32_e32 v1, 29, v4
	v_cmp_gt_i64_e64 s[24:25], 0, v[0:1]
	v_not_b32_e32 v1, v1
	v_ashrrev_i32_e32 v1, 31, v1
	v_xor_b32_e32 v4, s25, v1
	v_xor_b32_e32 v1, s24, v1
	v_cmp_gt_i64_e64 s[24:25], 0, v[2:3]
	v_not_b32_e32 v2, v3
	v_ashrrev_i32_e32 v2, 31, v2
	v_and_b32_e32 v6, v6, v7
	v_and_b32_e32 v1, v5, v1
	v_xor_b32_e32 v5, s24, v2
	v_and_b32_e32 v4, v6, v4
	v_xor_b32_e32 v3, s25, v2
	v_and_b32_e32 v1, v1, v5
	v_and_b32_e32 v2, v4, v3
	v_mbcnt_lo_u32_b32 v3, v1, 0
	v_mbcnt_hi_u32_b32 v97, v2, v3
	v_cmp_ne_u64_e64 s[24:25], 0, v[1:2]
	v_cmp_eq_u32_e64 s[26:27], 0, v97
	s_and_b64 s[26:27], s[24:25], s[26:27]
	; wave barrier
	s_and_saveexec_b64 s[24:25], s[26:27]
	s_cbranch_execz .LBB134_22
; %bb.21:                               ;   in Loop: Header=BB134_4 Depth=2
	v_bcnt_u32_b32 v1, v1, 0
	v_bcnt_u32_b32 v1, v2, v1
	buffer_load_dword v2, off, s[40:43], 0 offset:148 ; 4-byte Folded Reload
	s_waitcnt vmcnt(0)
	v_add_u32_e32 v1, v2, v1
	buffer_load_dword v2, off, s[40:43], 0 offset:152 ; 4-byte Folded Reload
	s_waitcnt vmcnt(0)
	v_add_u32_e32 v2, v68, v2
	ds_write_b32 v2, v1 offset:32
.LBB134_22:                             ;   in Loop: Header=BB134_4 Depth=2
	s_or_b64 exec, exec, s[24:25]
	; wave barrier
	buffer_load_dword v1, off, s[40:43], 0 offset:64 ; 4-byte Folded Reload
	buffer_load_dword v2, off, s[40:43], 0 offset:68 ; 4-byte Folded Reload
	;; [unrolled: 1-line block ×4, first 2 shown]
	s_waitcnt vmcnt(0)
	v_lshlrev_b64 v[2:3], s28, v[3:4]
	v_lshrrev_b32_e32 v4, 28, v3
	v_mad_u32_u24 v1, v4, 36, v68
	ds_read_b32 v1, v1 offset:32
	v_mul_u32_u24_e32 v99, 36, v4
	s_waitcnt lgkmcnt(0)
	buffer_store_dword v1, off, s[40:43], 0 offset:156 ; 4-byte Folded Spill
	v_bfe_u32 v1, v3, 28, 1
	v_add_co_u32_e64 v5, s[24:25], -1, v1
	v_addc_co_u32_e64 v6, s[24:25], 0, -1, s[24:25]
	v_cmp_ne_u32_e64 s[24:25], 0, v1
	v_xor_b32_e32 v1, s25, v6
	v_and_b32_e32 v6, exec_hi, v1
	v_lshlrev_b32_e32 v1, 30, v4
	v_xor_b32_e32 v5, s24, v5
	v_cmp_gt_i64_e64 s[24:25], 0, v[0:1]
	v_not_b32_e32 v1, v1
	v_ashrrev_i32_e32 v1, 31, v1
	v_and_b32_e32 v5, exec_lo, v5
	v_xor_b32_e32 v7, s25, v1
	v_xor_b32_e32 v1, s24, v1
	v_and_b32_e32 v5, v5, v1
	v_lshlrev_b32_e32 v1, 29, v4
	v_cmp_gt_i64_e64 s[24:25], 0, v[0:1]
	v_not_b32_e32 v1, v1
	v_ashrrev_i32_e32 v1, 31, v1
	v_xor_b32_e32 v4, s25, v1
	v_xor_b32_e32 v1, s24, v1
	v_cmp_gt_i64_e64 s[24:25], 0, v[2:3]
	v_not_b32_e32 v2, v3
	v_ashrrev_i32_e32 v2, 31, v2
	v_and_b32_e32 v6, v6, v7
	v_and_b32_e32 v1, v5, v1
	v_xor_b32_e32 v5, s24, v2
	v_and_b32_e32 v4, v6, v4
	v_xor_b32_e32 v3, s25, v2
	v_and_b32_e32 v1, v1, v5
	v_and_b32_e32 v2, v4, v3
	v_mbcnt_lo_u32_b32 v3, v1, 0
	v_mbcnt_hi_u32_b32 v100, v2, v3
	v_cmp_ne_u64_e64 s[24:25], 0, v[1:2]
	v_cmp_eq_u32_e64 s[26:27], 0, v100
	s_and_b64 s[26:27], s[24:25], s[26:27]
	; wave barrier
	s_and_saveexec_b64 s[24:25], s[26:27]
	s_cbranch_execz .LBB134_24
; %bb.23:                               ;   in Loop: Header=BB134_4 Depth=2
	v_bcnt_u32_b32 v1, v1, 0
	v_bcnt_u32_b32 v1, v2, v1
	buffer_load_dword v2, off, s[40:43], 0 offset:156 ; 4-byte Folded Reload
	s_waitcnt vmcnt(0)
	v_add_u32_e32 v1, v2, v1
	v_add_u32_e32 v2, v68, v99
	ds_write_b32 v2, v1 offset:32
.LBB134_24:                             ;   in Loop: Header=BB134_4 Depth=2
	s_or_b64 exec, exec, s[24:25]
	; wave barrier
	buffer_load_dword v1, off, s[40:43], 0 offset:80 ; 4-byte Folded Reload
	buffer_load_dword v2, off, s[40:43], 0 offset:84 ; 4-byte Folded Reload
	;; [unrolled: 1-line block ×4, first 2 shown]
	s_waitcnt vmcnt(1)
	v_lshlrev_b64 v[2:3], s28, v[1:2]
	s_waitcnt vmcnt(0)
	v_lshrrev_b32_e32 v4, 28, v3
	v_mad_u32_u24 v1, v4, 36, v68
	ds_read_b32 v101, v1 offset:32
	v_bfe_u32 v1, v3, 28, 1
	v_add_co_u32_e64 v5, s[24:25], -1, v1
	v_addc_co_u32_e64 v6, s[24:25], 0, -1, s[24:25]
	v_cmp_ne_u32_e64 s[24:25], 0, v1
	v_xor_b32_e32 v1, s25, v6
	v_and_b32_e32 v6, exec_hi, v1
	v_lshlrev_b32_e32 v1, 30, v4
	v_xor_b32_e32 v5, s24, v5
	v_cmp_gt_i64_e64 s[24:25], 0, v[0:1]
	v_not_b32_e32 v1, v1
	v_ashrrev_i32_e32 v1, 31, v1
	v_and_b32_e32 v5, exec_lo, v5
	v_xor_b32_e32 v7, s25, v1
	v_xor_b32_e32 v1, s24, v1
	v_and_b32_e32 v5, v5, v1
	v_lshlrev_b32_e32 v1, 29, v4
	v_cmp_gt_i64_e64 s[24:25], 0, v[0:1]
	v_not_b32_e32 v1, v1
	v_ashrrev_i32_e32 v1, 31, v1
	v_mul_u32_u24_e32 v102, 36, v4
	v_xor_b32_e32 v4, s25, v1
	v_xor_b32_e32 v1, s24, v1
	v_cmp_gt_i64_e64 s[24:25], 0, v[2:3]
	v_not_b32_e32 v2, v3
	v_ashrrev_i32_e32 v2, 31, v2
	v_and_b32_e32 v6, v6, v7
	v_and_b32_e32 v1, v5, v1
	v_xor_b32_e32 v5, s24, v2
	v_and_b32_e32 v4, v6, v4
	v_xor_b32_e32 v3, s25, v2
	v_and_b32_e32 v1, v1, v5
	v_and_b32_e32 v2, v4, v3
	v_mbcnt_lo_u32_b32 v3, v1, 0
	v_mbcnt_hi_u32_b32 v103, v2, v3
	v_cmp_ne_u64_e64 s[24:25], 0, v[1:2]
	v_cmp_eq_u32_e64 s[26:27], 0, v103
	s_and_b64 s[26:27], s[24:25], s[26:27]
	; wave barrier
	s_and_saveexec_b64 s[24:25], s[26:27]
	s_cbranch_execz .LBB134_26
; %bb.25:                               ;   in Loop: Header=BB134_4 Depth=2
	v_bcnt_u32_b32 v1, v1, 0
	v_bcnt_u32_b32 v1, v2, v1
	s_waitcnt lgkmcnt(0)
	v_add_u32_e32 v1, v101, v1
	v_add_u32_e32 v2, v68, v102
	ds_write_b32 v2, v1 offset:32
.LBB134_26:                             ;   in Loop: Header=BB134_4 Depth=2
	s_or_b64 exec, exec, s[24:25]
	; wave barrier
	buffer_load_dword v1, off, s[40:43], 0 offset:80 ; 4-byte Folded Reload
	buffer_load_dword v2, off, s[40:43], 0 offset:84 ; 4-byte Folded Reload
	buffer_load_dword v3, off, s[40:43], 0 offset:88 ; 4-byte Folded Reload
	buffer_load_dword v4, off, s[40:43], 0 offset:92 ; 4-byte Folded Reload
	s_waitcnt vmcnt(0)
	v_lshlrev_b64 v[2:3], s28, v[3:4]
	v_lshrrev_b32_e32 v4, 28, v3
	v_mad_u32_u24 v1, v4, 36, v68
	ds_read_b32 v104, v1 offset:32
	v_bfe_u32 v1, v3, 28, 1
	v_add_co_u32_e64 v5, s[24:25], -1, v1
	v_addc_co_u32_e64 v6, s[24:25], 0, -1, s[24:25]
	v_cmp_ne_u32_e64 s[24:25], 0, v1
	v_xor_b32_e32 v1, s25, v6
	v_and_b32_e32 v6, exec_hi, v1
	v_lshlrev_b32_e32 v1, 30, v4
	v_xor_b32_e32 v5, s24, v5
	v_cmp_gt_i64_e64 s[24:25], 0, v[0:1]
	v_not_b32_e32 v1, v1
	v_ashrrev_i32_e32 v1, 31, v1
	v_and_b32_e32 v5, exec_lo, v5
	v_xor_b32_e32 v7, s25, v1
	v_xor_b32_e32 v1, s24, v1
	v_and_b32_e32 v5, v5, v1
	v_lshlrev_b32_e32 v1, 29, v4
	v_cmp_gt_i64_e64 s[24:25], 0, v[0:1]
	v_not_b32_e32 v1, v1
	v_ashrrev_i32_e32 v1, 31, v1
	v_mul_u32_u24_e32 v105, 36, v4
	v_xor_b32_e32 v4, s25, v1
	v_xor_b32_e32 v1, s24, v1
	v_cmp_gt_i64_e64 s[24:25], 0, v[2:3]
	v_not_b32_e32 v2, v3
	v_ashrrev_i32_e32 v2, 31, v2
	v_and_b32_e32 v6, v6, v7
	v_and_b32_e32 v1, v5, v1
	v_xor_b32_e32 v5, s24, v2
	v_and_b32_e32 v4, v6, v4
	v_xor_b32_e32 v3, s25, v2
	v_and_b32_e32 v1, v1, v5
	v_and_b32_e32 v2, v4, v3
	v_mbcnt_lo_u32_b32 v3, v1, 0
	v_mbcnt_hi_u32_b32 v106, v2, v3
	v_cmp_ne_u64_e64 s[24:25], 0, v[1:2]
	v_cmp_eq_u32_e64 s[26:27], 0, v106
	s_and_b64 s[26:27], s[24:25], s[26:27]
	; wave barrier
	s_and_saveexec_b64 s[24:25], s[26:27]
	s_cbranch_execz .LBB134_28
; %bb.27:                               ;   in Loop: Header=BB134_4 Depth=2
	v_bcnt_u32_b32 v1, v1, 0
	v_bcnt_u32_b32 v1, v2, v1
	s_waitcnt lgkmcnt(0)
	v_add_u32_e32 v1, v104, v1
	v_add_u32_e32 v2, v68, v105
	ds_write_b32 v2, v1 offset:32
.LBB134_28:                             ;   in Loop: Header=BB134_4 Depth=2
	s_or_b64 exec, exec, s[24:25]
	v_lshlrev_b64 v[2:3], s28, v[47:48]
	v_lshrrev_b32_e32 v4, 28, v3
	v_mad_u32_u24 v1, v4, 36, v68
	; wave barrier
	ds_read_b32 v107, v1 offset:32
	v_bfe_u32 v1, v3, 28, 1
	v_add_co_u32_e64 v5, s[24:25], -1, v1
	v_addc_co_u32_e64 v6, s[24:25], 0, -1, s[24:25]
	v_cmp_ne_u32_e64 s[24:25], 0, v1
	v_xor_b32_e32 v1, s25, v6
	v_and_b32_e32 v6, exec_hi, v1
	v_lshlrev_b32_e32 v1, 30, v4
	v_xor_b32_e32 v5, s24, v5
	v_cmp_gt_i64_e64 s[24:25], 0, v[0:1]
	v_not_b32_e32 v1, v1
	v_ashrrev_i32_e32 v1, 31, v1
	v_and_b32_e32 v5, exec_lo, v5
	v_xor_b32_e32 v7, s25, v1
	v_xor_b32_e32 v1, s24, v1
	v_and_b32_e32 v5, v5, v1
	v_lshlrev_b32_e32 v1, 29, v4
	v_cmp_gt_i64_e64 s[24:25], 0, v[0:1]
	v_not_b32_e32 v1, v1
	v_ashrrev_i32_e32 v1, 31, v1
	v_mul_u32_u24_e32 v108, 36, v4
	v_xor_b32_e32 v4, s25, v1
	v_xor_b32_e32 v1, s24, v1
	v_cmp_gt_i64_e64 s[24:25], 0, v[2:3]
	v_not_b32_e32 v2, v3
	v_ashrrev_i32_e32 v2, 31, v2
	v_and_b32_e32 v6, v6, v7
	v_and_b32_e32 v1, v5, v1
	v_xor_b32_e32 v5, s24, v2
	v_and_b32_e32 v4, v6, v4
	v_xor_b32_e32 v3, s25, v2
	v_and_b32_e32 v1, v1, v5
	v_and_b32_e32 v2, v4, v3
	v_mbcnt_lo_u32_b32 v3, v1, 0
	v_mbcnt_hi_u32_b32 v109, v2, v3
	v_cmp_ne_u64_e64 s[24:25], 0, v[1:2]
	v_cmp_eq_u32_e64 s[26:27], 0, v109
	s_and_b64 s[26:27], s[24:25], s[26:27]
	; wave barrier
	s_and_saveexec_b64 s[24:25], s[26:27]
	s_cbranch_execz .LBB134_30
; %bb.29:                               ;   in Loop: Header=BB134_4 Depth=2
	v_bcnt_u32_b32 v1, v1, 0
	v_bcnt_u32_b32 v1, v2, v1
	s_waitcnt lgkmcnt(0)
	v_add_u32_e32 v1, v107, v1
	v_add_u32_e32 v2, v68, v108
	ds_write_b32 v2, v1 offset:32
.LBB134_30:                             ;   in Loop: Header=BB134_4 Depth=2
	s_or_b64 exec, exec, s[24:25]
	v_lshlrev_b64 v[2:3], s28, v[49:50]
	v_lshrrev_b32_e32 v4, 28, v3
	v_mad_u32_u24 v1, v4, 36, v68
	; wave barrier
	;; [unrolled: 54-line block ×14, first 2 shown]
	ds_read_b32 v3, v1 offset:32
	v_bfe_u32 v1, v7, 28, 1
	v_add_co_u32_e64 v4, s[24:25], -1, v1
	v_addc_co_u32_e64 v8, s[24:25], 0, -1, s[24:25]
	v_cmp_ne_u32_e64 s[24:25], 0, v1
	v_xor_b32_e32 v1, s25, v8
	v_and_b32_e32 v8, exec_hi, v1
	v_lshlrev_b32_e32 v1, 30, v2
	v_xor_b32_e32 v4, s24, v4
	v_cmp_gt_i64_e64 s[24:25], 0, v[0:1]
	v_not_b32_e32 v1, v1
	v_ashrrev_i32_e32 v1, 31, v1
	v_and_b32_e32 v4, exec_lo, v4
	v_xor_b32_e32 v9, s25, v1
	v_xor_b32_e32 v1, s24, v1
	v_and_b32_e32 v4, v4, v1
	v_lshlrev_b32_e32 v1, 29, v2
	v_cmp_gt_i64_e64 s[24:25], 0, v[0:1]
	v_not_b32_e32 v1, v1
	v_ashrrev_i32_e32 v1, 31, v1
	v_mul_u32_u24_e32 v5, 36, v2
	v_xor_b32_e32 v2, s25, v1
	v_xor_b32_e32 v1, s24, v1
	v_and_b32_e32 v1, v4, v1
	v_cmp_gt_i64_e64 s[24:25], 0, v[6:7]
	v_not_b32_e32 v4, v7
	v_ashrrev_i32_e32 v4, 31, v4
	v_and_b32_e32 v8, v8, v9
	v_xor_b32_e32 v6, s25, v4
	v_xor_b32_e32 v4, s24, v4
	v_and_b32_e32 v2, v8, v2
	v_and_b32_e32 v1, v1, v4
	;; [unrolled: 1-line block ×3, first 2 shown]
	v_mbcnt_lo_u32_b32 v4, v1, 0
	v_mbcnt_hi_u32_b32 v4, v2, v4
	v_cmp_ne_u64_e64 s[24:25], 0, v[1:2]
	v_cmp_eq_u32_e64 s[26:27], 0, v4
	s_and_b64 s[26:27], s[24:25], s[26:27]
	; wave barrier
	s_and_saveexec_b64 s[24:25], s[26:27]
	s_cbranch_execz .LBB134_56
; %bb.55:                               ;   in Loop: Header=BB134_4 Depth=2
	v_bcnt_u32_b32 v1, v1, 0
	v_bcnt_u32_b32 v1, v2, v1
	s_waitcnt lgkmcnt(0)
	v_add_u32_e32 v1, v3, v1
	v_add_u32_e32 v2, v68, v5
	ds_write_b32 v2, v1 offset:32
.LBB134_56:                             ;   in Loop: Header=BB134_4 Depth=2
	s_or_b64 exec, exec, s[24:25]
	v_lshlrev_b64 v[9:10], s28, v[33:34]
	v_lshrrev_b32_e32 v2, 28, v10
	v_mad_u32_u24 v1, v2, 36, v68
	; wave barrier
	ds_read_b32 v6, v1 offset:32
	v_bfe_u32 v1, v10, 28, 1
	v_add_co_u32_e64 v7, s[24:25], -1, v1
	v_addc_co_u32_e64 v11, s[24:25], 0, -1, s[24:25]
	v_cmp_ne_u32_e64 s[24:25], 0, v1
	v_xor_b32_e32 v1, s25, v11
	v_and_b32_e32 v11, exec_hi, v1
	v_lshlrev_b32_e32 v1, 30, v2
	v_xor_b32_e32 v7, s24, v7
	v_cmp_gt_i64_e64 s[24:25], 0, v[0:1]
	v_not_b32_e32 v1, v1
	v_ashrrev_i32_e32 v1, 31, v1
	v_and_b32_e32 v7, exec_lo, v7
	v_xor_b32_e32 v12, s25, v1
	v_xor_b32_e32 v1, s24, v1
	v_and_b32_e32 v7, v7, v1
	v_lshlrev_b32_e32 v1, 29, v2
	v_cmp_gt_i64_e64 s[24:25], 0, v[0:1]
	v_not_b32_e32 v1, v1
	v_ashrrev_i32_e32 v1, 31, v1
	v_mul_u32_u24_e32 v8, 36, v2
	v_xor_b32_e32 v2, s25, v1
	v_xor_b32_e32 v1, s24, v1
	v_and_b32_e32 v1, v7, v1
	v_cmp_gt_i64_e64 s[24:25], 0, v[9:10]
	v_not_b32_e32 v7, v10
	v_ashrrev_i32_e32 v7, 31, v7
	v_and_b32_e32 v11, v11, v12
	v_xor_b32_e32 v9, s25, v7
	v_xor_b32_e32 v7, s24, v7
	v_and_b32_e32 v2, v11, v2
	v_and_b32_e32 v1, v1, v7
	;; [unrolled: 1-line block ×3, first 2 shown]
	v_mbcnt_lo_u32_b32 v7, v1, 0
	v_mbcnt_hi_u32_b32 v7, v2, v7
	v_cmp_ne_u64_e64 s[24:25], 0, v[1:2]
	v_cmp_eq_u32_e64 s[26:27], 0, v7
	s_and_b64 s[26:27], s[24:25], s[26:27]
	; wave barrier
	s_and_saveexec_b64 s[24:25], s[26:27]
	s_cbranch_execz .LBB134_58
; %bb.57:                               ;   in Loop: Header=BB134_4 Depth=2
	v_bcnt_u32_b32 v1, v1, 0
	v_bcnt_u32_b32 v1, v2, v1
	s_waitcnt lgkmcnt(0)
	v_add_u32_e32 v1, v6, v1
	v_add_u32_e32 v2, v68, v8
	ds_write_b32 v2, v1 offset:32
.LBB134_58:                             ;   in Loop: Header=BB134_4 Depth=2
	s_or_b64 exec, exec, s[24:25]
	v_lshlrev_b64 v[10:11], s28, v[35:36]
	v_lshrrev_b32_e32 v2, 28, v11
	v_mad_u32_u24 v1, v2, 36, v68
	; wave barrier
	ds_read_b32 v9, v1 offset:32
	v_bfe_u32 v1, v11, 28, 1
	v_add_co_u32_e64 v12, s[24:25], -1, v1
	v_addc_co_u32_e64 v13, s[24:25], 0, -1, s[24:25]
	v_cmp_ne_u32_e64 s[24:25], 0, v1
	v_xor_b32_e32 v1, s25, v13
	v_and_b32_e32 v13, exec_hi, v1
	v_lshlrev_b32_e32 v1, 30, v2
	v_xor_b32_e32 v12, s24, v12
	v_cmp_gt_i64_e64 s[24:25], 0, v[0:1]
	v_not_b32_e32 v1, v1
	v_ashrrev_i32_e32 v1, 31, v1
	v_and_b32_e32 v12, exec_lo, v12
	v_xor_b32_e32 v14, s25, v1
	v_xor_b32_e32 v1, s24, v1
	v_and_b32_e32 v12, v12, v1
	v_lshlrev_b32_e32 v1, 29, v2
	v_cmp_gt_i64_e64 s[24:25], 0, v[0:1]
	v_not_b32_e32 v1, v1
	v_ashrrev_i32_e32 v1, 31, v1
	v_mul_u32_u24_e32 v95, 36, v2
	v_xor_b32_e32 v2, s25, v1
	v_xor_b32_e32 v1, s24, v1
	v_cmp_gt_i64_e64 s[24:25], 0, v[10:11]
	v_not_b32_e32 v10, v11
	v_ashrrev_i32_e32 v10, 31, v10
	v_and_b32_e32 v13, v13, v14
	v_and_b32_e32 v1, v12, v1
	v_xor_b32_e32 v11, s25, v10
	v_xor_b32_e32 v10, s24, v10
	v_and_b32_e32 v2, v13, v2
	v_and_b32_e32 v1, v1, v10
	;; [unrolled: 1-line block ×3, first 2 shown]
	v_mbcnt_lo_u32_b32 v10, v1, 0
	v_mbcnt_hi_u32_b32 v10, v2, v10
	v_cmp_ne_u64_e64 s[24:25], 0, v[1:2]
	v_cmp_eq_u32_e64 s[26:27], 0, v10
	s_and_b64 s[26:27], s[24:25], s[26:27]
	; wave barrier
	s_and_saveexec_b64 s[24:25], s[26:27]
	s_cbranch_execz .LBB134_60
; %bb.59:                               ;   in Loop: Header=BB134_4 Depth=2
	v_bcnt_u32_b32 v1, v1, 0
	v_bcnt_u32_b32 v1, v2, v1
	s_waitcnt lgkmcnt(0)
	v_add_u32_e32 v1, v9, v1
	v_add_u32_e32 v2, v68, v95
	ds_write_b32 v2, v1 offset:32
.LBB134_60:                             ;   in Loop: Header=BB134_4 Depth=2
	s_or_b64 exec, exec, s[24:25]
	v_lshlrev_b64 v[12:13], s28, v[37:38]
	v_lshrrev_b32_e32 v2, 28, v13
	v_mad_u32_u24 v1, v2, 36, v68
	; wave barrier
	ds_read_b32 v96, v1 offset:32
	v_bfe_u32 v1, v13, 28, 1
	v_add_co_u32_e64 v14, s[24:25], -1, v1
	v_addc_co_u32_e64 v15, s[24:25], 0, -1, s[24:25]
	v_cmp_ne_u32_e64 s[24:25], 0, v1
	v_xor_b32_e32 v1, s25, v15
	v_and_b32_e32 v15, exec_hi, v1
	v_lshlrev_b32_e32 v1, 30, v2
	v_xor_b32_e32 v14, s24, v14
	v_cmp_gt_i64_e64 s[24:25], 0, v[0:1]
	v_not_b32_e32 v1, v1
	v_ashrrev_i32_e32 v1, 31, v1
	v_and_b32_e32 v14, exec_lo, v14
	v_xor_b32_e32 v16, s25, v1
	v_xor_b32_e32 v1, s24, v1
	v_and_b32_e32 v14, v14, v1
	v_lshlrev_b32_e32 v1, 29, v2
	v_cmp_gt_i64_e64 s[24:25], 0, v[0:1]
	v_not_b32_e32 v1, v1
	v_ashrrev_i32_e32 v1, 31, v1
	v_mul_u32_u24_e32 v11, 36, v2
	v_xor_b32_e32 v2, s25, v1
	v_xor_b32_e32 v1, s24, v1
	v_cmp_gt_i64_e64 s[24:25], 0, v[12:13]
	v_not_b32_e32 v12, v13
	v_ashrrev_i32_e32 v12, 31, v12
	v_and_b32_e32 v15, v15, v16
	v_and_b32_e32 v1, v14, v1
	v_xor_b32_e32 v13, s25, v12
	v_xor_b32_e32 v12, s24, v12
	v_and_b32_e32 v2, v15, v2
	v_and_b32_e32 v1, v1, v12
	v_and_b32_e32 v2, v2, v13
	v_mbcnt_lo_u32_b32 v12, v1, 0
	v_mbcnt_hi_u32_b32 v98, v2, v12
	v_cmp_ne_u64_e64 s[24:25], 0, v[1:2]
	v_cmp_eq_u32_e64 s[26:27], 0, v98
	s_and_b64 s[26:27], s[24:25], s[26:27]
	; wave barrier
	s_and_saveexec_b64 s[24:25], s[26:27]
	s_cbranch_execz .LBB134_62
; %bb.61:                               ;   in Loop: Header=BB134_4 Depth=2
	v_bcnt_u32_b32 v1, v1, 0
	v_bcnt_u32_b32 v1, v2, v1
	s_waitcnt lgkmcnt(0)
	v_add_u32_e32 v1, v96, v1
	v_add_u32_e32 v2, v68, v11
	ds_write_b32 v2, v1 offset:32
.LBB134_62:                             ;   in Loop: Header=BB134_4 Depth=2
	s_or_b64 exec, exec, s[24:25]
	v_lshlrev_b64 v[15:16], s28, v[39:40]
	v_lshrrev_b32_e32 v2, 28, v16
	v_mad_u32_u24 v1, v2, 36, v68
	; wave barrier
	ds_read_b32 v12, v1 offset:32
	v_bfe_u32 v1, v16, 28, 1
	v_add_co_u32_e64 v13, s[24:25], -1, v1
	v_addc_co_u32_e64 v17, s[24:25], 0, -1, s[24:25]
	v_cmp_ne_u32_e64 s[24:25], 0, v1
	v_xor_b32_e32 v1, s25, v17
	v_and_b32_e32 v17, exec_hi, v1
	v_lshlrev_b32_e32 v1, 30, v2
	v_xor_b32_e32 v13, s24, v13
	v_cmp_gt_i64_e64 s[24:25], 0, v[0:1]
	v_not_b32_e32 v1, v1
	v_ashrrev_i32_e32 v1, 31, v1
	v_and_b32_e32 v13, exec_lo, v13
	v_xor_b32_e32 v18, s25, v1
	v_xor_b32_e32 v1, s24, v1
	v_and_b32_e32 v13, v13, v1
	v_lshlrev_b32_e32 v1, 29, v2
	v_cmp_gt_i64_e64 s[24:25], 0, v[0:1]
	v_not_b32_e32 v1, v1
	v_ashrrev_i32_e32 v1, 31, v1
	v_mul_u32_u24_e32 v14, 36, v2
	v_xor_b32_e32 v2, s25, v1
	v_xor_b32_e32 v1, s24, v1
	v_and_b32_e32 v1, v13, v1
	v_cmp_gt_i64_e64 s[24:25], 0, v[15:16]
	v_not_b32_e32 v13, v16
	v_ashrrev_i32_e32 v13, 31, v13
	v_and_b32_e32 v17, v17, v18
	v_xor_b32_e32 v15, s25, v13
	v_xor_b32_e32 v13, s24, v13
	v_and_b32_e32 v2, v17, v2
	v_and_b32_e32 v1, v1, v13
	v_and_b32_e32 v2, v2, v15
	v_mbcnt_lo_u32_b32 v13, v1, 0
	v_mbcnt_hi_u32_b32 v13, v2, v13
	v_cmp_ne_u64_e64 s[24:25], 0, v[1:2]
	v_cmp_eq_u32_e64 s[26:27], 0, v13
	s_and_b64 s[26:27], s[24:25], s[26:27]
	; wave barrier
	s_and_saveexec_b64 s[24:25], s[26:27]
	s_cbranch_execz .LBB134_64
; %bb.63:                               ;   in Loop: Header=BB134_4 Depth=2
	v_bcnt_u32_b32 v1, v1, 0
	v_bcnt_u32_b32 v1, v2, v1
	s_waitcnt lgkmcnt(0)
	v_add_u32_e32 v1, v12, v1
	v_add_u32_e32 v2, v68, v14
	ds_write_b32 v2, v1 offset:32
.LBB134_64:                             ;   in Loop: Header=BB134_4 Depth=2
	s_or_b64 exec, exec, s[24:25]
	v_lshlrev_b64 v[18:19], s28, v[41:42]
	v_lshrrev_b32_e32 v2, 28, v19
	v_mad_u32_u24 v1, v2, 36, v68
	; wave barrier
	ds_read_b32 v15, v1 offset:32
	v_bfe_u32 v1, v19, 28, 1
	v_add_co_u32_e64 v16, s[24:25], -1, v1
	v_addc_co_u32_e64 v20, s[24:25], 0, -1, s[24:25]
	v_cmp_ne_u32_e64 s[24:25], 0, v1
	v_xor_b32_e32 v1, s25, v20
	v_and_b32_e32 v20, exec_hi, v1
	v_lshlrev_b32_e32 v1, 30, v2
	v_xor_b32_e32 v16, s24, v16
	v_cmp_gt_i64_e64 s[24:25], 0, v[0:1]
	v_not_b32_e32 v1, v1
	v_ashrrev_i32_e32 v1, 31, v1
	v_and_b32_e32 v16, exec_lo, v16
	v_xor_b32_e32 v21, s25, v1
	v_xor_b32_e32 v1, s24, v1
	v_and_b32_e32 v16, v16, v1
	v_lshlrev_b32_e32 v1, 29, v2
	v_cmp_gt_i64_e64 s[24:25], 0, v[0:1]
	v_not_b32_e32 v1, v1
	v_ashrrev_i32_e32 v1, 31, v1
	v_mul_u32_u24_e32 v17, 36, v2
	v_xor_b32_e32 v2, s25, v1
	v_xor_b32_e32 v1, s24, v1
	v_and_b32_e32 v1, v16, v1
	v_cmp_gt_i64_e64 s[24:25], 0, v[18:19]
	v_not_b32_e32 v16, v19
	v_ashrrev_i32_e32 v16, 31, v16
	;; [unrolled: 54-line block ×3, first 2 shown]
	v_and_b32_e32 v23, v23, v24
	v_xor_b32_e32 v21, s25, v19
	v_xor_b32_e32 v19, s24, v19
	v_and_b32_e32 v2, v23, v2
	v_and_b32_e32 v1, v1, v19
	;; [unrolled: 1-line block ×3, first 2 shown]
	v_mbcnt_lo_u32_b32 v19, v1, 0
	v_mbcnt_hi_u32_b32 v19, v2, v19
	v_cmp_ne_u64_e64 s[24:25], 0, v[1:2]
	v_cmp_eq_u32_e64 s[26:27], 0, v19
	s_and_b64 s[26:27], s[24:25], s[26:27]
	; wave barrier
	s_and_saveexec_b64 s[24:25], s[26:27]
	s_cbranch_execz .LBB134_68
; %bb.67:                               ;   in Loop: Header=BB134_4 Depth=2
	v_bcnt_u32_b32 v1, v1, 0
	v_bcnt_u32_b32 v1, v2, v1
	s_waitcnt lgkmcnt(0)
	v_add_u32_e32 v1, v18, v1
	v_add_u32_e32 v2, v68, v20
	ds_write_b32 v2, v1 offset:32
.LBB134_68:                             ;   in Loop: Header=BB134_4 Depth=2
	s_or_b64 exec, exec, s[24:25]
	; wave barrier
	s_waitcnt lgkmcnt(0)
	s_barrier
	ds_read_b32 v1, v72 offset:32
	s_waitcnt lgkmcnt(0)
	s_nop 0
	v_mov_b32_dpp v2, v1 row_shr:1 row_mask:0xf bank_mask:0xf
	v_cndmask_b32_e64 v2, v2, 0, s[8:9]
	v_add_u32_e32 v1, v2, v1
	s_nop 1
	v_mov_b32_dpp v2, v1 row_shr:2 row_mask:0xf bank_mask:0xf
	v_cndmask_b32_e64 v2, 0, v2, s[10:11]
	v_add_u32_e32 v1, v1, v2
	;; [unrolled: 4-line block ×4, first 2 shown]
	s_nop 1
	v_mov_b32_dpp v2, v1 row_bcast:15 row_mask:0xf bank_mask:0xf
	v_cndmask_b32_e64 v2, v2, 0, s[16:17]
	v_add_u32_e32 v1, v1, v2
	s_nop 1
	v_mov_b32_dpp v2, v1 row_bcast:31 row_mask:0xf bank_mask:0xf
	v_cndmask_b32_e64 v2, 0, v2, s[6:7]
	v_add_u32_e32 v1, v1, v2
	s_and_saveexec_b64 s[24:25], s[2:3]
	s_cbranch_execz .LBB134_70
; %bb.69:                               ;   in Loop: Header=BB134_4 Depth=2
	buffer_load_dword v2, off, s[40:43], 0 offset:164 ; 4-byte Folded Reload
	s_waitcnt vmcnt(0)
	ds_write_b32 v2, v1
.LBB134_70:                             ;   in Loop: Header=BB134_4 Depth=2
	s_or_b64 exec, exec, s[24:25]
	s_waitcnt lgkmcnt(0)
	s_barrier
	s_and_saveexec_b64 s[24:25], vcc
	s_cbranch_execz .LBB134_72
; %bb.71:                               ;   in Loop: Header=BB134_4 Depth=2
	ds_read_b32 v2, v72
	s_waitcnt lgkmcnt(0)
	s_nop 0
	v_mov_b32_dpp v21, v2 row_shr:1 row_mask:0xf bank_mask:0xf
	v_cndmask_b32_e64 v21, v21, 0, s[18:19]
	v_add_u32_e32 v2, v21, v2
	s_nop 1
	v_mov_b32_dpp v21, v2 row_shr:2 row_mask:0xf bank_mask:0xf
	v_cndmask_b32_e64 v21, 0, v21, s[20:21]
	v_add_u32_e32 v2, v2, v21
	;; [unrolled: 4-line block ×3, first 2 shown]
	ds_write_b32 v72, v2
.LBB134_72:                             ;   in Loop: Header=BB134_4 Depth=2
	s_or_b64 exec, exec, s[24:25]
	v_mov_b32_e32 v2, 0
	s_waitcnt lgkmcnt(0)
	s_barrier
	s_and_saveexec_b64 s[24:25], s[0:1]
	s_cbranch_execz .LBB134_3
; %bb.73:                               ;   in Loop: Header=BB134_4 Depth=2
	buffer_load_dword v2, off, s[40:43], 0 offset:164 ; 4-byte Folded Reload
	s_waitcnt vmcnt(0)
	v_add_u32_e32 v2, -4, v2
	ds_read_b32 v2, v2
	s_branch .LBB134_3
.LBB134_74:
	v_add_u32_e32 v0, v68, v20
	v_add_u32_e32 v1, v68, v17
	;; [unrolled: 1-line block ×8, first 2 shown]
	ds_read_b32 v0, v0 offset:32
	ds_read_b32 v1, v1 offset:32
	;; [unrolled: 1-line block ×8, first 2 shown]
	s_waitcnt lgkmcnt(7)
	v_add3_u32 v17, v19, v18, v0
	s_waitcnt lgkmcnt(6)
	v_add3_u32 v16, v16, v15, v1
	;; [unrolled: 2-line block ×5, first 2 shown]
	v_add_u32_e32 v0, v68, v87
	v_add_u32_e32 v1, v68, v83
	;; [unrolled: 1-line block ×5, first 2 shown]
	v_add3_u32 v15, v13, v12, v2
	v_add3_u32 v14, v98, v96, v11
	v_add_u32_e32 v2, v68, v80
	v_add_u32_e32 v3, v68, v73
	;; [unrolled: 1-line block ×3, first 2 shown]
	ds_read_b32 v0, v0 offset:32
	ds_read_b32 v1, v1 offset:32
	;; [unrolled: 1-line block ×8, first 2 shown]
	buffer_load_dword v23, off, s[40:43], 0 offset:152 ; 4-byte Folded Reload
	s_waitcnt lgkmcnt(8)
	v_add3_u32 v5, v92, v90, v22
	s_waitcnt lgkmcnt(7)
	v_add3_u32 v3, v89, v86, v0
	;; [unrolled: 2-line block ×3, first 2 shown]
	v_add_u32_e32 v0, v68, v117
	v_add_u32_e32 v1, v68, v114
	;; [unrolled: 1-line block ×7, first 2 shown]
	ds_read_b32 v24, v0 offset:32
	v_mov_b32_e32 v31, v45
	v_add_u32_e32 v31, v68, v31
	s_lshl_b64 s[0:1], s[34:35], 2
	s_add_u32 s0, s30, s0
	s_addc_u32 s1, s31, s1
	s_waitcnt lgkmcnt(2)
	v_add3_u32 v10, v123, v122, v10
	s_waitcnt vmcnt(0)
	v_add_u32_e32 v23, v68, v23
	ds_read_b32 v25, v1 offset:32
	ds_read_b32 v26, v11 offset:32
	;; [unrolled: 1-line block ×7, first 2 shown]
	buffer_load_dword v0, off, s[40:43], 0 offset:144 ; 4-byte Folded Reload
	buffer_load_dword v1, off, s[40:43], 0 offset:136 ; 4-byte Folded Reload
	;; [unrolled: 1-line block ×7, first 2 shown]
	s_waitcnt vmcnt(6)
	v_add_u32_e32 v0, v68, v0
	s_waitcnt vmcnt(5)
	v_add_u32_e32 v1, v68, v1
	;; [unrolled: 2-line block ×7, first 2 shown]
	ds_read_b32 v32, v0 offset:32
	ds_read_b32 v33, v1 offset:32
	;; [unrolled: 1-line block ×8, first 2 shown]
	v_add3_u32 v1, v78, v77, v12
	v_add3_u32 v12, v75, v67, v4
	buffer_load_dword v4, off, s[40:43], 0 offset:156 ; 4-byte Folded Reload
	s_waitcnt lgkmcnt(14)
	v_add3_u32 v21, v118, v116, v24
	s_waitcnt lgkmcnt(10)
	v_add3_u32 v24, v103, v101, v29
	v_add3_u32 v20, v115, v113, v25
	;; [unrolled: 1-line block ×7, first 2 shown]
	s_waitcnt lgkmcnt(1)
	v_add3_u32 v31, v74, v46, v38
	v_add3_u32 v0, v71, v69, v13
	s_waitcnt vmcnt(0)
	v_add3_u32 v23, v100, v4, v22
	buffer_load_dword v4, off, s[40:43], 0 offset:148 ; 4-byte Folded Reload
	s_waitcnt vmcnt(0)
	v_add3_u32 v22, v97, v4, v30
	buffer_load_dword v4, off, s[40:43], 0 offset:140 ; 4-byte Folded Reload
	s_waitcnt lgkmcnt(0)
	v_add_u32_e32 v30, v39, v70
	s_waitcnt vmcnt(0)
	v_add3_u32 v29, v94, v4, v32
	buffer_load_dword v4, off, s[40:43], 0 offset:132 ; 4-byte Folded Reload
	s_waitcnt vmcnt(0)
	v_add3_u32 v28, v91, v4, v33
	buffer_load_dword v4, off, s[40:43], 0 offset:124 ; 4-byte Folded Reload
	;; [unrolled: 3-line block ×6, first 2 shown]
	s_waitcnt vmcnt(0)
	v_lshlrev_b32_e32 v4, 2, v4
	global_store_dwordx4 v4, v[30:33], s[0:1]
	global_store_dwordx4 v4, v[26:29], s[0:1] offset:16
	global_store_dwordx4 v4, v[22:25], s[0:1] offset:32
	;; [unrolled: 1-line block ×7, first 2 shown]
	s_endpgm
	.section	.rodata,"a",@progbits
	.p2align	6, 0x0
	.amdhsa_kernel _Z11rank_kernelIxLj4ELb0EL18RadixRankAlgorithm2ELj512ELj32ELj10EEvPKT_Pi
		.amdhsa_group_segment_fixed_size 2080
		.amdhsa_private_segment_fixed_size 176
		.amdhsa_kernarg_size 272
		.amdhsa_user_sgpr_count 6
		.amdhsa_user_sgpr_private_segment_buffer 1
		.amdhsa_user_sgpr_dispatch_ptr 0
		.amdhsa_user_sgpr_queue_ptr 0
		.amdhsa_user_sgpr_kernarg_segment_ptr 1
		.amdhsa_user_sgpr_dispatch_id 0
		.amdhsa_user_sgpr_flat_scratch_init 0
		.amdhsa_user_sgpr_private_segment_size 0
		.amdhsa_uses_dynamic_stack 0
		.amdhsa_system_sgpr_private_segment_wavefront_offset 1
		.amdhsa_system_sgpr_workgroup_id_x 1
		.amdhsa_system_sgpr_workgroup_id_y 0
		.amdhsa_system_sgpr_workgroup_id_z 0
		.amdhsa_system_sgpr_workgroup_info 0
		.amdhsa_system_vgpr_workitem_id 2
		.amdhsa_next_free_vgpr 128
		.amdhsa_next_free_sgpr 44
		.amdhsa_reserve_vcc 1
		.amdhsa_reserve_flat_scratch 0
		.amdhsa_float_round_mode_32 0
		.amdhsa_float_round_mode_16_64 0
		.amdhsa_float_denorm_mode_32 3
		.amdhsa_float_denorm_mode_16_64 3
		.amdhsa_dx10_clamp 1
		.amdhsa_ieee_mode 1
		.amdhsa_fp16_overflow 0
		.amdhsa_exception_fp_ieee_invalid_op 0
		.amdhsa_exception_fp_denorm_src 0
		.amdhsa_exception_fp_ieee_div_zero 0
		.amdhsa_exception_fp_ieee_overflow 0
		.amdhsa_exception_fp_ieee_underflow 0
		.amdhsa_exception_fp_ieee_inexact 0
		.amdhsa_exception_int_div_zero 0
	.end_amdhsa_kernel
	.section	.text._Z11rank_kernelIxLj4ELb0EL18RadixRankAlgorithm2ELj512ELj32ELj10EEvPKT_Pi,"axG",@progbits,_Z11rank_kernelIxLj4ELb0EL18RadixRankAlgorithm2ELj512ELj32ELj10EEvPKT_Pi,comdat
.Lfunc_end134:
	.size	_Z11rank_kernelIxLj4ELb0EL18RadixRankAlgorithm2ELj512ELj32ELj10EEvPKT_Pi, .Lfunc_end134-_Z11rank_kernelIxLj4ELb0EL18RadixRankAlgorithm2ELj512ELj32ELj10EEvPKT_Pi
                                        ; -- End function
	.set _Z11rank_kernelIxLj4ELb0EL18RadixRankAlgorithm2ELj512ELj32ELj10EEvPKT_Pi.num_vgpr, 128
	.set _Z11rank_kernelIxLj4ELb0EL18RadixRankAlgorithm2ELj512ELj32ELj10EEvPKT_Pi.num_agpr, 0
	.set _Z11rank_kernelIxLj4ELb0EL18RadixRankAlgorithm2ELj512ELj32ELj10EEvPKT_Pi.numbered_sgpr, 44
	.set _Z11rank_kernelIxLj4ELb0EL18RadixRankAlgorithm2ELj512ELj32ELj10EEvPKT_Pi.num_named_barrier, 0
	.set _Z11rank_kernelIxLj4ELb0EL18RadixRankAlgorithm2ELj512ELj32ELj10EEvPKT_Pi.private_seg_size, 176
	.set _Z11rank_kernelIxLj4ELb0EL18RadixRankAlgorithm2ELj512ELj32ELj10EEvPKT_Pi.uses_vcc, 1
	.set _Z11rank_kernelIxLj4ELb0EL18RadixRankAlgorithm2ELj512ELj32ELj10EEvPKT_Pi.uses_flat_scratch, 0
	.set _Z11rank_kernelIxLj4ELb0EL18RadixRankAlgorithm2ELj512ELj32ELj10EEvPKT_Pi.has_dyn_sized_stack, 0
	.set _Z11rank_kernelIxLj4ELb0EL18RadixRankAlgorithm2ELj512ELj32ELj10EEvPKT_Pi.has_recursion, 0
	.set _Z11rank_kernelIxLj4ELb0EL18RadixRankAlgorithm2ELj512ELj32ELj10EEvPKT_Pi.has_indirect_call, 0
	.section	.AMDGPU.csdata,"",@progbits
; Kernel info:
; codeLenInByte = 11880
; TotalNumSgprs: 48
; NumVgprs: 128
; ScratchSize: 176
; MemoryBound: 0
; FloatMode: 240
; IeeeMode: 1
; LDSByteSize: 2080 bytes/workgroup (compile time only)
; SGPRBlocks: 5
; VGPRBlocks: 31
; NumSGPRsForWavesPerEU: 48
; NumVGPRsForWavesPerEU: 128
; Occupancy: 2
; WaveLimiterHint : 0
; COMPUTE_PGM_RSRC2:SCRATCH_EN: 1
; COMPUTE_PGM_RSRC2:USER_SGPR: 6
; COMPUTE_PGM_RSRC2:TRAP_HANDLER: 0
; COMPUTE_PGM_RSRC2:TGID_X_EN: 1
; COMPUTE_PGM_RSRC2:TGID_Y_EN: 0
; COMPUTE_PGM_RSRC2:TGID_Z_EN: 0
; COMPUTE_PGM_RSRC2:TIDIG_COMP_CNT: 2
	.section	.AMDGPU.gpr_maximums,"",@progbits
	.set amdgpu.max_num_vgpr, 0
	.set amdgpu.max_num_agpr, 0
	.set amdgpu.max_num_sgpr, 0
	.section	.AMDGPU.csdata,"",@progbits
	.type	__hip_cuid_abdf1feacdf0ade1,@object ; @__hip_cuid_abdf1feacdf0ade1
	.section	.bss,"aw",@nobits
	.globl	__hip_cuid_abdf1feacdf0ade1
__hip_cuid_abdf1feacdf0ade1:
	.byte	0                               ; 0x0
	.size	__hip_cuid_abdf1feacdf0ade1, 1

	.ident	"AMD clang version 22.0.0git (https://github.com/RadeonOpenCompute/llvm-project roc-7.2.4 26084 f58b06dce1f9c15707c5f808fd002e18c2accf7e)"
	.section	".note.GNU-stack","",@progbits
	.addrsig
	.addrsig_sym __hip_cuid_abdf1feacdf0ade1
	.amdgpu_metadata
---
amdhsa.kernels:
  - .args:
      - .address_space:  global
        .offset:         0
        .size:           8
        .value_kind:     global_buffer
      - .address_space:  global
        .offset:         8
        .size:           8
        .value_kind:     global_buffer
    .group_segment_fixed_size: 4104
    .kernarg_segment_align: 8
    .kernarg_segment_size: 16
    .language:       OpenCL C
    .language_version:
      - 2
      - 0
    .max_flat_workgroup_size: 128
    .name:           _Z11rank_kernelIiLj4ELb0EL18RadixRankAlgorithm0ELj128ELj1ELj10EEvPKT_Pi
    .private_segment_fixed_size: 0
    .sgpr_count:     34
    .sgpr_spill_count: 0
    .symbol:         _Z11rank_kernelIiLj4ELb0EL18RadixRankAlgorithm0ELj128ELj1ELj10EEvPKT_Pi.kd
    .uniform_work_group_size: 1
    .uses_dynamic_stack: false
    .vgpr_count:     27
    .vgpr_spill_count: 0
    .wavefront_size: 64
  - .args:
      - .address_space:  global
        .offset:         0
        .size:           8
        .value_kind:     global_buffer
      - .address_space:  global
        .offset:         8
        .size:           8
        .value_kind:     global_buffer
    .group_segment_fixed_size: 4104
    .kernarg_segment_align: 8
    .kernarg_segment_size: 16
    .language:       OpenCL C
    .language_version:
      - 2
      - 0
    .max_flat_workgroup_size: 128
    .name:           _Z11rank_kernelIiLj4ELb0EL18RadixRankAlgorithm1ELj128ELj1ELj10EEvPKT_Pi
    .private_segment_fixed_size: 0
    .sgpr_count:     34
    .sgpr_spill_count: 0
    .symbol:         _Z11rank_kernelIiLj4ELb0EL18RadixRankAlgorithm1ELj128ELj1ELj10EEvPKT_Pi.kd
    .uniform_work_group_size: 1
    .uses_dynamic_stack: false
    .vgpr_count:     27
    .vgpr_spill_count: 0
    .wavefront_size: 64
  - .args:
      - .address_space:  global
        .offset:         0
        .size:           8
        .value_kind:     global_buffer
      - .address_space:  global
        .offset:         8
        .size:           8
        .value_kind:     global_buffer
      - .offset:         16
        .size:           4
        .value_kind:     hidden_block_count_x
      - .offset:         20
        .size:           4
        .value_kind:     hidden_block_count_y
      - .offset:         24
        .size:           4
        .value_kind:     hidden_block_count_z
      - .offset:         28
        .size:           2
        .value_kind:     hidden_group_size_x
      - .offset:         30
        .size:           2
        .value_kind:     hidden_group_size_y
      - .offset:         32
        .size:           2
        .value_kind:     hidden_group_size_z
      - .offset:         34
        .size:           2
        .value_kind:     hidden_remainder_x
      - .offset:         36
        .size:           2
        .value_kind:     hidden_remainder_y
      - .offset:         38
        .size:           2
        .value_kind:     hidden_remainder_z
      - .offset:         56
        .size:           8
        .value_kind:     hidden_global_offset_x
      - .offset:         64
        .size:           8
        .value_kind:     hidden_global_offset_y
      - .offset:         72
        .size:           8
        .value_kind:     hidden_global_offset_z
      - .offset:         80
        .size:           2
        .value_kind:     hidden_grid_dims
    .group_segment_fixed_size: 520
    .kernarg_segment_align: 8
    .kernarg_segment_size: 272
    .language:       OpenCL C
    .language_version:
      - 2
      - 0
    .max_flat_workgroup_size: 128
    .name:           _Z11rank_kernelIiLj4ELb0EL18RadixRankAlgorithm2ELj128ELj1ELj10EEvPKT_Pi
    .private_segment_fixed_size: 0
    .sgpr_count:     36
    .sgpr_spill_count: 0
    .symbol:         _Z11rank_kernelIiLj4ELb0EL18RadixRankAlgorithm2ELj128ELj1ELj10EEvPKT_Pi.kd
    .uniform_work_group_size: 1
    .uses_dynamic_stack: false
    .vgpr_count:     14
    .vgpr_spill_count: 0
    .wavefront_size: 64
  - .args:
      - .address_space:  global
        .offset:         0
        .size:           8
        .value_kind:     global_buffer
      - .address_space:  global
        .offset:         8
        .size:           8
        .value_kind:     global_buffer
    .group_segment_fixed_size: 4104
    .kernarg_segment_align: 8
    .kernarg_segment_size: 16
    .language:       OpenCL C
    .language_version:
      - 2
      - 0
    .max_flat_workgroup_size: 128
    .name:           _Z11rank_kernelIiLj4ELb0EL18RadixRankAlgorithm0ELj128ELj4ELj10EEvPKT_Pi
    .private_segment_fixed_size: 0
    .sgpr_count:     36
    .sgpr_spill_count: 0
    .symbol:         _Z11rank_kernelIiLj4ELb0EL18RadixRankAlgorithm0ELj128ELj4ELj10EEvPKT_Pi.kd
    .uniform_work_group_size: 1
    .uses_dynamic_stack: false
    .vgpr_count:     29
    .vgpr_spill_count: 0
    .wavefront_size: 64
  - .args:
      - .address_space:  global
        .offset:         0
        .size:           8
        .value_kind:     global_buffer
      - .address_space:  global
        .offset:         8
        .size:           8
        .value_kind:     global_buffer
    .group_segment_fixed_size: 4104
    .kernarg_segment_align: 8
    .kernarg_segment_size: 16
    .language:       OpenCL C
    .language_version:
      - 2
      - 0
    .max_flat_workgroup_size: 128
    .name:           _Z11rank_kernelIiLj4ELb0EL18RadixRankAlgorithm1ELj128ELj4ELj10EEvPKT_Pi
    .private_segment_fixed_size: 0
    .sgpr_count:     36
    .sgpr_spill_count: 0
    .symbol:         _Z11rank_kernelIiLj4ELb0EL18RadixRankAlgorithm1ELj128ELj4ELj10EEvPKT_Pi.kd
    .uniform_work_group_size: 1
    .uses_dynamic_stack: false
    .vgpr_count:     30
    .vgpr_spill_count: 0
    .wavefront_size: 64
  - .args:
      - .address_space:  global
        .offset:         0
        .size:           8
        .value_kind:     global_buffer
      - .address_space:  global
        .offset:         8
        .size:           8
        .value_kind:     global_buffer
      - .offset:         16
        .size:           4
        .value_kind:     hidden_block_count_x
      - .offset:         20
        .size:           4
        .value_kind:     hidden_block_count_y
      - .offset:         24
        .size:           4
        .value_kind:     hidden_block_count_z
      - .offset:         28
        .size:           2
        .value_kind:     hidden_group_size_x
      - .offset:         30
        .size:           2
        .value_kind:     hidden_group_size_y
      - .offset:         32
        .size:           2
        .value_kind:     hidden_group_size_z
      - .offset:         34
        .size:           2
        .value_kind:     hidden_remainder_x
      - .offset:         36
        .size:           2
        .value_kind:     hidden_remainder_y
      - .offset:         38
        .size:           2
        .value_kind:     hidden_remainder_z
      - .offset:         56
        .size:           8
        .value_kind:     hidden_global_offset_x
      - .offset:         64
        .size:           8
        .value_kind:     hidden_global_offset_y
      - .offset:         72
        .size:           8
        .value_kind:     hidden_global_offset_z
      - .offset:         80
        .size:           2
        .value_kind:     hidden_grid_dims
    .group_segment_fixed_size: 520
    .kernarg_segment_align: 8
    .kernarg_segment_size: 272
    .language:       OpenCL C
    .language_version:
      - 2
      - 0
    .max_flat_workgroup_size: 128
    .name:           _Z11rank_kernelIiLj4ELb0EL18RadixRankAlgorithm2ELj128ELj4ELj10EEvPKT_Pi
    .private_segment_fixed_size: 0
    .sgpr_count:     36
    .sgpr_spill_count: 0
    .symbol:         _Z11rank_kernelIiLj4ELb0EL18RadixRankAlgorithm2ELj128ELj4ELj10EEvPKT_Pi.kd
    .uniform_work_group_size: 1
    .uses_dynamic_stack: false
    .vgpr_count:     25
    .vgpr_spill_count: 0
    .wavefront_size: 64
  - .args:
      - .address_space:  global
        .offset:         0
        .size:           8
        .value_kind:     global_buffer
      - .address_space:  global
        .offset:         8
        .size:           8
        .value_kind:     global_buffer
    .group_segment_fixed_size: 4104
    .kernarg_segment_align: 8
    .kernarg_segment_size: 16
    .language:       OpenCL C
    .language_version:
      - 2
      - 0
    .max_flat_workgroup_size: 128
    .name:           _Z11rank_kernelIiLj4ELb0EL18RadixRankAlgorithm0ELj128ELj8ELj10EEvPKT_Pi
    .private_segment_fixed_size: 0
    .sgpr_count:     36
    .sgpr_spill_count: 0
    .symbol:         _Z11rank_kernelIiLj4ELb0EL18RadixRankAlgorithm0ELj128ELj8ELj10EEvPKT_Pi.kd
    .uniform_work_group_size: 1
    .uses_dynamic_stack: false
    .vgpr_count:     39
    .vgpr_spill_count: 0
    .wavefront_size: 64
  - .args:
      - .address_space:  global
        .offset:         0
        .size:           8
        .value_kind:     global_buffer
      - .address_space:  global
        .offset:         8
        .size:           8
        .value_kind:     global_buffer
    .group_segment_fixed_size: 4104
    .kernarg_segment_align: 8
    .kernarg_segment_size: 16
    .language:       OpenCL C
    .language_version:
      - 2
      - 0
    .max_flat_workgroup_size: 128
    .name:           _Z11rank_kernelIiLj4ELb0EL18RadixRankAlgorithm1ELj128ELj8ELj10EEvPKT_Pi
    .private_segment_fixed_size: 0
    .sgpr_count:     36
    .sgpr_spill_count: 0
    .symbol:         _Z11rank_kernelIiLj4ELb0EL18RadixRankAlgorithm1ELj128ELj8ELj10EEvPKT_Pi.kd
    .uniform_work_group_size: 1
    .uses_dynamic_stack: false
    .vgpr_count:     43
    .vgpr_spill_count: 0
    .wavefront_size: 64
  - .args:
      - .address_space:  global
        .offset:         0
        .size:           8
        .value_kind:     global_buffer
      - .address_space:  global
        .offset:         8
        .size:           8
        .value_kind:     global_buffer
      - .offset:         16
        .size:           4
        .value_kind:     hidden_block_count_x
      - .offset:         20
        .size:           4
        .value_kind:     hidden_block_count_y
      - .offset:         24
        .size:           4
        .value_kind:     hidden_block_count_z
      - .offset:         28
        .size:           2
        .value_kind:     hidden_group_size_x
      - .offset:         30
        .size:           2
        .value_kind:     hidden_group_size_y
      - .offset:         32
        .size:           2
        .value_kind:     hidden_group_size_z
      - .offset:         34
        .size:           2
        .value_kind:     hidden_remainder_x
      - .offset:         36
        .size:           2
        .value_kind:     hidden_remainder_y
      - .offset:         38
        .size:           2
        .value_kind:     hidden_remainder_z
      - .offset:         56
        .size:           8
        .value_kind:     hidden_global_offset_x
      - .offset:         64
        .size:           8
        .value_kind:     hidden_global_offset_y
      - .offset:         72
        .size:           8
        .value_kind:     hidden_global_offset_z
      - .offset:         80
        .size:           2
        .value_kind:     hidden_grid_dims
    .group_segment_fixed_size: 520
    .kernarg_segment_align: 8
    .kernarg_segment_size: 272
    .language:       OpenCL C
    .language_version:
      - 2
      - 0
    .max_flat_workgroup_size: 128
    .name:           _Z11rank_kernelIiLj4ELb0EL18RadixRankAlgorithm2ELj128ELj8ELj10EEvPKT_Pi
    .private_segment_fixed_size: 0
    .sgpr_count:     36
    .sgpr_spill_count: 0
    .symbol:         _Z11rank_kernelIiLj4ELb0EL18RadixRankAlgorithm2ELj128ELj8ELj10EEvPKT_Pi.kd
    .uniform_work_group_size: 1
    .uses_dynamic_stack: false
    .vgpr_count:     42
    .vgpr_spill_count: 0
    .wavefront_size: 64
  - .args:
      - .address_space:  global
        .offset:         0
        .size:           8
        .value_kind:     global_buffer
      - .address_space:  global
        .offset:         8
        .size:           8
        .value_kind:     global_buffer
    .group_segment_fixed_size: 4104
    .kernarg_segment_align: 8
    .kernarg_segment_size: 16
    .language:       OpenCL C
    .language_version:
      - 2
      - 0
    .max_flat_workgroup_size: 128
    .name:           _Z11rank_kernelIiLj4ELb0EL18RadixRankAlgorithm0ELj128ELj16ELj10EEvPKT_Pi
    .private_segment_fixed_size: 0
    .sgpr_count:     36
    .sgpr_spill_count: 0
    .symbol:         _Z11rank_kernelIiLj4ELb0EL18RadixRankAlgorithm0ELj128ELj16ELj10EEvPKT_Pi.kd
    .uniform_work_group_size: 1
    .uses_dynamic_stack: false
    .vgpr_count:     63
    .vgpr_spill_count: 0
    .wavefront_size: 64
  - .args:
      - .address_space:  global
        .offset:         0
        .size:           8
        .value_kind:     global_buffer
      - .address_space:  global
        .offset:         8
        .size:           8
        .value_kind:     global_buffer
    .group_segment_fixed_size: 4104
    .kernarg_segment_align: 8
    .kernarg_segment_size: 16
    .language:       OpenCL C
    .language_version:
      - 2
      - 0
    .max_flat_workgroup_size: 128
    .name:           _Z11rank_kernelIiLj4ELb0EL18RadixRankAlgorithm1ELj128ELj16ELj10EEvPKT_Pi
    .private_segment_fixed_size: 0
    .sgpr_count:     36
    .sgpr_spill_count: 0
    .symbol:         _Z11rank_kernelIiLj4ELb0EL18RadixRankAlgorithm1ELj128ELj16ELj10EEvPKT_Pi.kd
    .uniform_work_group_size: 1
    .uses_dynamic_stack: false
    .vgpr_count:     67
    .vgpr_spill_count: 0
    .wavefront_size: 64
  - .args:
      - .address_space:  global
        .offset:         0
        .size:           8
        .value_kind:     global_buffer
      - .address_space:  global
        .offset:         8
        .size:           8
        .value_kind:     global_buffer
      - .offset:         16
        .size:           4
        .value_kind:     hidden_block_count_x
      - .offset:         20
        .size:           4
        .value_kind:     hidden_block_count_y
      - .offset:         24
        .size:           4
        .value_kind:     hidden_block_count_z
      - .offset:         28
        .size:           2
        .value_kind:     hidden_group_size_x
      - .offset:         30
        .size:           2
        .value_kind:     hidden_group_size_y
      - .offset:         32
        .size:           2
        .value_kind:     hidden_group_size_z
      - .offset:         34
        .size:           2
        .value_kind:     hidden_remainder_x
      - .offset:         36
        .size:           2
        .value_kind:     hidden_remainder_y
      - .offset:         38
        .size:           2
        .value_kind:     hidden_remainder_z
      - .offset:         56
        .size:           8
        .value_kind:     hidden_global_offset_x
      - .offset:         64
        .size:           8
        .value_kind:     hidden_global_offset_y
      - .offset:         72
        .size:           8
        .value_kind:     hidden_global_offset_z
      - .offset:         80
        .size:           2
        .value_kind:     hidden_grid_dims
    .group_segment_fixed_size: 520
    .kernarg_segment_align: 8
    .kernarg_segment_size: 272
    .language:       OpenCL C
    .language_version:
      - 2
      - 0
    .max_flat_workgroup_size: 128
    .name:           _Z11rank_kernelIiLj4ELb0EL18RadixRankAlgorithm2ELj128ELj16ELj10EEvPKT_Pi
    .private_segment_fixed_size: 0
    .sgpr_count:     36
    .sgpr_spill_count: 0
    .symbol:         _Z11rank_kernelIiLj4ELb0EL18RadixRankAlgorithm2ELj128ELj16ELj10EEvPKT_Pi.kd
    .uniform_work_group_size: 1
    .uses_dynamic_stack: false
    .vgpr_count:     74
    .vgpr_spill_count: 0
    .wavefront_size: 64
  - .args:
      - .address_space:  global
        .offset:         0
        .size:           8
        .value_kind:     global_buffer
      - .address_space:  global
        .offset:         8
        .size:           8
        .value_kind:     global_buffer
    .group_segment_fixed_size: 4104
    .kernarg_segment_align: 8
    .kernarg_segment_size: 16
    .language:       OpenCL C
    .language_version:
      - 2
      - 0
    .max_flat_workgroup_size: 128
    .name:           _Z11rank_kernelIiLj4ELb0EL18RadixRankAlgorithm0ELj128ELj32ELj10EEvPKT_Pi
    .private_segment_fixed_size: 0
    .sgpr_count:     36
    .sgpr_spill_count: 0
    .symbol:         _Z11rank_kernelIiLj4ELb0EL18RadixRankAlgorithm0ELj128ELj32ELj10EEvPKT_Pi.kd
    .uniform_work_group_size: 1
    .uses_dynamic_stack: false
    .vgpr_count:     113
    .vgpr_spill_count: 0
    .wavefront_size: 64
  - .args:
      - .address_space:  global
        .offset:         0
        .size:           8
        .value_kind:     global_buffer
      - .address_space:  global
        .offset:         8
        .size:           8
        .value_kind:     global_buffer
    .group_segment_fixed_size: 4104
    .kernarg_segment_align: 8
    .kernarg_segment_size: 16
    .language:       OpenCL C
    .language_version:
      - 2
      - 0
    .max_flat_workgroup_size: 128
    .name:           _Z11rank_kernelIiLj4ELb0EL18RadixRankAlgorithm1ELj128ELj32ELj10EEvPKT_Pi
    .private_segment_fixed_size: 0
    .sgpr_count:     36
    .sgpr_spill_count: 0
    .symbol:         _Z11rank_kernelIiLj4ELb0EL18RadixRankAlgorithm1ELj128ELj32ELj10EEvPKT_Pi.kd
    .uniform_work_group_size: 1
    .uses_dynamic_stack: false
    .vgpr_count:     114
    .vgpr_spill_count: 0
    .wavefront_size: 64
  - .args:
      - .address_space:  global
        .offset:         0
        .size:           8
        .value_kind:     global_buffer
      - .address_space:  global
        .offset:         8
        .size:           8
        .value_kind:     global_buffer
      - .offset:         16
        .size:           4
        .value_kind:     hidden_block_count_x
      - .offset:         20
        .size:           4
        .value_kind:     hidden_block_count_y
      - .offset:         24
        .size:           4
        .value_kind:     hidden_block_count_z
      - .offset:         28
        .size:           2
        .value_kind:     hidden_group_size_x
      - .offset:         30
        .size:           2
        .value_kind:     hidden_group_size_y
      - .offset:         32
        .size:           2
        .value_kind:     hidden_group_size_z
      - .offset:         34
        .size:           2
        .value_kind:     hidden_remainder_x
      - .offset:         36
        .size:           2
        .value_kind:     hidden_remainder_y
      - .offset:         38
        .size:           2
        .value_kind:     hidden_remainder_z
      - .offset:         56
        .size:           8
        .value_kind:     hidden_global_offset_x
      - .offset:         64
        .size:           8
        .value_kind:     hidden_global_offset_y
      - .offset:         72
        .size:           8
        .value_kind:     hidden_global_offset_z
      - .offset:         80
        .size:           2
        .value_kind:     hidden_grid_dims
    .group_segment_fixed_size: 520
    .kernarg_segment_align: 8
    .kernarg_segment_size: 272
    .language:       OpenCL C
    .language_version:
      - 2
      - 0
    .max_flat_workgroup_size: 128
    .name:           _Z11rank_kernelIiLj4ELb0EL18RadixRankAlgorithm2ELj128ELj32ELj10EEvPKT_Pi
    .private_segment_fixed_size: 0
    .sgpr_count:     36
    .sgpr_spill_count: 0
    .symbol:         _Z11rank_kernelIiLj4ELb0EL18RadixRankAlgorithm2ELj128ELj32ELj10EEvPKT_Pi.kd
    .uniform_work_group_size: 1
    .uses_dynamic_stack: false
    .vgpr_count:     138
    .vgpr_spill_count: 0
    .wavefront_size: 64
  - .args:
      - .address_space:  global
        .offset:         0
        .size:           8
        .value_kind:     global_buffer
      - .address_space:  global
        .offset:         8
        .size:           8
        .value_kind:     global_buffer
    .group_segment_fixed_size: 8208
    .kernarg_segment_align: 8
    .kernarg_segment_size: 16
    .language:       OpenCL C
    .language_version:
      - 2
      - 0
    .max_flat_workgroup_size: 256
    .name:           _Z11rank_kernelIiLj4ELb0EL18RadixRankAlgorithm0ELj256ELj1ELj10EEvPKT_Pi
    .private_segment_fixed_size: 0
    .sgpr_count:     36
    .sgpr_spill_count: 0
    .symbol:         _Z11rank_kernelIiLj4ELb0EL18RadixRankAlgorithm0ELj256ELj1ELj10EEvPKT_Pi.kd
    .uniform_work_group_size: 1
    .uses_dynamic_stack: false
    .vgpr_count:     27
    .vgpr_spill_count: 0
    .wavefront_size: 64
  - .args:
      - .address_space:  global
        .offset:         0
        .size:           8
        .value_kind:     global_buffer
      - .address_space:  global
        .offset:         8
        .size:           8
        .value_kind:     global_buffer
    .group_segment_fixed_size: 8208
    .kernarg_segment_align: 8
    .kernarg_segment_size: 16
    .language:       OpenCL C
    .language_version:
      - 2
      - 0
    .max_flat_workgroup_size: 256
    .name:           _Z11rank_kernelIiLj4ELb0EL18RadixRankAlgorithm1ELj256ELj1ELj10EEvPKT_Pi
    .private_segment_fixed_size: 0
    .sgpr_count:     36
    .sgpr_spill_count: 0
    .symbol:         _Z11rank_kernelIiLj4ELb0EL18RadixRankAlgorithm1ELj256ELj1ELj10EEvPKT_Pi.kd
    .uniform_work_group_size: 1
    .uses_dynamic_stack: false
    .vgpr_count:     27
    .vgpr_spill_count: 0
    .wavefront_size: 64
  - .args:
      - .address_space:  global
        .offset:         0
        .size:           8
        .value_kind:     global_buffer
      - .address_space:  global
        .offset:         8
        .size:           8
        .value_kind:     global_buffer
      - .offset:         16
        .size:           4
        .value_kind:     hidden_block_count_x
      - .offset:         20
        .size:           4
        .value_kind:     hidden_block_count_y
      - .offset:         24
        .size:           4
        .value_kind:     hidden_block_count_z
      - .offset:         28
        .size:           2
        .value_kind:     hidden_group_size_x
      - .offset:         30
        .size:           2
        .value_kind:     hidden_group_size_y
      - .offset:         32
        .size:           2
        .value_kind:     hidden_group_size_z
      - .offset:         34
        .size:           2
        .value_kind:     hidden_remainder_x
      - .offset:         36
        .size:           2
        .value_kind:     hidden_remainder_y
      - .offset:         38
        .size:           2
        .value_kind:     hidden_remainder_z
      - .offset:         56
        .size:           8
        .value_kind:     hidden_global_offset_x
      - .offset:         64
        .size:           8
        .value_kind:     hidden_global_offset_y
      - .offset:         72
        .size:           8
        .value_kind:     hidden_global_offset_z
      - .offset:         80
        .size:           2
        .value_kind:     hidden_grid_dims
    .group_segment_fixed_size: 1040
    .kernarg_segment_align: 8
    .kernarg_segment_size: 272
    .language:       OpenCL C
    .language_version:
      - 2
      - 0
    .max_flat_workgroup_size: 256
    .name:           _Z11rank_kernelIiLj4ELb0EL18RadixRankAlgorithm2ELj256ELj1ELj10EEvPKT_Pi
    .private_segment_fixed_size: 0
    .sgpr_count:     38
    .sgpr_spill_count: 0
    .symbol:         _Z11rank_kernelIiLj4ELb0EL18RadixRankAlgorithm2ELj256ELj1ELj10EEvPKT_Pi.kd
    .uniform_work_group_size: 1
    .uses_dynamic_stack: false
    .vgpr_count:     14
    .vgpr_spill_count: 0
    .wavefront_size: 64
  - .args:
      - .address_space:  global
        .offset:         0
        .size:           8
        .value_kind:     global_buffer
      - .address_space:  global
        .offset:         8
        .size:           8
        .value_kind:     global_buffer
    .group_segment_fixed_size: 8208
    .kernarg_segment_align: 8
    .kernarg_segment_size: 16
    .language:       OpenCL C
    .language_version:
      - 2
      - 0
    .max_flat_workgroup_size: 256
    .name:           _Z11rank_kernelIiLj4ELb0EL18RadixRankAlgorithm0ELj256ELj4ELj10EEvPKT_Pi
    .private_segment_fixed_size: 0
    .sgpr_count:     39
    .sgpr_spill_count: 0
    .symbol:         _Z11rank_kernelIiLj4ELb0EL18RadixRankAlgorithm0ELj256ELj4ELj10EEvPKT_Pi.kd
    .uniform_work_group_size: 1
    .uses_dynamic_stack: false
    .vgpr_count:     29
    .vgpr_spill_count: 0
    .wavefront_size: 64
  - .args:
      - .address_space:  global
        .offset:         0
        .size:           8
        .value_kind:     global_buffer
      - .address_space:  global
        .offset:         8
        .size:           8
        .value_kind:     global_buffer
    .group_segment_fixed_size: 8208
    .kernarg_segment_align: 8
    .kernarg_segment_size: 16
    .language:       OpenCL C
    .language_version:
      - 2
      - 0
    .max_flat_workgroup_size: 256
    .name:           _Z11rank_kernelIiLj4ELb0EL18RadixRankAlgorithm1ELj256ELj4ELj10EEvPKT_Pi
    .private_segment_fixed_size: 0
    .sgpr_count:     39
    .sgpr_spill_count: 0
    .symbol:         _Z11rank_kernelIiLj4ELb0EL18RadixRankAlgorithm1ELj256ELj4ELj10EEvPKT_Pi.kd
    .uniform_work_group_size: 1
    .uses_dynamic_stack: false
    .vgpr_count:     30
    .vgpr_spill_count: 0
    .wavefront_size: 64
  - .args:
      - .address_space:  global
        .offset:         0
        .size:           8
        .value_kind:     global_buffer
      - .address_space:  global
        .offset:         8
        .size:           8
        .value_kind:     global_buffer
      - .offset:         16
        .size:           4
        .value_kind:     hidden_block_count_x
      - .offset:         20
        .size:           4
        .value_kind:     hidden_block_count_y
      - .offset:         24
        .size:           4
        .value_kind:     hidden_block_count_z
      - .offset:         28
        .size:           2
        .value_kind:     hidden_group_size_x
      - .offset:         30
        .size:           2
        .value_kind:     hidden_group_size_y
      - .offset:         32
        .size:           2
        .value_kind:     hidden_group_size_z
      - .offset:         34
        .size:           2
        .value_kind:     hidden_remainder_x
      - .offset:         36
        .size:           2
        .value_kind:     hidden_remainder_y
      - .offset:         38
        .size:           2
        .value_kind:     hidden_remainder_z
      - .offset:         56
        .size:           8
        .value_kind:     hidden_global_offset_x
      - .offset:         64
        .size:           8
        .value_kind:     hidden_global_offset_y
      - .offset:         72
        .size:           8
        .value_kind:     hidden_global_offset_z
      - .offset:         80
        .size:           2
        .value_kind:     hidden_grid_dims
    .group_segment_fixed_size: 1040
    .kernarg_segment_align: 8
    .kernarg_segment_size: 272
    .language:       OpenCL C
    .language_version:
      - 2
      - 0
    .max_flat_workgroup_size: 256
    .name:           _Z11rank_kernelIiLj4ELb0EL18RadixRankAlgorithm2ELj256ELj4ELj10EEvPKT_Pi
    .private_segment_fixed_size: 0
    .sgpr_count:     38
    .sgpr_spill_count: 0
    .symbol:         _Z11rank_kernelIiLj4ELb0EL18RadixRankAlgorithm2ELj256ELj4ELj10EEvPKT_Pi.kd
    .uniform_work_group_size: 1
    .uses_dynamic_stack: false
    .vgpr_count:     25
    .vgpr_spill_count: 0
    .wavefront_size: 64
  - .args:
      - .address_space:  global
        .offset:         0
        .size:           8
        .value_kind:     global_buffer
      - .address_space:  global
        .offset:         8
        .size:           8
        .value_kind:     global_buffer
    .group_segment_fixed_size: 8208
    .kernarg_segment_align: 8
    .kernarg_segment_size: 16
    .language:       OpenCL C
    .language_version:
      - 2
      - 0
    .max_flat_workgroup_size: 256
    .name:           _Z11rank_kernelIiLj4ELb0EL18RadixRankAlgorithm0ELj256ELj8ELj10EEvPKT_Pi
    .private_segment_fixed_size: 0
    .sgpr_count:     39
    .sgpr_spill_count: 0
    .symbol:         _Z11rank_kernelIiLj4ELb0EL18RadixRankAlgorithm0ELj256ELj8ELj10EEvPKT_Pi.kd
    .uniform_work_group_size: 1
    .uses_dynamic_stack: false
    .vgpr_count:     39
    .vgpr_spill_count: 0
    .wavefront_size: 64
  - .args:
      - .address_space:  global
        .offset:         0
        .size:           8
        .value_kind:     global_buffer
      - .address_space:  global
        .offset:         8
        .size:           8
        .value_kind:     global_buffer
    .group_segment_fixed_size: 8208
    .kernarg_segment_align: 8
    .kernarg_segment_size: 16
    .language:       OpenCL C
    .language_version:
      - 2
      - 0
    .max_flat_workgroup_size: 256
    .name:           _Z11rank_kernelIiLj4ELb0EL18RadixRankAlgorithm1ELj256ELj8ELj10EEvPKT_Pi
    .private_segment_fixed_size: 0
    .sgpr_count:     39
    .sgpr_spill_count: 0
    .symbol:         _Z11rank_kernelIiLj4ELb0EL18RadixRankAlgorithm1ELj256ELj8ELj10EEvPKT_Pi.kd
    .uniform_work_group_size: 1
    .uses_dynamic_stack: false
    .vgpr_count:     43
    .vgpr_spill_count: 0
    .wavefront_size: 64
  - .args:
      - .address_space:  global
        .offset:         0
        .size:           8
        .value_kind:     global_buffer
      - .address_space:  global
        .offset:         8
        .size:           8
        .value_kind:     global_buffer
      - .offset:         16
        .size:           4
        .value_kind:     hidden_block_count_x
      - .offset:         20
        .size:           4
        .value_kind:     hidden_block_count_y
      - .offset:         24
        .size:           4
        .value_kind:     hidden_block_count_z
      - .offset:         28
        .size:           2
        .value_kind:     hidden_group_size_x
      - .offset:         30
        .size:           2
        .value_kind:     hidden_group_size_y
      - .offset:         32
        .size:           2
        .value_kind:     hidden_group_size_z
      - .offset:         34
        .size:           2
        .value_kind:     hidden_remainder_x
      - .offset:         36
        .size:           2
        .value_kind:     hidden_remainder_y
      - .offset:         38
        .size:           2
        .value_kind:     hidden_remainder_z
      - .offset:         56
        .size:           8
        .value_kind:     hidden_global_offset_x
      - .offset:         64
        .size:           8
        .value_kind:     hidden_global_offset_y
      - .offset:         72
        .size:           8
        .value_kind:     hidden_global_offset_z
      - .offset:         80
        .size:           2
        .value_kind:     hidden_grid_dims
    .group_segment_fixed_size: 1040
    .kernarg_segment_align: 8
    .kernarg_segment_size: 272
    .language:       OpenCL C
    .language_version:
      - 2
      - 0
    .max_flat_workgroup_size: 256
    .name:           _Z11rank_kernelIiLj4ELb0EL18RadixRankAlgorithm2ELj256ELj8ELj10EEvPKT_Pi
    .private_segment_fixed_size: 0
    .sgpr_count:     38
    .sgpr_spill_count: 0
    .symbol:         _Z11rank_kernelIiLj4ELb0EL18RadixRankAlgorithm2ELj256ELj8ELj10EEvPKT_Pi.kd
    .uniform_work_group_size: 1
    .uses_dynamic_stack: false
    .vgpr_count:     42
    .vgpr_spill_count: 0
    .wavefront_size: 64
  - .args:
      - .address_space:  global
        .offset:         0
        .size:           8
        .value_kind:     global_buffer
      - .address_space:  global
        .offset:         8
        .size:           8
        .value_kind:     global_buffer
    .group_segment_fixed_size: 8208
    .kernarg_segment_align: 8
    .kernarg_segment_size: 16
    .language:       OpenCL C
    .language_version:
      - 2
      - 0
    .max_flat_workgroup_size: 256
    .name:           _Z11rank_kernelIiLj4ELb0EL18RadixRankAlgorithm0ELj256ELj16ELj10EEvPKT_Pi
    .private_segment_fixed_size: 0
    .sgpr_count:     39
    .sgpr_spill_count: 0
    .symbol:         _Z11rank_kernelIiLj4ELb0EL18RadixRankAlgorithm0ELj256ELj16ELj10EEvPKT_Pi.kd
    .uniform_work_group_size: 1
    .uses_dynamic_stack: false
    .vgpr_count:     63
    .vgpr_spill_count: 0
    .wavefront_size: 64
  - .args:
      - .address_space:  global
        .offset:         0
        .size:           8
        .value_kind:     global_buffer
      - .address_space:  global
        .offset:         8
        .size:           8
        .value_kind:     global_buffer
    .group_segment_fixed_size: 8208
    .kernarg_segment_align: 8
    .kernarg_segment_size: 16
    .language:       OpenCL C
    .language_version:
      - 2
      - 0
    .max_flat_workgroup_size: 256
    .name:           _Z11rank_kernelIiLj4ELb0EL18RadixRankAlgorithm1ELj256ELj16ELj10EEvPKT_Pi
    .private_segment_fixed_size: 0
    .sgpr_count:     39
    .sgpr_spill_count: 0
    .symbol:         _Z11rank_kernelIiLj4ELb0EL18RadixRankAlgorithm1ELj256ELj16ELj10EEvPKT_Pi.kd
    .uniform_work_group_size: 1
    .uses_dynamic_stack: false
    .vgpr_count:     67
    .vgpr_spill_count: 0
    .wavefront_size: 64
  - .args:
      - .address_space:  global
        .offset:         0
        .size:           8
        .value_kind:     global_buffer
      - .address_space:  global
        .offset:         8
        .size:           8
        .value_kind:     global_buffer
      - .offset:         16
        .size:           4
        .value_kind:     hidden_block_count_x
      - .offset:         20
        .size:           4
        .value_kind:     hidden_block_count_y
      - .offset:         24
        .size:           4
        .value_kind:     hidden_block_count_z
      - .offset:         28
        .size:           2
        .value_kind:     hidden_group_size_x
      - .offset:         30
        .size:           2
        .value_kind:     hidden_group_size_y
      - .offset:         32
        .size:           2
        .value_kind:     hidden_group_size_z
      - .offset:         34
        .size:           2
        .value_kind:     hidden_remainder_x
      - .offset:         36
        .size:           2
        .value_kind:     hidden_remainder_y
      - .offset:         38
        .size:           2
        .value_kind:     hidden_remainder_z
      - .offset:         56
        .size:           8
        .value_kind:     hidden_global_offset_x
      - .offset:         64
        .size:           8
        .value_kind:     hidden_global_offset_y
      - .offset:         72
        .size:           8
        .value_kind:     hidden_global_offset_z
      - .offset:         80
        .size:           2
        .value_kind:     hidden_grid_dims
    .group_segment_fixed_size: 1040
    .kernarg_segment_align: 8
    .kernarg_segment_size: 272
    .language:       OpenCL C
    .language_version:
      - 2
      - 0
    .max_flat_workgroup_size: 256
    .name:           _Z11rank_kernelIiLj4ELb0EL18RadixRankAlgorithm2ELj256ELj16ELj10EEvPKT_Pi
    .private_segment_fixed_size: 0
    .sgpr_count:     38
    .sgpr_spill_count: 0
    .symbol:         _Z11rank_kernelIiLj4ELb0EL18RadixRankAlgorithm2ELj256ELj16ELj10EEvPKT_Pi.kd
    .uniform_work_group_size: 1
    .uses_dynamic_stack: false
    .vgpr_count:     74
    .vgpr_spill_count: 0
    .wavefront_size: 64
  - .args:
      - .address_space:  global
        .offset:         0
        .size:           8
        .value_kind:     global_buffer
      - .address_space:  global
        .offset:         8
        .size:           8
        .value_kind:     global_buffer
    .group_segment_fixed_size: 8208
    .kernarg_segment_align: 8
    .kernarg_segment_size: 16
    .language:       OpenCL C
    .language_version:
      - 2
      - 0
    .max_flat_workgroup_size: 256
    .name:           _Z11rank_kernelIiLj4ELb0EL18RadixRankAlgorithm0ELj256ELj32ELj10EEvPKT_Pi
    .private_segment_fixed_size: 0
    .sgpr_count:     39
    .sgpr_spill_count: 0
    .symbol:         _Z11rank_kernelIiLj4ELb0EL18RadixRankAlgorithm0ELj256ELj32ELj10EEvPKT_Pi.kd
    .uniform_work_group_size: 1
    .uses_dynamic_stack: false
    .vgpr_count:     113
    .vgpr_spill_count: 0
    .wavefront_size: 64
  - .args:
      - .address_space:  global
        .offset:         0
        .size:           8
        .value_kind:     global_buffer
      - .address_space:  global
        .offset:         8
        .size:           8
        .value_kind:     global_buffer
    .group_segment_fixed_size: 8208
    .kernarg_segment_align: 8
    .kernarg_segment_size: 16
    .language:       OpenCL C
    .language_version:
      - 2
      - 0
    .max_flat_workgroup_size: 256
    .name:           _Z11rank_kernelIiLj4ELb0EL18RadixRankAlgorithm1ELj256ELj32ELj10EEvPKT_Pi
    .private_segment_fixed_size: 0
    .sgpr_count:     39
    .sgpr_spill_count: 0
    .symbol:         _Z11rank_kernelIiLj4ELb0EL18RadixRankAlgorithm1ELj256ELj32ELj10EEvPKT_Pi.kd
    .uniform_work_group_size: 1
    .uses_dynamic_stack: false
    .vgpr_count:     114
    .vgpr_spill_count: 0
    .wavefront_size: 64
  - .args:
      - .address_space:  global
        .offset:         0
        .size:           8
        .value_kind:     global_buffer
      - .address_space:  global
        .offset:         8
        .size:           8
        .value_kind:     global_buffer
      - .offset:         16
        .size:           4
        .value_kind:     hidden_block_count_x
      - .offset:         20
        .size:           4
        .value_kind:     hidden_block_count_y
      - .offset:         24
        .size:           4
        .value_kind:     hidden_block_count_z
      - .offset:         28
        .size:           2
        .value_kind:     hidden_group_size_x
      - .offset:         30
        .size:           2
        .value_kind:     hidden_group_size_y
      - .offset:         32
        .size:           2
        .value_kind:     hidden_group_size_z
      - .offset:         34
        .size:           2
        .value_kind:     hidden_remainder_x
      - .offset:         36
        .size:           2
        .value_kind:     hidden_remainder_y
      - .offset:         38
        .size:           2
        .value_kind:     hidden_remainder_z
      - .offset:         56
        .size:           8
        .value_kind:     hidden_global_offset_x
      - .offset:         64
        .size:           8
        .value_kind:     hidden_global_offset_y
      - .offset:         72
        .size:           8
        .value_kind:     hidden_global_offset_z
      - .offset:         80
        .size:           2
        .value_kind:     hidden_grid_dims
    .group_segment_fixed_size: 1040
    .kernarg_segment_align: 8
    .kernarg_segment_size: 272
    .language:       OpenCL C
    .language_version:
      - 2
      - 0
    .max_flat_workgroup_size: 256
    .name:           _Z11rank_kernelIiLj4ELb0EL18RadixRankAlgorithm2ELj256ELj32ELj10EEvPKT_Pi
    .private_segment_fixed_size: 0
    .sgpr_count:     38
    .sgpr_spill_count: 0
    .symbol:         _Z11rank_kernelIiLj4ELb0EL18RadixRankAlgorithm2ELj256ELj32ELj10EEvPKT_Pi.kd
    .uniform_work_group_size: 1
    .uses_dynamic_stack: false
    .vgpr_count:     138
    .vgpr_spill_count: 0
    .wavefront_size: 64
  - .args:
      - .address_space:  global
        .offset:         0
        .size:           8
        .value_kind:     global_buffer
      - .address_space:  global
        .offset:         8
        .size:           8
        .value_kind:     global_buffer
    .group_segment_fixed_size: 16416
    .kernarg_segment_align: 8
    .kernarg_segment_size: 16
    .language:       OpenCL C
    .language_version:
      - 2
      - 0
    .max_flat_workgroup_size: 512
    .name:           _Z11rank_kernelIiLj4ELb0EL18RadixRankAlgorithm0ELj512ELj1ELj10EEvPKT_Pi
    .private_segment_fixed_size: 0
    .sgpr_count:     40
    .sgpr_spill_count: 0
    .symbol:         _Z11rank_kernelIiLj4ELb0EL18RadixRankAlgorithm0ELj512ELj1ELj10EEvPKT_Pi.kd
    .uniform_work_group_size: 1
    .uses_dynamic_stack: false
    .vgpr_count:     27
    .vgpr_spill_count: 0
    .wavefront_size: 64
  - .args:
      - .address_space:  global
        .offset:         0
        .size:           8
        .value_kind:     global_buffer
      - .address_space:  global
        .offset:         8
        .size:           8
        .value_kind:     global_buffer
    .group_segment_fixed_size: 16416
    .kernarg_segment_align: 8
    .kernarg_segment_size: 16
    .language:       OpenCL C
    .language_version:
      - 2
      - 0
    .max_flat_workgroup_size: 512
    .name:           _Z11rank_kernelIiLj4ELb0EL18RadixRankAlgorithm1ELj512ELj1ELj10EEvPKT_Pi
    .private_segment_fixed_size: 0
    .sgpr_count:     40
    .sgpr_spill_count: 0
    .symbol:         _Z11rank_kernelIiLj4ELb0EL18RadixRankAlgorithm1ELj512ELj1ELj10EEvPKT_Pi.kd
    .uniform_work_group_size: 1
    .uses_dynamic_stack: false
    .vgpr_count:     27
    .vgpr_spill_count: 0
    .wavefront_size: 64
  - .args:
      - .address_space:  global
        .offset:         0
        .size:           8
        .value_kind:     global_buffer
      - .address_space:  global
        .offset:         8
        .size:           8
        .value_kind:     global_buffer
      - .offset:         16
        .size:           4
        .value_kind:     hidden_block_count_x
      - .offset:         20
        .size:           4
        .value_kind:     hidden_block_count_y
      - .offset:         24
        .size:           4
        .value_kind:     hidden_block_count_z
      - .offset:         28
        .size:           2
        .value_kind:     hidden_group_size_x
      - .offset:         30
        .size:           2
        .value_kind:     hidden_group_size_y
      - .offset:         32
        .size:           2
        .value_kind:     hidden_group_size_z
      - .offset:         34
        .size:           2
        .value_kind:     hidden_remainder_x
      - .offset:         36
        .size:           2
        .value_kind:     hidden_remainder_y
      - .offset:         38
        .size:           2
        .value_kind:     hidden_remainder_z
      - .offset:         56
        .size:           8
        .value_kind:     hidden_global_offset_x
      - .offset:         64
        .size:           8
        .value_kind:     hidden_global_offset_y
      - .offset:         72
        .size:           8
        .value_kind:     hidden_global_offset_z
      - .offset:         80
        .size:           2
        .value_kind:     hidden_grid_dims
    .group_segment_fixed_size: 2080
    .kernarg_segment_align: 8
    .kernarg_segment_size: 272
    .language:       OpenCL C
    .language_version:
      - 2
      - 0
    .max_flat_workgroup_size: 512
    .name:           _Z11rank_kernelIiLj4ELb0EL18RadixRankAlgorithm2ELj512ELj1ELj10EEvPKT_Pi
    .private_segment_fixed_size: 0
    .sgpr_count:     42
    .sgpr_spill_count: 0
    .symbol:         _Z11rank_kernelIiLj4ELb0EL18RadixRankAlgorithm2ELj512ELj1ELj10EEvPKT_Pi.kd
    .uniform_work_group_size: 1
    .uses_dynamic_stack: false
    .vgpr_count:     14
    .vgpr_spill_count: 0
    .wavefront_size: 64
  - .args:
      - .address_space:  global
        .offset:         0
        .size:           8
        .value_kind:     global_buffer
      - .address_space:  global
        .offset:         8
        .size:           8
        .value_kind:     global_buffer
    .group_segment_fixed_size: 16416
    .kernarg_segment_align: 8
    .kernarg_segment_size: 16
    .language:       OpenCL C
    .language_version:
      - 2
      - 0
    .max_flat_workgroup_size: 512
    .name:           _Z11rank_kernelIiLj4ELb0EL18RadixRankAlgorithm0ELj512ELj4ELj10EEvPKT_Pi
    .private_segment_fixed_size: 0
    .sgpr_count:     41
    .sgpr_spill_count: 0
    .symbol:         _Z11rank_kernelIiLj4ELb0EL18RadixRankAlgorithm0ELj512ELj4ELj10EEvPKT_Pi.kd
    .uniform_work_group_size: 1
    .uses_dynamic_stack: false
    .vgpr_count:     29
    .vgpr_spill_count: 0
    .wavefront_size: 64
  - .args:
      - .address_space:  global
        .offset:         0
        .size:           8
        .value_kind:     global_buffer
      - .address_space:  global
        .offset:         8
        .size:           8
        .value_kind:     global_buffer
    .group_segment_fixed_size: 16416
    .kernarg_segment_align: 8
    .kernarg_segment_size: 16
    .language:       OpenCL C
    .language_version:
      - 2
      - 0
    .max_flat_workgroup_size: 512
    .name:           _Z11rank_kernelIiLj4ELb0EL18RadixRankAlgorithm1ELj512ELj4ELj10EEvPKT_Pi
    .private_segment_fixed_size: 0
    .sgpr_count:     41
    .sgpr_spill_count: 0
    .symbol:         _Z11rank_kernelIiLj4ELb0EL18RadixRankAlgorithm1ELj512ELj4ELj10EEvPKT_Pi.kd
    .uniform_work_group_size: 1
    .uses_dynamic_stack: false
    .vgpr_count:     30
    .vgpr_spill_count: 0
    .wavefront_size: 64
  - .args:
      - .address_space:  global
        .offset:         0
        .size:           8
        .value_kind:     global_buffer
      - .address_space:  global
        .offset:         8
        .size:           8
        .value_kind:     global_buffer
      - .offset:         16
        .size:           4
        .value_kind:     hidden_block_count_x
      - .offset:         20
        .size:           4
        .value_kind:     hidden_block_count_y
      - .offset:         24
        .size:           4
        .value_kind:     hidden_block_count_z
      - .offset:         28
        .size:           2
        .value_kind:     hidden_group_size_x
      - .offset:         30
        .size:           2
        .value_kind:     hidden_group_size_y
      - .offset:         32
        .size:           2
        .value_kind:     hidden_group_size_z
      - .offset:         34
        .size:           2
        .value_kind:     hidden_remainder_x
      - .offset:         36
        .size:           2
        .value_kind:     hidden_remainder_y
      - .offset:         38
        .size:           2
        .value_kind:     hidden_remainder_z
      - .offset:         56
        .size:           8
        .value_kind:     hidden_global_offset_x
      - .offset:         64
        .size:           8
        .value_kind:     hidden_global_offset_y
      - .offset:         72
        .size:           8
        .value_kind:     hidden_global_offset_z
      - .offset:         80
        .size:           2
        .value_kind:     hidden_grid_dims
    .group_segment_fixed_size: 2080
    .kernarg_segment_align: 8
    .kernarg_segment_size: 272
    .language:       OpenCL C
    .language_version:
      - 2
      - 0
    .max_flat_workgroup_size: 512
    .name:           _Z11rank_kernelIiLj4ELb0EL18RadixRankAlgorithm2ELj512ELj4ELj10EEvPKT_Pi
    .private_segment_fixed_size: 0
    .sgpr_count:     42
    .sgpr_spill_count: 0
    .symbol:         _Z11rank_kernelIiLj4ELb0EL18RadixRankAlgorithm2ELj512ELj4ELj10EEvPKT_Pi.kd
    .uniform_work_group_size: 1
    .uses_dynamic_stack: false
    .vgpr_count:     25
    .vgpr_spill_count: 0
    .wavefront_size: 64
  - .args:
      - .address_space:  global
        .offset:         0
        .size:           8
        .value_kind:     global_buffer
      - .address_space:  global
        .offset:         8
        .size:           8
        .value_kind:     global_buffer
    .group_segment_fixed_size: 16416
    .kernarg_segment_align: 8
    .kernarg_segment_size: 16
    .language:       OpenCL C
    .language_version:
      - 2
      - 0
    .max_flat_workgroup_size: 512
    .name:           _Z11rank_kernelIiLj4ELb0EL18RadixRankAlgorithm0ELj512ELj8ELj10EEvPKT_Pi
    .private_segment_fixed_size: 0
    .sgpr_count:     41
    .sgpr_spill_count: 0
    .symbol:         _Z11rank_kernelIiLj4ELb0EL18RadixRankAlgorithm0ELj512ELj8ELj10EEvPKT_Pi.kd
    .uniform_work_group_size: 1
    .uses_dynamic_stack: false
    .vgpr_count:     39
    .vgpr_spill_count: 0
    .wavefront_size: 64
  - .args:
      - .address_space:  global
        .offset:         0
        .size:           8
        .value_kind:     global_buffer
      - .address_space:  global
        .offset:         8
        .size:           8
        .value_kind:     global_buffer
    .group_segment_fixed_size: 16416
    .kernarg_segment_align: 8
    .kernarg_segment_size: 16
    .language:       OpenCL C
    .language_version:
      - 2
      - 0
    .max_flat_workgroup_size: 512
    .name:           _Z11rank_kernelIiLj4ELb0EL18RadixRankAlgorithm1ELj512ELj8ELj10EEvPKT_Pi
    .private_segment_fixed_size: 0
    .sgpr_count:     41
    .sgpr_spill_count: 0
    .symbol:         _Z11rank_kernelIiLj4ELb0EL18RadixRankAlgorithm1ELj512ELj8ELj10EEvPKT_Pi.kd
    .uniform_work_group_size: 1
    .uses_dynamic_stack: false
    .vgpr_count:     43
    .vgpr_spill_count: 0
    .wavefront_size: 64
  - .args:
      - .address_space:  global
        .offset:         0
        .size:           8
        .value_kind:     global_buffer
      - .address_space:  global
        .offset:         8
        .size:           8
        .value_kind:     global_buffer
      - .offset:         16
        .size:           4
        .value_kind:     hidden_block_count_x
      - .offset:         20
        .size:           4
        .value_kind:     hidden_block_count_y
      - .offset:         24
        .size:           4
        .value_kind:     hidden_block_count_z
      - .offset:         28
        .size:           2
        .value_kind:     hidden_group_size_x
      - .offset:         30
        .size:           2
        .value_kind:     hidden_group_size_y
      - .offset:         32
        .size:           2
        .value_kind:     hidden_group_size_z
      - .offset:         34
        .size:           2
        .value_kind:     hidden_remainder_x
      - .offset:         36
        .size:           2
        .value_kind:     hidden_remainder_y
      - .offset:         38
        .size:           2
        .value_kind:     hidden_remainder_z
      - .offset:         56
        .size:           8
        .value_kind:     hidden_global_offset_x
      - .offset:         64
        .size:           8
        .value_kind:     hidden_global_offset_y
      - .offset:         72
        .size:           8
        .value_kind:     hidden_global_offset_z
      - .offset:         80
        .size:           2
        .value_kind:     hidden_grid_dims
    .group_segment_fixed_size: 2080
    .kernarg_segment_align: 8
    .kernarg_segment_size: 272
    .language:       OpenCL C
    .language_version:
      - 2
      - 0
    .max_flat_workgroup_size: 512
    .name:           _Z11rank_kernelIiLj4ELb0EL18RadixRankAlgorithm2ELj512ELj8ELj10EEvPKT_Pi
    .private_segment_fixed_size: 0
    .sgpr_count:     42
    .sgpr_spill_count: 0
    .symbol:         _Z11rank_kernelIiLj4ELb0EL18RadixRankAlgorithm2ELj512ELj8ELj10EEvPKT_Pi.kd
    .uniform_work_group_size: 1
    .uses_dynamic_stack: false
    .vgpr_count:     42
    .vgpr_spill_count: 0
    .wavefront_size: 64
  - .args:
      - .address_space:  global
        .offset:         0
        .size:           8
        .value_kind:     global_buffer
      - .address_space:  global
        .offset:         8
        .size:           8
        .value_kind:     global_buffer
    .group_segment_fixed_size: 16416
    .kernarg_segment_align: 8
    .kernarg_segment_size: 16
    .language:       OpenCL C
    .language_version:
      - 2
      - 0
    .max_flat_workgroup_size: 512
    .name:           _Z11rank_kernelIiLj4ELb0EL18RadixRankAlgorithm0ELj512ELj16ELj10EEvPKT_Pi
    .private_segment_fixed_size: 0
    .sgpr_count:     41
    .sgpr_spill_count: 0
    .symbol:         _Z11rank_kernelIiLj4ELb0EL18RadixRankAlgorithm0ELj512ELj16ELj10EEvPKT_Pi.kd
    .uniform_work_group_size: 1
    .uses_dynamic_stack: false
    .vgpr_count:     63
    .vgpr_spill_count: 0
    .wavefront_size: 64
  - .args:
      - .address_space:  global
        .offset:         0
        .size:           8
        .value_kind:     global_buffer
      - .address_space:  global
        .offset:         8
        .size:           8
        .value_kind:     global_buffer
    .group_segment_fixed_size: 16416
    .kernarg_segment_align: 8
    .kernarg_segment_size: 16
    .language:       OpenCL C
    .language_version:
      - 2
      - 0
    .max_flat_workgroup_size: 512
    .name:           _Z11rank_kernelIiLj4ELb0EL18RadixRankAlgorithm1ELj512ELj16ELj10EEvPKT_Pi
    .private_segment_fixed_size: 0
    .sgpr_count:     41
    .sgpr_spill_count: 0
    .symbol:         _Z11rank_kernelIiLj4ELb0EL18RadixRankAlgorithm1ELj512ELj16ELj10EEvPKT_Pi.kd
    .uniform_work_group_size: 1
    .uses_dynamic_stack: false
    .vgpr_count:     67
    .vgpr_spill_count: 0
    .wavefront_size: 64
  - .args:
      - .address_space:  global
        .offset:         0
        .size:           8
        .value_kind:     global_buffer
      - .address_space:  global
        .offset:         8
        .size:           8
        .value_kind:     global_buffer
      - .offset:         16
        .size:           4
        .value_kind:     hidden_block_count_x
      - .offset:         20
        .size:           4
        .value_kind:     hidden_block_count_y
      - .offset:         24
        .size:           4
        .value_kind:     hidden_block_count_z
      - .offset:         28
        .size:           2
        .value_kind:     hidden_group_size_x
      - .offset:         30
        .size:           2
        .value_kind:     hidden_group_size_y
      - .offset:         32
        .size:           2
        .value_kind:     hidden_group_size_z
      - .offset:         34
        .size:           2
        .value_kind:     hidden_remainder_x
      - .offset:         36
        .size:           2
        .value_kind:     hidden_remainder_y
      - .offset:         38
        .size:           2
        .value_kind:     hidden_remainder_z
      - .offset:         56
        .size:           8
        .value_kind:     hidden_global_offset_x
      - .offset:         64
        .size:           8
        .value_kind:     hidden_global_offset_y
      - .offset:         72
        .size:           8
        .value_kind:     hidden_global_offset_z
      - .offset:         80
        .size:           2
        .value_kind:     hidden_grid_dims
    .group_segment_fixed_size: 2080
    .kernarg_segment_align: 8
    .kernarg_segment_size: 272
    .language:       OpenCL C
    .language_version:
      - 2
      - 0
    .max_flat_workgroup_size: 512
    .name:           _Z11rank_kernelIiLj4ELb0EL18RadixRankAlgorithm2ELj512ELj16ELj10EEvPKT_Pi
    .private_segment_fixed_size: 0
    .sgpr_count:     42
    .sgpr_spill_count: 0
    .symbol:         _Z11rank_kernelIiLj4ELb0EL18RadixRankAlgorithm2ELj512ELj16ELj10EEvPKT_Pi.kd
    .uniform_work_group_size: 1
    .uses_dynamic_stack: false
    .vgpr_count:     74
    .vgpr_spill_count: 0
    .wavefront_size: 64
  - .args:
      - .address_space:  global
        .offset:         0
        .size:           8
        .value_kind:     global_buffer
      - .address_space:  global
        .offset:         8
        .size:           8
        .value_kind:     global_buffer
    .group_segment_fixed_size: 16416
    .kernarg_segment_align: 8
    .kernarg_segment_size: 16
    .language:       OpenCL C
    .language_version:
      - 2
      - 0
    .max_flat_workgroup_size: 512
    .name:           _Z11rank_kernelIiLj4ELb0EL18RadixRankAlgorithm0ELj512ELj32ELj10EEvPKT_Pi
    .private_segment_fixed_size: 0
    .sgpr_count:     41
    .sgpr_spill_count: 0
    .symbol:         _Z11rank_kernelIiLj4ELb0EL18RadixRankAlgorithm0ELj512ELj32ELj10EEvPKT_Pi.kd
    .uniform_work_group_size: 1
    .uses_dynamic_stack: false
    .vgpr_count:     113
    .vgpr_spill_count: 0
    .wavefront_size: 64
  - .args:
      - .address_space:  global
        .offset:         0
        .size:           8
        .value_kind:     global_buffer
      - .address_space:  global
        .offset:         8
        .size:           8
        .value_kind:     global_buffer
    .group_segment_fixed_size: 16416
    .kernarg_segment_align: 8
    .kernarg_segment_size: 16
    .language:       OpenCL C
    .language_version:
      - 2
      - 0
    .max_flat_workgroup_size: 512
    .name:           _Z11rank_kernelIiLj4ELb0EL18RadixRankAlgorithm1ELj512ELj32ELj10EEvPKT_Pi
    .private_segment_fixed_size: 0
    .sgpr_count:     41
    .sgpr_spill_count: 0
    .symbol:         _Z11rank_kernelIiLj4ELb0EL18RadixRankAlgorithm1ELj512ELj32ELj10EEvPKT_Pi.kd
    .uniform_work_group_size: 1
    .uses_dynamic_stack: false
    .vgpr_count:     114
    .vgpr_spill_count: 0
    .wavefront_size: 64
  - .args:
      - .address_space:  global
        .offset:         0
        .size:           8
        .value_kind:     global_buffer
      - .address_space:  global
        .offset:         8
        .size:           8
        .value_kind:     global_buffer
      - .offset:         16
        .size:           4
        .value_kind:     hidden_block_count_x
      - .offset:         20
        .size:           4
        .value_kind:     hidden_block_count_y
      - .offset:         24
        .size:           4
        .value_kind:     hidden_block_count_z
      - .offset:         28
        .size:           2
        .value_kind:     hidden_group_size_x
      - .offset:         30
        .size:           2
        .value_kind:     hidden_group_size_y
      - .offset:         32
        .size:           2
        .value_kind:     hidden_group_size_z
      - .offset:         34
        .size:           2
        .value_kind:     hidden_remainder_x
      - .offset:         36
        .size:           2
        .value_kind:     hidden_remainder_y
      - .offset:         38
        .size:           2
        .value_kind:     hidden_remainder_z
      - .offset:         56
        .size:           8
        .value_kind:     hidden_global_offset_x
      - .offset:         64
        .size:           8
        .value_kind:     hidden_global_offset_y
      - .offset:         72
        .size:           8
        .value_kind:     hidden_global_offset_z
      - .offset:         80
        .size:           2
        .value_kind:     hidden_grid_dims
    .group_segment_fixed_size: 2080
    .kernarg_segment_align: 8
    .kernarg_segment_size: 272
    .language:       OpenCL C
    .language_version:
      - 2
      - 0
    .max_flat_workgroup_size: 512
    .name:           _Z11rank_kernelIiLj4ELb0EL18RadixRankAlgorithm2ELj512ELj32ELj10EEvPKT_Pi
    .private_segment_fixed_size: 40
    .sgpr_count:     48
    .sgpr_spill_count: 0
    .symbol:         _Z11rank_kernelIiLj4ELb0EL18RadixRankAlgorithm2ELj512ELj32ELj10EEvPKT_Pi.kd
    .uniform_work_group_size: 1
    .uses_dynamic_stack: false
    .vgpr_count:     128
    .vgpr_spill_count: 9
    .wavefront_size: 64
  - .args:
      - .address_space:  global
        .offset:         0
        .size:           8
        .value_kind:     global_buffer
      - .address_space:  global
        .offset:         8
        .size:           8
        .value_kind:     global_buffer
    .group_segment_fixed_size: 4104
    .kernarg_segment_align: 8
    .kernarg_segment_size: 16
    .language:       OpenCL C
    .language_version:
      - 2
      - 0
    .max_flat_workgroup_size: 128
    .name:           _Z11rank_kernelIhLj4ELb0EL18RadixRankAlgorithm0ELj128ELj1ELj10EEvPKT_Pi
    .private_segment_fixed_size: 0
    .sgpr_count:     46
    .sgpr_spill_count: 0
    .symbol:         _Z11rank_kernelIhLj4ELb0EL18RadixRankAlgorithm0ELj128ELj1ELj10EEvPKT_Pi.kd
    .uniform_work_group_size: 1
    .uses_dynamic_stack: false
    .vgpr_count:     19
    .vgpr_spill_count: 0
    .wavefront_size: 64
  - .args:
      - .address_space:  global
        .offset:         0
        .size:           8
        .value_kind:     global_buffer
      - .address_space:  global
        .offset:         8
        .size:           8
        .value_kind:     global_buffer
    .group_segment_fixed_size: 4104
    .kernarg_segment_align: 8
    .kernarg_segment_size: 16
    .language:       OpenCL C
    .language_version:
      - 2
      - 0
    .max_flat_workgroup_size: 128
    .name:           _Z11rank_kernelIhLj4ELb0EL18RadixRankAlgorithm1ELj128ELj1ELj10EEvPKT_Pi
    .private_segment_fixed_size: 0
    .sgpr_count:     46
    .sgpr_spill_count: 0
    .symbol:         _Z11rank_kernelIhLj4ELb0EL18RadixRankAlgorithm1ELj128ELj1ELj10EEvPKT_Pi.kd
    .uniform_work_group_size: 1
    .uses_dynamic_stack: false
    .vgpr_count:     19
    .vgpr_spill_count: 0
    .wavefront_size: 64
  - .args:
      - .address_space:  global
        .offset:         0
        .size:           8
        .value_kind:     global_buffer
      - .address_space:  global
        .offset:         8
        .size:           8
        .value_kind:     global_buffer
      - .offset:         16
        .size:           4
        .value_kind:     hidden_block_count_x
      - .offset:         20
        .size:           4
        .value_kind:     hidden_block_count_y
      - .offset:         24
        .size:           4
        .value_kind:     hidden_block_count_z
      - .offset:         28
        .size:           2
        .value_kind:     hidden_group_size_x
      - .offset:         30
        .size:           2
        .value_kind:     hidden_group_size_y
      - .offset:         32
        .size:           2
        .value_kind:     hidden_group_size_z
      - .offset:         34
        .size:           2
        .value_kind:     hidden_remainder_x
      - .offset:         36
        .size:           2
        .value_kind:     hidden_remainder_y
      - .offset:         38
        .size:           2
        .value_kind:     hidden_remainder_z
      - .offset:         56
        .size:           8
        .value_kind:     hidden_global_offset_x
      - .offset:         64
        .size:           8
        .value_kind:     hidden_global_offset_y
      - .offset:         72
        .size:           8
        .value_kind:     hidden_global_offset_z
      - .offset:         80
        .size:           2
        .value_kind:     hidden_grid_dims
    .group_segment_fixed_size: 520
    .kernarg_segment_align: 8
    .kernarg_segment_size: 272
    .language:       OpenCL C
    .language_version:
      - 2
      - 0
    .max_flat_workgroup_size: 128
    .name:           _Z11rank_kernelIhLj4ELb0EL18RadixRankAlgorithm2ELj128ELj1ELj10EEvPKT_Pi
    .private_segment_fixed_size: 0
    .sgpr_count:     50
    .sgpr_spill_count: 0
    .symbol:         _Z11rank_kernelIhLj4ELb0EL18RadixRankAlgorithm2ELj128ELj1ELj10EEvPKT_Pi.kd
    .uniform_work_group_size: 1
    .uses_dynamic_stack: false
    .vgpr_count:     29
    .vgpr_spill_count: 0
    .wavefront_size: 64
  - .args:
      - .address_space:  global
        .offset:         0
        .size:           8
        .value_kind:     global_buffer
      - .address_space:  global
        .offset:         8
        .size:           8
        .value_kind:     global_buffer
    .group_segment_fixed_size: 4104
    .kernarg_segment_align: 8
    .kernarg_segment_size: 16
    .language:       OpenCL C
    .language_version:
      - 2
      - 0
    .max_flat_workgroup_size: 128
    .name:           _Z11rank_kernelIhLj4ELb0EL18RadixRankAlgorithm0ELj128ELj4ELj10EEvPKT_Pi
    .private_segment_fixed_size: 0
    .sgpr_count:     46
    .sgpr_spill_count: 0
    .symbol:         _Z11rank_kernelIhLj4ELb0EL18RadixRankAlgorithm0ELj128ELj4ELj10EEvPKT_Pi.kd
    .uniform_work_group_size: 1
    .uses_dynamic_stack: false
    .vgpr_count:     28
    .vgpr_spill_count: 0
    .wavefront_size: 64
  - .args:
      - .address_space:  global
        .offset:         0
        .size:           8
        .value_kind:     global_buffer
      - .address_space:  global
        .offset:         8
        .size:           8
        .value_kind:     global_buffer
    .group_segment_fixed_size: 4104
    .kernarg_segment_align: 8
    .kernarg_segment_size: 16
    .language:       OpenCL C
    .language_version:
      - 2
      - 0
    .max_flat_workgroup_size: 128
    .name:           _Z11rank_kernelIhLj4ELb0EL18RadixRankAlgorithm1ELj128ELj4ELj10EEvPKT_Pi
    .private_segment_fixed_size: 0
    .sgpr_count:     46
    .sgpr_spill_count: 0
    .symbol:         _Z11rank_kernelIhLj4ELb0EL18RadixRankAlgorithm1ELj128ELj4ELj10EEvPKT_Pi.kd
    .uniform_work_group_size: 1
    .uses_dynamic_stack: false
    .vgpr_count:     28
    .vgpr_spill_count: 0
    .wavefront_size: 64
  - .args:
      - .address_space:  global
        .offset:         0
        .size:           8
        .value_kind:     global_buffer
      - .address_space:  global
        .offset:         8
        .size:           8
        .value_kind:     global_buffer
      - .offset:         16
        .size:           4
        .value_kind:     hidden_block_count_x
      - .offset:         20
        .size:           4
        .value_kind:     hidden_block_count_y
      - .offset:         24
        .size:           4
        .value_kind:     hidden_block_count_z
      - .offset:         28
        .size:           2
        .value_kind:     hidden_group_size_x
      - .offset:         30
        .size:           2
        .value_kind:     hidden_group_size_y
      - .offset:         32
        .size:           2
        .value_kind:     hidden_group_size_z
      - .offset:         34
        .size:           2
        .value_kind:     hidden_remainder_x
      - .offset:         36
        .size:           2
        .value_kind:     hidden_remainder_y
      - .offset:         38
        .size:           2
        .value_kind:     hidden_remainder_z
      - .offset:         56
        .size:           8
        .value_kind:     hidden_global_offset_x
      - .offset:         64
        .size:           8
        .value_kind:     hidden_global_offset_y
      - .offset:         72
        .size:           8
        .value_kind:     hidden_global_offset_z
      - .offset:         80
        .size:           2
        .value_kind:     hidden_grid_dims
    .group_segment_fixed_size: 520
    .kernarg_segment_align: 8
    .kernarg_segment_size: 272
    .language:       OpenCL C
    .language_version:
      - 2
      - 0
    .max_flat_workgroup_size: 128
    .name:           _Z11rank_kernelIhLj4ELb0EL18RadixRankAlgorithm2ELj128ELj4ELj10EEvPKT_Pi
    .private_segment_fixed_size: 0
    .sgpr_count:     98
    .sgpr_spill_count: 0
    .symbol:         _Z11rank_kernelIhLj4ELb0EL18RadixRankAlgorithm2ELj128ELj4ELj10EEvPKT_Pi.kd
    .uniform_work_group_size: 1
    .uses_dynamic_stack: false
    .vgpr_count:     88
    .vgpr_spill_count: 0
    .wavefront_size: 64
  - .args:
      - .address_space:  global
        .offset:         0
        .size:           8
        .value_kind:     global_buffer
      - .address_space:  global
        .offset:         8
        .size:           8
        .value_kind:     global_buffer
    .group_segment_fixed_size: 4104
    .kernarg_segment_align: 8
    .kernarg_segment_size: 16
    .language:       OpenCL C
    .language_version:
      - 2
      - 0
    .max_flat_workgroup_size: 128
    .name:           _Z11rank_kernelIhLj4ELb0EL18RadixRankAlgorithm0ELj128ELj8ELj10EEvPKT_Pi
    .private_segment_fixed_size: 0
    .sgpr_count:     46
    .sgpr_spill_count: 0
    .symbol:         _Z11rank_kernelIhLj4ELb0EL18RadixRankAlgorithm0ELj128ELj8ELj10EEvPKT_Pi.kd
    .uniform_work_group_size: 1
    .uses_dynamic_stack: false
    .vgpr_count:     39
    .vgpr_spill_count: 0
    .wavefront_size: 64
  - .args:
      - .address_space:  global
        .offset:         0
        .size:           8
        .value_kind:     global_buffer
      - .address_space:  global
        .offset:         8
        .size:           8
        .value_kind:     global_buffer
    .group_segment_fixed_size: 4104
    .kernarg_segment_align: 8
    .kernarg_segment_size: 16
    .language:       OpenCL C
    .language_version:
      - 2
      - 0
    .max_flat_workgroup_size: 128
    .name:           _Z11rank_kernelIhLj4ELb0EL18RadixRankAlgorithm1ELj128ELj8ELj10EEvPKT_Pi
    .private_segment_fixed_size: 0
    .sgpr_count:     46
    .sgpr_spill_count: 0
    .symbol:         _Z11rank_kernelIhLj4ELb0EL18RadixRankAlgorithm1ELj128ELj8ELj10EEvPKT_Pi.kd
    .uniform_work_group_size: 1
    .uses_dynamic_stack: false
    .vgpr_count:     41
    .vgpr_spill_count: 0
    .wavefront_size: 64
  - .args:
      - .address_space:  global
        .offset:         0
        .size:           8
        .value_kind:     global_buffer
      - .address_space:  global
        .offset:         8
        .size:           8
        .value_kind:     global_buffer
      - .offset:         16
        .size:           4
        .value_kind:     hidden_block_count_x
      - .offset:         20
        .size:           4
        .value_kind:     hidden_block_count_y
      - .offset:         24
        .size:           4
        .value_kind:     hidden_block_count_z
      - .offset:         28
        .size:           2
        .value_kind:     hidden_group_size_x
      - .offset:         30
        .size:           2
        .value_kind:     hidden_group_size_y
      - .offset:         32
        .size:           2
        .value_kind:     hidden_group_size_z
      - .offset:         34
        .size:           2
        .value_kind:     hidden_remainder_x
      - .offset:         36
        .size:           2
        .value_kind:     hidden_remainder_y
      - .offset:         38
        .size:           2
        .value_kind:     hidden_remainder_z
      - .offset:         56
        .size:           8
        .value_kind:     hidden_global_offset_x
      - .offset:         64
        .size:           8
        .value_kind:     hidden_global_offset_y
      - .offset:         72
        .size:           8
        .value_kind:     hidden_global_offset_z
      - .offset:         80
        .size:           2
        .value_kind:     hidden_grid_dims
    .group_segment_fixed_size: 520
    .kernarg_segment_align: 8
    .kernarg_segment_size: 272
    .language:       OpenCL C
    .language_version:
      - 2
      - 0
    .max_flat_workgroup_size: 128
    .name:           _Z11rank_kernelIhLj4ELb0EL18RadixRankAlgorithm2ELj128ELj8ELj10EEvPKT_Pi
    .private_segment_fixed_size: 0
    .sgpr_count:     100
    .sgpr_spill_count: 64
    .symbol:         _Z11rank_kernelIhLj4ELb0EL18RadixRankAlgorithm2ELj128ELj8ELj10EEvPKT_Pi.kd
    .uniform_work_group_size: 1
    .uses_dynamic_stack: false
    .vgpr_count:     170
    .vgpr_spill_count: 0
    .wavefront_size: 64
  - .args:
      - .address_space:  global
        .offset:         0
        .size:           8
        .value_kind:     global_buffer
      - .address_space:  global
        .offset:         8
        .size:           8
        .value_kind:     global_buffer
    .group_segment_fixed_size: 4104
    .kernarg_segment_align: 8
    .kernarg_segment_size: 16
    .language:       OpenCL C
    .language_version:
      - 2
      - 0
    .max_flat_workgroup_size: 128
    .name:           _Z11rank_kernelIhLj4ELb0EL18RadixRankAlgorithm0ELj128ELj16ELj10EEvPKT_Pi
    .private_segment_fixed_size: 0
    .sgpr_count:     34
    .sgpr_spill_count: 0
    .symbol:         _Z11rank_kernelIhLj4ELb0EL18RadixRankAlgorithm0ELj128ELj16ELj10EEvPKT_Pi.kd
    .uniform_work_group_size: 1
    .uses_dynamic_stack: false
    .vgpr_count:     62
    .vgpr_spill_count: 0
    .wavefront_size: 64
  - .args:
      - .address_space:  global
        .offset:         0
        .size:           8
        .value_kind:     global_buffer
      - .address_space:  global
        .offset:         8
        .size:           8
        .value_kind:     global_buffer
    .group_segment_fixed_size: 4104
    .kernarg_segment_align: 8
    .kernarg_segment_size: 16
    .language:       OpenCL C
    .language_version:
      - 2
      - 0
    .max_flat_workgroup_size: 128
    .name:           _Z11rank_kernelIhLj4ELb0EL18RadixRankAlgorithm1ELj128ELj16ELj10EEvPKT_Pi
    .private_segment_fixed_size: 0
    .sgpr_count:     34
    .sgpr_spill_count: 0
    .symbol:         _Z11rank_kernelIhLj4ELb0EL18RadixRankAlgorithm1ELj128ELj16ELj10EEvPKT_Pi.kd
    .uniform_work_group_size: 1
    .uses_dynamic_stack: false
    .vgpr_count:     66
    .vgpr_spill_count: 0
    .wavefront_size: 64
  - .args:
      - .address_space:  global
        .offset:         0
        .size:           8
        .value_kind:     global_buffer
      - .address_space:  global
        .offset:         8
        .size:           8
        .value_kind:     global_buffer
      - .offset:         16
        .size:           4
        .value_kind:     hidden_block_count_x
      - .offset:         20
        .size:           4
        .value_kind:     hidden_block_count_y
      - .offset:         24
        .size:           4
        .value_kind:     hidden_block_count_z
      - .offset:         28
        .size:           2
        .value_kind:     hidden_group_size_x
      - .offset:         30
        .size:           2
        .value_kind:     hidden_group_size_y
      - .offset:         32
        .size:           2
        .value_kind:     hidden_group_size_z
      - .offset:         34
        .size:           2
        .value_kind:     hidden_remainder_x
      - .offset:         36
        .size:           2
        .value_kind:     hidden_remainder_y
      - .offset:         38
        .size:           2
        .value_kind:     hidden_remainder_z
      - .offset:         56
        .size:           8
        .value_kind:     hidden_global_offset_x
      - .offset:         64
        .size:           8
        .value_kind:     hidden_global_offset_y
      - .offset:         72
        .size:           8
        .value_kind:     hidden_global_offset_z
      - .offset:         80
        .size:           2
        .value_kind:     hidden_grid_dims
    .group_segment_fixed_size: 520
    .kernarg_segment_align: 8
    .kernarg_segment_size: 272
    .language:       OpenCL C
    .language_version:
      - 2
      - 0
    .max_flat_workgroup_size: 128
    .name:           _Z11rank_kernelIhLj4ELb0EL18RadixRankAlgorithm2ELj128ELj16ELj10EEvPKT_Pi
    .private_segment_fixed_size: 304
    .sgpr_count:     104
    .sgpr_spill_count: 192
    .symbol:         _Z11rank_kernelIhLj4ELb0EL18RadixRankAlgorithm2ELj128ELj16ELj10EEvPKT_Pi.kd
    .uniform_work_group_size: 1
    .uses_dynamic_stack: false
    .vgpr_count:     256
    .vgpr_spill_count: 75
    .wavefront_size: 64
  - .args:
      - .address_space:  global
        .offset:         0
        .size:           8
        .value_kind:     global_buffer
      - .address_space:  global
        .offset:         8
        .size:           8
        .value_kind:     global_buffer
    .group_segment_fixed_size: 4104
    .kernarg_segment_align: 8
    .kernarg_segment_size: 16
    .language:       OpenCL C
    .language_version:
      - 2
      - 0
    .max_flat_workgroup_size: 128
    .name:           _Z11rank_kernelIhLj4ELb0EL18RadixRankAlgorithm0ELj128ELj32ELj10EEvPKT_Pi
    .private_segment_fixed_size: 0
    .sgpr_count:     39
    .sgpr_spill_count: 0
    .symbol:         _Z11rank_kernelIhLj4ELb0EL18RadixRankAlgorithm0ELj128ELj32ELj10EEvPKT_Pi.kd
    .uniform_work_group_size: 1
    .uses_dynamic_stack: false
    .vgpr_count:     90
    .vgpr_spill_count: 0
    .wavefront_size: 64
  - .args:
      - .address_space:  global
        .offset:         0
        .size:           8
        .value_kind:     global_buffer
      - .address_space:  global
        .offset:         8
        .size:           8
        .value_kind:     global_buffer
    .group_segment_fixed_size: 4104
    .kernarg_segment_align: 8
    .kernarg_segment_size: 16
    .language:       OpenCL C
    .language_version:
      - 2
      - 0
    .max_flat_workgroup_size: 128
    .name:           _Z11rank_kernelIhLj4ELb0EL18RadixRankAlgorithm1ELj128ELj32ELj10EEvPKT_Pi
    .private_segment_fixed_size: 0
    .sgpr_count:     39
    .sgpr_spill_count: 0
    .symbol:         _Z11rank_kernelIhLj4ELb0EL18RadixRankAlgorithm1ELj128ELj32ELj10EEvPKT_Pi.kd
    .uniform_work_group_size: 1
    .uses_dynamic_stack: false
    .vgpr_count:     90
    .vgpr_spill_count: 0
    .wavefront_size: 64
  - .args:
      - .address_space:  global
        .offset:         0
        .size:           8
        .value_kind:     global_buffer
      - .address_space:  global
        .offset:         8
        .size:           8
        .value_kind:     global_buffer
      - .offset:         16
        .size:           4
        .value_kind:     hidden_block_count_x
      - .offset:         20
        .size:           4
        .value_kind:     hidden_block_count_y
      - .offset:         24
        .size:           4
        .value_kind:     hidden_block_count_z
      - .offset:         28
        .size:           2
        .value_kind:     hidden_group_size_x
      - .offset:         30
        .size:           2
        .value_kind:     hidden_group_size_y
      - .offset:         32
        .size:           2
        .value_kind:     hidden_group_size_z
      - .offset:         34
        .size:           2
        .value_kind:     hidden_remainder_x
      - .offset:         36
        .size:           2
        .value_kind:     hidden_remainder_y
      - .offset:         38
        .size:           2
        .value_kind:     hidden_remainder_z
      - .offset:         56
        .size:           8
        .value_kind:     hidden_global_offset_x
      - .offset:         64
        .size:           8
        .value_kind:     hidden_global_offset_y
      - .offset:         72
        .size:           8
        .value_kind:     hidden_global_offset_z
      - .offset:         80
        .size:           2
        .value_kind:     hidden_grid_dims
    .group_segment_fixed_size: 520
    .kernarg_segment_align: 8
    .kernarg_segment_size: 272
    .language:       OpenCL C
    .language_version:
      - 2
      - 0
    .max_flat_workgroup_size: 128
    .name:           _Z11rank_kernelIhLj4ELb0EL18RadixRankAlgorithm2ELj128ELj32ELj10EEvPKT_Pi
    .private_segment_fixed_size: 0
    .sgpr_count:     40
    .sgpr_spill_count: 0
    .symbol:         _Z11rank_kernelIhLj4ELb0EL18RadixRankAlgorithm2ELj128ELj32ELj10EEvPKT_Pi.kd
    .uniform_work_group_size: 1
    .uses_dynamic_stack: false
    .vgpr_count:     114
    .vgpr_spill_count: 0
    .wavefront_size: 64
  - .args:
      - .address_space:  global
        .offset:         0
        .size:           8
        .value_kind:     global_buffer
      - .address_space:  global
        .offset:         8
        .size:           8
        .value_kind:     global_buffer
    .group_segment_fixed_size: 8208
    .kernarg_segment_align: 8
    .kernarg_segment_size: 16
    .language:       OpenCL C
    .language_version:
      - 2
      - 0
    .max_flat_workgroup_size: 256
    .name:           _Z11rank_kernelIhLj4ELb0EL18RadixRankAlgorithm0ELj256ELj1ELj10EEvPKT_Pi
    .private_segment_fixed_size: 0
    .sgpr_count:     40
    .sgpr_spill_count: 0
    .symbol:         _Z11rank_kernelIhLj4ELb0EL18RadixRankAlgorithm0ELj256ELj1ELj10EEvPKT_Pi.kd
    .uniform_work_group_size: 1
    .uses_dynamic_stack: false
    .vgpr_count:     19
    .vgpr_spill_count: 0
    .wavefront_size: 64
  - .args:
      - .address_space:  global
        .offset:         0
        .size:           8
        .value_kind:     global_buffer
      - .address_space:  global
        .offset:         8
        .size:           8
        .value_kind:     global_buffer
    .group_segment_fixed_size: 8208
    .kernarg_segment_align: 8
    .kernarg_segment_size: 16
    .language:       OpenCL C
    .language_version:
      - 2
      - 0
    .max_flat_workgroup_size: 256
    .name:           _Z11rank_kernelIhLj4ELb0EL18RadixRankAlgorithm1ELj256ELj1ELj10EEvPKT_Pi
    .private_segment_fixed_size: 0
    .sgpr_count:     40
    .sgpr_spill_count: 0
    .symbol:         _Z11rank_kernelIhLj4ELb0EL18RadixRankAlgorithm1ELj256ELj1ELj10EEvPKT_Pi.kd
    .uniform_work_group_size: 1
    .uses_dynamic_stack: false
    .vgpr_count:     19
    .vgpr_spill_count: 0
    .wavefront_size: 64
  - .args:
      - .address_space:  global
        .offset:         0
        .size:           8
        .value_kind:     global_buffer
      - .address_space:  global
        .offset:         8
        .size:           8
        .value_kind:     global_buffer
      - .offset:         16
        .size:           4
        .value_kind:     hidden_block_count_x
      - .offset:         20
        .size:           4
        .value_kind:     hidden_block_count_y
      - .offset:         24
        .size:           4
        .value_kind:     hidden_block_count_z
      - .offset:         28
        .size:           2
        .value_kind:     hidden_group_size_x
      - .offset:         30
        .size:           2
        .value_kind:     hidden_group_size_y
      - .offset:         32
        .size:           2
        .value_kind:     hidden_group_size_z
      - .offset:         34
        .size:           2
        .value_kind:     hidden_remainder_x
      - .offset:         36
        .size:           2
        .value_kind:     hidden_remainder_y
      - .offset:         38
        .size:           2
        .value_kind:     hidden_remainder_z
      - .offset:         56
        .size:           8
        .value_kind:     hidden_global_offset_x
      - .offset:         64
        .size:           8
        .value_kind:     hidden_global_offset_y
      - .offset:         72
        .size:           8
        .value_kind:     hidden_global_offset_z
      - .offset:         80
        .size:           2
        .value_kind:     hidden_grid_dims
    .group_segment_fixed_size: 1040
    .kernarg_segment_align: 8
    .kernarg_segment_size: 272
    .language:       OpenCL C
    .language_version:
      - 2
      - 0
    .max_flat_workgroup_size: 256
    .name:           _Z11rank_kernelIhLj4ELb0EL18RadixRankAlgorithm2ELj256ELj1ELj10EEvPKT_Pi
    .private_segment_fixed_size: 0
    .sgpr_count:     54
    .sgpr_spill_count: 0
    .symbol:         _Z11rank_kernelIhLj4ELb0EL18RadixRankAlgorithm2ELj256ELj1ELj10EEvPKT_Pi.kd
    .uniform_work_group_size: 1
    .uses_dynamic_stack: false
    .vgpr_count:     29
    .vgpr_spill_count: 0
    .wavefront_size: 64
  - .args:
      - .address_space:  global
        .offset:         0
        .size:           8
        .value_kind:     global_buffer
      - .address_space:  global
        .offset:         8
        .size:           8
        .value_kind:     global_buffer
    .group_segment_fixed_size: 8208
    .kernarg_segment_align: 8
    .kernarg_segment_size: 16
    .language:       OpenCL C
    .language_version:
      - 2
      - 0
    .max_flat_workgroup_size: 256
    .name:           _Z11rank_kernelIhLj4ELb0EL18RadixRankAlgorithm0ELj256ELj4ELj10EEvPKT_Pi
    .private_segment_fixed_size: 0
    .sgpr_count:     40
    .sgpr_spill_count: 0
    .symbol:         _Z11rank_kernelIhLj4ELb0EL18RadixRankAlgorithm0ELj256ELj4ELj10EEvPKT_Pi.kd
    .uniform_work_group_size: 1
    .uses_dynamic_stack: false
    .vgpr_count:     28
    .vgpr_spill_count: 0
    .wavefront_size: 64
  - .args:
      - .address_space:  global
        .offset:         0
        .size:           8
        .value_kind:     global_buffer
      - .address_space:  global
        .offset:         8
        .size:           8
        .value_kind:     global_buffer
    .group_segment_fixed_size: 8208
    .kernarg_segment_align: 8
    .kernarg_segment_size: 16
    .language:       OpenCL C
    .language_version:
      - 2
      - 0
    .max_flat_workgroup_size: 256
    .name:           _Z11rank_kernelIhLj4ELb0EL18RadixRankAlgorithm1ELj256ELj4ELj10EEvPKT_Pi
    .private_segment_fixed_size: 0
    .sgpr_count:     40
    .sgpr_spill_count: 0
    .symbol:         _Z11rank_kernelIhLj4ELb0EL18RadixRankAlgorithm1ELj256ELj4ELj10EEvPKT_Pi.kd
    .uniform_work_group_size: 1
    .uses_dynamic_stack: false
    .vgpr_count:     28
    .vgpr_spill_count: 0
    .wavefront_size: 64
  - .args:
      - .address_space:  global
        .offset:         0
        .size:           8
        .value_kind:     global_buffer
      - .address_space:  global
        .offset:         8
        .size:           8
        .value_kind:     global_buffer
      - .offset:         16
        .size:           4
        .value_kind:     hidden_block_count_x
      - .offset:         20
        .size:           4
        .value_kind:     hidden_block_count_y
      - .offset:         24
        .size:           4
        .value_kind:     hidden_block_count_z
      - .offset:         28
        .size:           2
        .value_kind:     hidden_group_size_x
      - .offset:         30
        .size:           2
        .value_kind:     hidden_group_size_y
      - .offset:         32
        .size:           2
        .value_kind:     hidden_group_size_z
      - .offset:         34
        .size:           2
        .value_kind:     hidden_remainder_x
      - .offset:         36
        .size:           2
        .value_kind:     hidden_remainder_y
      - .offset:         38
        .size:           2
        .value_kind:     hidden_remainder_z
      - .offset:         56
        .size:           8
        .value_kind:     hidden_global_offset_x
      - .offset:         64
        .size:           8
        .value_kind:     hidden_global_offset_y
      - .offset:         72
        .size:           8
        .value_kind:     hidden_global_offset_z
      - .offset:         80
        .size:           2
        .value_kind:     hidden_grid_dims
    .group_segment_fixed_size: 1040
    .kernarg_segment_align: 8
    .kernarg_segment_size: 272
    .language:       OpenCL C
    .language_version:
      - 2
      - 0
    .max_flat_workgroup_size: 256
    .name:           _Z11rank_kernelIhLj4ELb0EL18RadixRankAlgorithm2ELj256ELj4ELj10EEvPKT_Pi
    .private_segment_fixed_size: 0
    .sgpr_count:     100
    .sgpr_spill_count: 0
    .symbol:         _Z11rank_kernelIhLj4ELb0EL18RadixRankAlgorithm2ELj256ELj4ELj10EEvPKT_Pi.kd
    .uniform_work_group_size: 1
    .uses_dynamic_stack: false
    .vgpr_count:     88
    .vgpr_spill_count: 0
    .wavefront_size: 64
  - .args:
      - .address_space:  global
        .offset:         0
        .size:           8
        .value_kind:     global_buffer
      - .address_space:  global
        .offset:         8
        .size:           8
        .value_kind:     global_buffer
    .group_segment_fixed_size: 8208
    .kernarg_segment_align: 8
    .kernarg_segment_size: 16
    .language:       OpenCL C
    .language_version:
      - 2
      - 0
    .max_flat_workgroup_size: 256
    .name:           _Z11rank_kernelIhLj4ELb0EL18RadixRankAlgorithm0ELj256ELj8ELj10EEvPKT_Pi
    .private_segment_fixed_size: 0
    .sgpr_count:     40
    .sgpr_spill_count: 0
    .symbol:         _Z11rank_kernelIhLj4ELb0EL18RadixRankAlgorithm0ELj256ELj8ELj10EEvPKT_Pi.kd
    .uniform_work_group_size: 1
    .uses_dynamic_stack: false
    .vgpr_count:     39
    .vgpr_spill_count: 0
    .wavefront_size: 64
  - .args:
      - .address_space:  global
        .offset:         0
        .size:           8
        .value_kind:     global_buffer
      - .address_space:  global
        .offset:         8
        .size:           8
        .value_kind:     global_buffer
    .group_segment_fixed_size: 8208
    .kernarg_segment_align: 8
    .kernarg_segment_size: 16
    .language:       OpenCL C
    .language_version:
      - 2
      - 0
    .max_flat_workgroup_size: 256
    .name:           _Z11rank_kernelIhLj4ELb0EL18RadixRankAlgorithm1ELj256ELj8ELj10EEvPKT_Pi
    .private_segment_fixed_size: 0
    .sgpr_count:     40
    .sgpr_spill_count: 0
    .symbol:         _Z11rank_kernelIhLj4ELb0EL18RadixRankAlgorithm1ELj256ELj8ELj10EEvPKT_Pi.kd
    .uniform_work_group_size: 1
    .uses_dynamic_stack: false
    .vgpr_count:     41
    .vgpr_spill_count: 0
    .wavefront_size: 64
  - .args:
      - .address_space:  global
        .offset:         0
        .size:           8
        .value_kind:     global_buffer
      - .address_space:  global
        .offset:         8
        .size:           8
        .value_kind:     global_buffer
      - .offset:         16
        .size:           4
        .value_kind:     hidden_block_count_x
      - .offset:         20
        .size:           4
        .value_kind:     hidden_block_count_y
      - .offset:         24
        .size:           4
        .value_kind:     hidden_block_count_z
      - .offset:         28
        .size:           2
        .value_kind:     hidden_group_size_x
      - .offset:         30
        .size:           2
        .value_kind:     hidden_group_size_y
      - .offset:         32
        .size:           2
        .value_kind:     hidden_group_size_z
      - .offset:         34
        .size:           2
        .value_kind:     hidden_remainder_x
      - .offset:         36
        .size:           2
        .value_kind:     hidden_remainder_y
      - .offset:         38
        .size:           2
        .value_kind:     hidden_remainder_z
      - .offset:         56
        .size:           8
        .value_kind:     hidden_global_offset_x
      - .offset:         64
        .size:           8
        .value_kind:     hidden_global_offset_y
      - .offset:         72
        .size:           8
        .value_kind:     hidden_global_offset_z
      - .offset:         80
        .size:           2
        .value_kind:     hidden_grid_dims
    .group_segment_fixed_size: 1040
    .kernarg_segment_align: 8
    .kernarg_segment_size: 272
    .language:       OpenCL C
    .language_version:
      - 2
      - 0
    .max_flat_workgroup_size: 256
    .name:           _Z11rank_kernelIhLj4ELb0EL18RadixRankAlgorithm2ELj256ELj8ELj10EEvPKT_Pi
    .private_segment_fixed_size: 0
    .sgpr_count:     100
    .sgpr_spill_count: 66
    .symbol:         _Z11rank_kernelIhLj4ELb0EL18RadixRankAlgorithm2ELj256ELj8ELj10EEvPKT_Pi.kd
    .uniform_work_group_size: 1
    .uses_dynamic_stack: false
    .vgpr_count:     171
    .vgpr_spill_count: 0
    .wavefront_size: 64
  - .args:
      - .address_space:  global
        .offset:         0
        .size:           8
        .value_kind:     global_buffer
      - .address_space:  global
        .offset:         8
        .size:           8
        .value_kind:     global_buffer
    .group_segment_fixed_size: 8208
    .kernarg_segment_align: 8
    .kernarg_segment_size: 16
    .language:       OpenCL C
    .language_version:
      - 2
      - 0
    .max_flat_workgroup_size: 256
    .name:           _Z11rank_kernelIhLj4ELb0EL18RadixRankAlgorithm0ELj256ELj16ELj10EEvPKT_Pi
    .private_segment_fixed_size: 0
    .sgpr_count:     36
    .sgpr_spill_count: 0
    .symbol:         _Z11rank_kernelIhLj4ELb0EL18RadixRankAlgorithm0ELj256ELj16ELj10EEvPKT_Pi.kd
    .uniform_work_group_size: 1
    .uses_dynamic_stack: false
    .vgpr_count:     62
    .vgpr_spill_count: 0
    .wavefront_size: 64
  - .args:
      - .address_space:  global
        .offset:         0
        .size:           8
        .value_kind:     global_buffer
      - .address_space:  global
        .offset:         8
        .size:           8
        .value_kind:     global_buffer
    .group_segment_fixed_size: 8208
    .kernarg_segment_align: 8
    .kernarg_segment_size: 16
    .language:       OpenCL C
    .language_version:
      - 2
      - 0
    .max_flat_workgroup_size: 256
    .name:           _Z11rank_kernelIhLj4ELb0EL18RadixRankAlgorithm1ELj256ELj16ELj10EEvPKT_Pi
    .private_segment_fixed_size: 0
    .sgpr_count:     36
    .sgpr_spill_count: 0
    .symbol:         _Z11rank_kernelIhLj4ELb0EL18RadixRankAlgorithm1ELj256ELj16ELj10EEvPKT_Pi.kd
    .uniform_work_group_size: 1
    .uses_dynamic_stack: false
    .vgpr_count:     66
    .vgpr_spill_count: 0
    .wavefront_size: 64
  - .args:
      - .address_space:  global
        .offset:         0
        .size:           8
        .value_kind:     global_buffer
      - .address_space:  global
        .offset:         8
        .size:           8
        .value_kind:     global_buffer
      - .offset:         16
        .size:           4
        .value_kind:     hidden_block_count_x
      - .offset:         20
        .size:           4
        .value_kind:     hidden_block_count_y
      - .offset:         24
        .size:           4
        .value_kind:     hidden_block_count_z
      - .offset:         28
        .size:           2
        .value_kind:     hidden_group_size_x
      - .offset:         30
        .size:           2
        .value_kind:     hidden_group_size_y
      - .offset:         32
        .size:           2
        .value_kind:     hidden_group_size_z
      - .offset:         34
        .size:           2
        .value_kind:     hidden_remainder_x
      - .offset:         36
        .size:           2
        .value_kind:     hidden_remainder_y
      - .offset:         38
        .size:           2
        .value_kind:     hidden_remainder_z
      - .offset:         56
        .size:           8
        .value_kind:     hidden_global_offset_x
      - .offset:         64
        .size:           8
        .value_kind:     hidden_global_offset_y
      - .offset:         72
        .size:           8
        .value_kind:     hidden_global_offset_z
      - .offset:         80
        .size:           2
        .value_kind:     hidden_grid_dims
    .group_segment_fixed_size: 1040
    .kernarg_segment_align: 8
    .kernarg_segment_size: 272
    .language:       OpenCL C
    .language_version:
      - 2
      - 0
    .max_flat_workgroup_size: 256
    .name:           _Z11rank_kernelIhLj4ELb0EL18RadixRankAlgorithm2ELj256ELj16ELj10EEvPKT_Pi
    .private_segment_fixed_size: 308
    .sgpr_count:     104
    .sgpr_spill_count: 194
    .symbol:         _Z11rank_kernelIhLj4ELb0EL18RadixRankAlgorithm2ELj256ELj16ELj10EEvPKT_Pi.kd
    .uniform_work_group_size: 1
    .uses_dynamic_stack: false
    .vgpr_count:     256
    .vgpr_spill_count: 76
    .wavefront_size: 64
  - .args:
      - .address_space:  global
        .offset:         0
        .size:           8
        .value_kind:     global_buffer
      - .address_space:  global
        .offset:         8
        .size:           8
        .value_kind:     global_buffer
    .group_segment_fixed_size: 8208
    .kernarg_segment_align: 8
    .kernarg_segment_size: 16
    .language:       OpenCL C
    .language_version:
      - 2
      - 0
    .max_flat_workgroup_size: 256
    .name:           _Z11rank_kernelIhLj4ELb0EL18RadixRankAlgorithm0ELj256ELj32ELj10EEvPKT_Pi
    .private_segment_fixed_size: 0
    .sgpr_count:     41
    .sgpr_spill_count: 0
    .symbol:         _Z11rank_kernelIhLj4ELb0EL18RadixRankAlgorithm0ELj256ELj32ELj10EEvPKT_Pi.kd
    .uniform_work_group_size: 1
    .uses_dynamic_stack: false
    .vgpr_count:     90
    .vgpr_spill_count: 0
    .wavefront_size: 64
  - .args:
      - .address_space:  global
        .offset:         0
        .size:           8
        .value_kind:     global_buffer
      - .address_space:  global
        .offset:         8
        .size:           8
        .value_kind:     global_buffer
    .group_segment_fixed_size: 8208
    .kernarg_segment_align: 8
    .kernarg_segment_size: 16
    .language:       OpenCL C
    .language_version:
      - 2
      - 0
    .max_flat_workgroup_size: 256
    .name:           _Z11rank_kernelIhLj4ELb0EL18RadixRankAlgorithm1ELj256ELj32ELj10EEvPKT_Pi
    .private_segment_fixed_size: 0
    .sgpr_count:     41
    .sgpr_spill_count: 0
    .symbol:         _Z11rank_kernelIhLj4ELb0EL18RadixRankAlgorithm1ELj256ELj32ELj10EEvPKT_Pi.kd
    .uniform_work_group_size: 1
    .uses_dynamic_stack: false
    .vgpr_count:     90
    .vgpr_spill_count: 0
    .wavefront_size: 64
  - .args:
      - .address_space:  global
        .offset:         0
        .size:           8
        .value_kind:     global_buffer
      - .address_space:  global
        .offset:         8
        .size:           8
        .value_kind:     global_buffer
      - .offset:         16
        .size:           4
        .value_kind:     hidden_block_count_x
      - .offset:         20
        .size:           4
        .value_kind:     hidden_block_count_y
      - .offset:         24
        .size:           4
        .value_kind:     hidden_block_count_z
      - .offset:         28
        .size:           2
        .value_kind:     hidden_group_size_x
      - .offset:         30
        .size:           2
        .value_kind:     hidden_group_size_y
      - .offset:         32
        .size:           2
        .value_kind:     hidden_group_size_z
      - .offset:         34
        .size:           2
        .value_kind:     hidden_remainder_x
      - .offset:         36
        .size:           2
        .value_kind:     hidden_remainder_y
      - .offset:         38
        .size:           2
        .value_kind:     hidden_remainder_z
      - .offset:         56
        .size:           8
        .value_kind:     hidden_global_offset_x
      - .offset:         64
        .size:           8
        .value_kind:     hidden_global_offset_y
      - .offset:         72
        .size:           8
        .value_kind:     hidden_global_offset_z
      - .offset:         80
        .size:           2
        .value_kind:     hidden_grid_dims
    .group_segment_fixed_size: 1040
    .kernarg_segment_align: 8
    .kernarg_segment_size: 272
    .language:       OpenCL C
    .language_version:
      - 2
      - 0
    .max_flat_workgroup_size: 256
    .name:           _Z11rank_kernelIhLj4ELb0EL18RadixRankAlgorithm2ELj256ELj32ELj10EEvPKT_Pi
    .private_segment_fixed_size: 0
    .sgpr_count:     42
    .sgpr_spill_count: 0
    .symbol:         _Z11rank_kernelIhLj4ELb0EL18RadixRankAlgorithm2ELj256ELj32ELj10EEvPKT_Pi.kd
    .uniform_work_group_size: 1
    .uses_dynamic_stack: false
    .vgpr_count:     114
    .vgpr_spill_count: 0
    .wavefront_size: 64
  - .args:
      - .address_space:  global
        .offset:         0
        .size:           8
        .value_kind:     global_buffer
      - .address_space:  global
        .offset:         8
        .size:           8
        .value_kind:     global_buffer
    .group_segment_fixed_size: 16416
    .kernarg_segment_align: 8
    .kernarg_segment_size: 16
    .language:       OpenCL C
    .language_version:
      - 2
      - 0
    .max_flat_workgroup_size: 512
    .name:           _Z11rank_kernelIhLj4ELb0EL18RadixRankAlgorithm0ELj512ELj1ELj10EEvPKT_Pi
    .private_segment_fixed_size: 0
    .sgpr_count:     38
    .sgpr_spill_count: 0
    .symbol:         _Z11rank_kernelIhLj4ELb0EL18RadixRankAlgorithm0ELj512ELj1ELj10EEvPKT_Pi.kd
    .uniform_work_group_size: 1
    .uses_dynamic_stack: false
    .vgpr_count:     19
    .vgpr_spill_count: 0
    .wavefront_size: 64
  - .args:
      - .address_space:  global
        .offset:         0
        .size:           8
        .value_kind:     global_buffer
      - .address_space:  global
        .offset:         8
        .size:           8
        .value_kind:     global_buffer
    .group_segment_fixed_size: 16416
    .kernarg_segment_align: 8
    .kernarg_segment_size: 16
    .language:       OpenCL C
    .language_version:
      - 2
      - 0
    .max_flat_workgroup_size: 512
    .name:           _Z11rank_kernelIhLj4ELb0EL18RadixRankAlgorithm1ELj512ELj1ELj10EEvPKT_Pi
    .private_segment_fixed_size: 0
    .sgpr_count:     38
    .sgpr_spill_count: 0
    .symbol:         _Z11rank_kernelIhLj4ELb0EL18RadixRankAlgorithm1ELj512ELj1ELj10EEvPKT_Pi.kd
    .uniform_work_group_size: 1
    .uses_dynamic_stack: false
    .vgpr_count:     19
    .vgpr_spill_count: 0
    .wavefront_size: 64
  - .args:
      - .address_space:  global
        .offset:         0
        .size:           8
        .value_kind:     global_buffer
      - .address_space:  global
        .offset:         8
        .size:           8
        .value_kind:     global_buffer
      - .offset:         16
        .size:           4
        .value_kind:     hidden_block_count_x
      - .offset:         20
        .size:           4
        .value_kind:     hidden_block_count_y
      - .offset:         24
        .size:           4
        .value_kind:     hidden_block_count_z
      - .offset:         28
        .size:           2
        .value_kind:     hidden_group_size_x
      - .offset:         30
        .size:           2
        .value_kind:     hidden_group_size_y
      - .offset:         32
        .size:           2
        .value_kind:     hidden_group_size_z
      - .offset:         34
        .size:           2
        .value_kind:     hidden_remainder_x
      - .offset:         36
        .size:           2
        .value_kind:     hidden_remainder_y
      - .offset:         38
        .size:           2
        .value_kind:     hidden_remainder_z
      - .offset:         56
        .size:           8
        .value_kind:     hidden_global_offset_x
      - .offset:         64
        .size:           8
        .value_kind:     hidden_global_offset_y
      - .offset:         72
        .size:           8
        .value_kind:     hidden_global_offset_z
      - .offset:         80
        .size:           2
        .value_kind:     hidden_grid_dims
    .group_segment_fixed_size: 2080
    .kernarg_segment_align: 8
    .kernarg_segment_size: 272
    .language:       OpenCL C
    .language_version:
      - 2
      - 0
    .max_flat_workgroup_size: 512
    .name:           _Z11rank_kernelIhLj4ELb0EL18RadixRankAlgorithm2ELj512ELj1ELj10EEvPKT_Pi
    .private_segment_fixed_size: 0
    .sgpr_count:     54
    .sgpr_spill_count: 0
    .symbol:         _Z11rank_kernelIhLj4ELb0EL18RadixRankAlgorithm2ELj512ELj1ELj10EEvPKT_Pi.kd
    .uniform_work_group_size: 1
    .uses_dynamic_stack: false
    .vgpr_count:     29
    .vgpr_spill_count: 0
    .wavefront_size: 64
  - .args:
      - .address_space:  global
        .offset:         0
        .size:           8
        .value_kind:     global_buffer
      - .address_space:  global
        .offset:         8
        .size:           8
        .value_kind:     global_buffer
    .group_segment_fixed_size: 16416
    .kernarg_segment_align: 8
    .kernarg_segment_size: 16
    .language:       OpenCL C
    .language_version:
      - 2
      - 0
    .max_flat_workgroup_size: 512
    .name:           _Z11rank_kernelIhLj4ELb0EL18RadixRankAlgorithm0ELj512ELj4ELj10EEvPKT_Pi
    .private_segment_fixed_size: 0
    .sgpr_count:     38
    .sgpr_spill_count: 0
    .symbol:         _Z11rank_kernelIhLj4ELb0EL18RadixRankAlgorithm0ELj512ELj4ELj10EEvPKT_Pi.kd
    .uniform_work_group_size: 1
    .uses_dynamic_stack: false
    .vgpr_count:     28
    .vgpr_spill_count: 0
    .wavefront_size: 64
  - .args:
      - .address_space:  global
        .offset:         0
        .size:           8
        .value_kind:     global_buffer
      - .address_space:  global
        .offset:         8
        .size:           8
        .value_kind:     global_buffer
    .group_segment_fixed_size: 16416
    .kernarg_segment_align: 8
    .kernarg_segment_size: 16
    .language:       OpenCL C
    .language_version:
      - 2
      - 0
    .max_flat_workgroup_size: 512
    .name:           _Z11rank_kernelIhLj4ELb0EL18RadixRankAlgorithm1ELj512ELj4ELj10EEvPKT_Pi
    .private_segment_fixed_size: 0
    .sgpr_count:     38
    .sgpr_spill_count: 0
    .symbol:         _Z11rank_kernelIhLj4ELb0EL18RadixRankAlgorithm1ELj512ELj4ELj10EEvPKT_Pi.kd
    .uniform_work_group_size: 1
    .uses_dynamic_stack: false
    .vgpr_count:     28
    .vgpr_spill_count: 0
    .wavefront_size: 64
  - .args:
      - .address_space:  global
        .offset:         0
        .size:           8
        .value_kind:     global_buffer
      - .address_space:  global
        .offset:         8
        .size:           8
        .value_kind:     global_buffer
      - .offset:         16
        .size:           4
        .value_kind:     hidden_block_count_x
      - .offset:         20
        .size:           4
        .value_kind:     hidden_block_count_y
      - .offset:         24
        .size:           4
        .value_kind:     hidden_block_count_z
      - .offset:         28
        .size:           2
        .value_kind:     hidden_group_size_x
      - .offset:         30
        .size:           2
        .value_kind:     hidden_group_size_y
      - .offset:         32
        .size:           2
        .value_kind:     hidden_group_size_z
      - .offset:         34
        .size:           2
        .value_kind:     hidden_remainder_x
      - .offset:         36
        .size:           2
        .value_kind:     hidden_remainder_y
      - .offset:         38
        .size:           2
        .value_kind:     hidden_remainder_z
      - .offset:         56
        .size:           8
        .value_kind:     hidden_global_offset_x
      - .offset:         64
        .size:           8
        .value_kind:     hidden_global_offset_y
      - .offset:         72
        .size:           8
        .value_kind:     hidden_global_offset_z
      - .offset:         80
        .size:           2
        .value_kind:     hidden_grid_dims
    .group_segment_fixed_size: 2080
    .kernarg_segment_align: 8
    .kernarg_segment_size: 272
    .language:       OpenCL C
    .language_version:
      - 2
      - 0
    .max_flat_workgroup_size: 512
    .name:           _Z11rank_kernelIhLj4ELb0EL18RadixRankAlgorithm2ELj512ELj4ELj10EEvPKT_Pi
    .private_segment_fixed_size: 0
    .sgpr_count:     100
    .sgpr_spill_count: 4
    .symbol:         _Z11rank_kernelIhLj4ELb0EL18RadixRankAlgorithm2ELj512ELj4ELj10EEvPKT_Pi.kd
    .uniform_work_group_size: 1
    .uses_dynamic_stack: false
    .vgpr_count:     89
    .vgpr_spill_count: 0
    .wavefront_size: 64
  - .args:
      - .address_space:  global
        .offset:         0
        .size:           8
        .value_kind:     global_buffer
      - .address_space:  global
        .offset:         8
        .size:           8
        .value_kind:     global_buffer
    .group_segment_fixed_size: 16416
    .kernarg_segment_align: 8
    .kernarg_segment_size: 16
    .language:       OpenCL C
    .language_version:
      - 2
      - 0
    .max_flat_workgroup_size: 512
    .name:           _Z11rank_kernelIhLj4ELb0EL18RadixRankAlgorithm0ELj512ELj8ELj10EEvPKT_Pi
    .private_segment_fixed_size: 0
    .sgpr_count:     38
    .sgpr_spill_count: 0
    .symbol:         _Z11rank_kernelIhLj4ELb0EL18RadixRankAlgorithm0ELj512ELj8ELj10EEvPKT_Pi.kd
    .uniform_work_group_size: 1
    .uses_dynamic_stack: false
    .vgpr_count:     39
    .vgpr_spill_count: 0
    .wavefront_size: 64
  - .args:
      - .address_space:  global
        .offset:         0
        .size:           8
        .value_kind:     global_buffer
      - .address_space:  global
        .offset:         8
        .size:           8
        .value_kind:     global_buffer
    .group_segment_fixed_size: 16416
    .kernarg_segment_align: 8
    .kernarg_segment_size: 16
    .language:       OpenCL C
    .language_version:
      - 2
      - 0
    .max_flat_workgroup_size: 512
    .name:           _Z11rank_kernelIhLj4ELb0EL18RadixRankAlgorithm1ELj512ELj8ELj10EEvPKT_Pi
    .private_segment_fixed_size: 0
    .sgpr_count:     38
    .sgpr_spill_count: 0
    .symbol:         _Z11rank_kernelIhLj4ELb0EL18RadixRankAlgorithm1ELj512ELj8ELj10EEvPKT_Pi.kd
    .uniform_work_group_size: 1
    .uses_dynamic_stack: false
    .vgpr_count:     41
    .vgpr_spill_count: 0
    .wavefront_size: 64
  - .args:
      - .address_space:  global
        .offset:         0
        .size:           8
        .value_kind:     global_buffer
      - .address_space:  global
        .offset:         8
        .size:           8
        .value_kind:     global_buffer
      - .offset:         16
        .size:           4
        .value_kind:     hidden_block_count_x
      - .offset:         20
        .size:           4
        .value_kind:     hidden_block_count_y
      - .offset:         24
        .size:           4
        .value_kind:     hidden_block_count_z
      - .offset:         28
        .size:           2
        .value_kind:     hidden_group_size_x
      - .offset:         30
        .size:           2
        .value_kind:     hidden_group_size_y
      - .offset:         32
        .size:           2
        .value_kind:     hidden_group_size_z
      - .offset:         34
        .size:           2
        .value_kind:     hidden_remainder_x
      - .offset:         36
        .size:           2
        .value_kind:     hidden_remainder_y
      - .offset:         38
        .size:           2
        .value_kind:     hidden_remainder_z
      - .offset:         56
        .size:           8
        .value_kind:     hidden_global_offset_x
      - .offset:         64
        .size:           8
        .value_kind:     hidden_global_offset_y
      - .offset:         72
        .size:           8
        .value_kind:     hidden_global_offset_z
      - .offset:         80
        .size:           2
        .value_kind:     hidden_grid_dims
    .group_segment_fixed_size: 2080
    .kernarg_segment_align: 8
    .kernarg_segment_size: 272
    .language:       OpenCL C
    .language_version:
      - 2
      - 0
    .max_flat_workgroup_size: 512
    .name:           _Z11rank_kernelIhLj4ELb0EL18RadixRankAlgorithm2ELj512ELj8ELj10EEvPKT_Pi
    .private_segment_fixed_size: 176
    .sgpr_count:     104
    .sgpr_spill_count: 68
    .symbol:         _Z11rank_kernelIhLj4ELb0EL18RadixRankAlgorithm2ELj512ELj8ELj10EEvPKT_Pi.kd
    .uniform_work_group_size: 1
    .uses_dynamic_stack: false
    .vgpr_count:     128
    .vgpr_spill_count: 43
    .wavefront_size: 64
  - .args:
      - .address_space:  global
        .offset:         0
        .size:           8
        .value_kind:     global_buffer
      - .address_space:  global
        .offset:         8
        .size:           8
        .value_kind:     global_buffer
    .group_segment_fixed_size: 16416
    .kernarg_segment_align: 8
    .kernarg_segment_size: 16
    .language:       OpenCL C
    .language_version:
      - 2
      - 0
    .max_flat_workgroup_size: 512
    .name:           _Z11rank_kernelIhLj4ELb0EL18RadixRankAlgorithm0ELj512ELj16ELj10EEvPKT_Pi
    .private_segment_fixed_size: 0
    .sgpr_count:     39
    .sgpr_spill_count: 0
    .symbol:         _Z11rank_kernelIhLj4ELb0EL18RadixRankAlgorithm0ELj512ELj16ELj10EEvPKT_Pi.kd
    .uniform_work_group_size: 1
    .uses_dynamic_stack: false
    .vgpr_count:     62
    .vgpr_spill_count: 0
    .wavefront_size: 64
  - .args:
      - .address_space:  global
        .offset:         0
        .size:           8
        .value_kind:     global_buffer
      - .address_space:  global
        .offset:         8
        .size:           8
        .value_kind:     global_buffer
    .group_segment_fixed_size: 16416
    .kernarg_segment_align: 8
    .kernarg_segment_size: 16
    .language:       OpenCL C
    .language_version:
      - 2
      - 0
    .max_flat_workgroup_size: 512
    .name:           _Z11rank_kernelIhLj4ELb0EL18RadixRankAlgorithm1ELj512ELj16ELj10EEvPKT_Pi
    .private_segment_fixed_size: 0
    .sgpr_count:     39
    .sgpr_spill_count: 0
    .symbol:         _Z11rank_kernelIhLj4ELb0EL18RadixRankAlgorithm1ELj512ELj16ELj10EEvPKT_Pi.kd
    .uniform_work_group_size: 1
    .uses_dynamic_stack: false
    .vgpr_count:     66
    .vgpr_spill_count: 0
    .wavefront_size: 64
  - .args:
      - .address_space:  global
        .offset:         0
        .size:           8
        .value_kind:     global_buffer
      - .address_space:  global
        .offset:         8
        .size:           8
        .value_kind:     global_buffer
      - .offset:         16
        .size:           4
        .value_kind:     hidden_block_count_x
      - .offset:         20
        .size:           4
        .value_kind:     hidden_block_count_y
      - .offset:         24
        .size:           4
        .value_kind:     hidden_block_count_z
      - .offset:         28
        .size:           2
        .value_kind:     hidden_group_size_x
      - .offset:         30
        .size:           2
        .value_kind:     hidden_group_size_y
      - .offset:         32
        .size:           2
        .value_kind:     hidden_group_size_z
      - .offset:         34
        .size:           2
        .value_kind:     hidden_remainder_x
      - .offset:         36
        .size:           2
        .value_kind:     hidden_remainder_y
      - .offset:         38
        .size:           2
        .value_kind:     hidden_remainder_z
      - .offset:         56
        .size:           8
        .value_kind:     hidden_global_offset_x
      - .offset:         64
        .size:           8
        .value_kind:     hidden_global_offset_y
      - .offset:         72
        .size:           8
        .value_kind:     hidden_global_offset_z
      - .offset:         80
        .size:           2
        .value_kind:     hidden_grid_dims
    .group_segment_fixed_size: 2080
    .kernarg_segment_align: 8
    .kernarg_segment_size: 272
    .language:       OpenCL C
    .language_version:
      - 2
      - 0
    .max_flat_workgroup_size: 512
    .name:           _Z11rank_kernelIhLj4ELb0EL18RadixRankAlgorithm2ELj512ELj16ELj10EEvPKT_Pi
    .private_segment_fixed_size: 836
    .sgpr_count:     104
    .sgpr_spill_count: 256
    .symbol:         _Z11rank_kernelIhLj4ELb0EL18RadixRankAlgorithm2ELj512ELj16ELj10EEvPKT_Pi.kd
    .uniform_work_group_size: 1
    .uses_dynamic_stack: false
    .vgpr_count:     128
    .vgpr_spill_count: 260
    .wavefront_size: 64
  - .args:
      - .address_space:  global
        .offset:         0
        .size:           8
        .value_kind:     global_buffer
      - .address_space:  global
        .offset:         8
        .size:           8
        .value_kind:     global_buffer
    .group_segment_fixed_size: 16416
    .kernarg_segment_align: 8
    .kernarg_segment_size: 16
    .language:       OpenCL C
    .language_version:
      - 2
      - 0
    .max_flat_workgroup_size: 512
    .name:           _Z11rank_kernelIhLj4ELb0EL18RadixRankAlgorithm0ELj512ELj32ELj10EEvPKT_Pi
    .private_segment_fixed_size: 0
    .sgpr_count:     43
    .sgpr_spill_count: 0
    .symbol:         _Z11rank_kernelIhLj4ELb0EL18RadixRankAlgorithm0ELj512ELj32ELj10EEvPKT_Pi.kd
    .uniform_work_group_size: 1
    .uses_dynamic_stack: false
    .vgpr_count:     90
    .vgpr_spill_count: 0
    .wavefront_size: 64
  - .args:
      - .address_space:  global
        .offset:         0
        .size:           8
        .value_kind:     global_buffer
      - .address_space:  global
        .offset:         8
        .size:           8
        .value_kind:     global_buffer
    .group_segment_fixed_size: 16416
    .kernarg_segment_align: 8
    .kernarg_segment_size: 16
    .language:       OpenCL C
    .language_version:
      - 2
      - 0
    .max_flat_workgroup_size: 512
    .name:           _Z11rank_kernelIhLj4ELb0EL18RadixRankAlgorithm1ELj512ELj32ELj10EEvPKT_Pi
    .private_segment_fixed_size: 0
    .sgpr_count:     43
    .sgpr_spill_count: 0
    .symbol:         _Z11rank_kernelIhLj4ELb0EL18RadixRankAlgorithm1ELj512ELj32ELj10EEvPKT_Pi.kd
    .uniform_work_group_size: 1
    .uses_dynamic_stack: false
    .vgpr_count:     90
    .vgpr_spill_count: 0
    .wavefront_size: 64
  - .args:
      - .address_space:  global
        .offset:         0
        .size:           8
        .value_kind:     global_buffer
      - .address_space:  global
        .offset:         8
        .size:           8
        .value_kind:     global_buffer
      - .offset:         16
        .size:           4
        .value_kind:     hidden_block_count_x
      - .offset:         20
        .size:           4
        .value_kind:     hidden_block_count_y
      - .offset:         24
        .size:           4
        .value_kind:     hidden_block_count_z
      - .offset:         28
        .size:           2
        .value_kind:     hidden_group_size_x
      - .offset:         30
        .size:           2
        .value_kind:     hidden_group_size_y
      - .offset:         32
        .size:           2
        .value_kind:     hidden_group_size_z
      - .offset:         34
        .size:           2
        .value_kind:     hidden_remainder_x
      - .offset:         36
        .size:           2
        .value_kind:     hidden_remainder_y
      - .offset:         38
        .size:           2
        .value_kind:     hidden_remainder_z
      - .offset:         56
        .size:           8
        .value_kind:     hidden_global_offset_x
      - .offset:         64
        .size:           8
        .value_kind:     hidden_global_offset_y
      - .offset:         72
        .size:           8
        .value_kind:     hidden_global_offset_z
      - .offset:         80
        .size:           2
        .value_kind:     hidden_grid_dims
    .group_segment_fixed_size: 2080
    .kernarg_segment_align: 8
    .kernarg_segment_size: 272
    .language:       OpenCL C
    .language_version:
      - 2
      - 0
    .max_flat_workgroup_size: 512
    .name:           _Z11rank_kernelIhLj4ELb0EL18RadixRankAlgorithm2ELj512ELj32ELj10EEvPKT_Pi
    .private_segment_fixed_size: 0
    .sgpr_count:     44
    .sgpr_spill_count: 0
    .symbol:         _Z11rank_kernelIhLj4ELb0EL18RadixRankAlgorithm2ELj512ELj32ELj10EEvPKT_Pi.kd
    .uniform_work_group_size: 1
    .uses_dynamic_stack: false
    .vgpr_count:     114
    .vgpr_spill_count: 0
    .wavefront_size: 64
  - .args:
      - .address_space:  global
        .offset:         0
        .size:           8
        .value_kind:     global_buffer
      - .address_space:  global
        .offset:         8
        .size:           8
        .value_kind:     global_buffer
    .group_segment_fixed_size: 4104
    .kernarg_segment_align: 8
    .kernarg_segment_size: 16
    .language:       OpenCL C
    .language_version:
      - 2
      - 0
    .max_flat_workgroup_size: 128
    .name:           _Z11rank_kernelIxLj4ELb0EL18RadixRankAlgorithm0ELj128ELj1ELj10EEvPKT_Pi
    .private_segment_fixed_size: 0
    .sgpr_count:     36
    .sgpr_spill_count: 0
    .symbol:         _Z11rank_kernelIxLj4ELb0EL18RadixRankAlgorithm0ELj128ELj1ELj10EEvPKT_Pi.kd
    .uniform_work_group_size: 1
    .uses_dynamic_stack: false
    .vgpr_count:     22
    .vgpr_spill_count: 0
    .wavefront_size: 64
  - .args:
      - .address_space:  global
        .offset:         0
        .size:           8
        .value_kind:     global_buffer
      - .address_space:  global
        .offset:         8
        .size:           8
        .value_kind:     global_buffer
    .group_segment_fixed_size: 4104
    .kernarg_segment_align: 8
    .kernarg_segment_size: 16
    .language:       OpenCL C
    .language_version:
      - 2
      - 0
    .max_flat_workgroup_size: 128
    .name:           _Z11rank_kernelIxLj4ELb0EL18RadixRankAlgorithm1ELj128ELj1ELj10EEvPKT_Pi
    .private_segment_fixed_size: 0
    .sgpr_count:     36
    .sgpr_spill_count: 0
    .symbol:         _Z11rank_kernelIxLj4ELb0EL18RadixRankAlgorithm1ELj128ELj1ELj10EEvPKT_Pi.kd
    .uniform_work_group_size: 1
    .uses_dynamic_stack: false
    .vgpr_count:     22
    .vgpr_spill_count: 0
    .wavefront_size: 64
  - .args:
      - .address_space:  global
        .offset:         0
        .size:           8
        .value_kind:     global_buffer
      - .address_space:  global
        .offset:         8
        .size:           8
        .value_kind:     global_buffer
      - .offset:         16
        .size:           4
        .value_kind:     hidden_block_count_x
      - .offset:         20
        .size:           4
        .value_kind:     hidden_block_count_y
      - .offset:         24
        .size:           4
        .value_kind:     hidden_block_count_z
      - .offset:         28
        .size:           2
        .value_kind:     hidden_group_size_x
      - .offset:         30
        .size:           2
        .value_kind:     hidden_group_size_y
      - .offset:         32
        .size:           2
        .value_kind:     hidden_group_size_z
      - .offset:         34
        .size:           2
        .value_kind:     hidden_remainder_x
      - .offset:         36
        .size:           2
        .value_kind:     hidden_remainder_y
      - .offset:         38
        .size:           2
        .value_kind:     hidden_remainder_z
      - .offset:         56
        .size:           8
        .value_kind:     hidden_global_offset_x
      - .offset:         64
        .size:           8
        .value_kind:     hidden_global_offset_y
      - .offset:         72
        .size:           8
        .value_kind:     hidden_global_offset_z
      - .offset:         80
        .size:           2
        .value_kind:     hidden_grid_dims
    .group_segment_fixed_size: 520
    .kernarg_segment_align: 8
    .kernarg_segment_size: 272
    .language:       OpenCL C
    .language_version:
      - 2
      - 0
    .max_flat_workgroup_size: 128
    .name:           _Z11rank_kernelIxLj4ELb0EL18RadixRankAlgorithm2ELj128ELj1ELj10EEvPKT_Pi
    .private_segment_fixed_size: 0
    .sgpr_count:     36
    .sgpr_spill_count: 0
    .symbol:         _Z11rank_kernelIxLj4ELb0EL18RadixRankAlgorithm2ELj128ELj1ELj10EEvPKT_Pi.kd
    .uniform_work_group_size: 1
    .uses_dynamic_stack: false
    .vgpr_count:     17
    .vgpr_spill_count: 0
    .wavefront_size: 64
  - .args:
      - .address_space:  global
        .offset:         0
        .size:           8
        .value_kind:     global_buffer
      - .address_space:  global
        .offset:         8
        .size:           8
        .value_kind:     global_buffer
    .group_segment_fixed_size: 4104
    .kernarg_segment_align: 8
    .kernarg_segment_size: 16
    .language:       OpenCL C
    .language_version:
      - 2
      - 0
    .max_flat_workgroup_size: 128
    .name:           _Z11rank_kernelIxLj4ELb0EL18RadixRankAlgorithm0ELj128ELj4ELj10EEvPKT_Pi
    .private_segment_fixed_size: 0
    .sgpr_count:     36
    .sgpr_spill_count: 0
    .symbol:         _Z11rank_kernelIxLj4ELb0EL18RadixRankAlgorithm0ELj128ELj4ELj10EEvPKT_Pi.kd
    .uniform_work_group_size: 1
    .uses_dynamic_stack: false
    .vgpr_count:     30
    .vgpr_spill_count: 0
    .wavefront_size: 64
  - .args:
      - .address_space:  global
        .offset:         0
        .size:           8
        .value_kind:     global_buffer
      - .address_space:  global
        .offset:         8
        .size:           8
        .value_kind:     global_buffer
    .group_segment_fixed_size: 4104
    .kernarg_segment_align: 8
    .kernarg_segment_size: 16
    .language:       OpenCL C
    .language_version:
      - 2
      - 0
    .max_flat_workgroup_size: 128
    .name:           _Z11rank_kernelIxLj4ELb0EL18RadixRankAlgorithm1ELj128ELj4ELj10EEvPKT_Pi
    .private_segment_fixed_size: 0
    .sgpr_count:     36
    .sgpr_spill_count: 0
    .symbol:         _Z11rank_kernelIxLj4ELb0EL18RadixRankAlgorithm1ELj128ELj4ELj10EEvPKT_Pi.kd
    .uniform_work_group_size: 1
    .uses_dynamic_stack: false
    .vgpr_count:     34
    .vgpr_spill_count: 0
    .wavefront_size: 64
  - .args:
      - .address_space:  global
        .offset:         0
        .size:           8
        .value_kind:     global_buffer
      - .address_space:  global
        .offset:         8
        .size:           8
        .value_kind:     global_buffer
      - .offset:         16
        .size:           4
        .value_kind:     hidden_block_count_x
      - .offset:         20
        .size:           4
        .value_kind:     hidden_block_count_y
      - .offset:         24
        .size:           4
        .value_kind:     hidden_block_count_z
      - .offset:         28
        .size:           2
        .value_kind:     hidden_group_size_x
      - .offset:         30
        .size:           2
        .value_kind:     hidden_group_size_y
      - .offset:         32
        .size:           2
        .value_kind:     hidden_group_size_z
      - .offset:         34
        .size:           2
        .value_kind:     hidden_remainder_x
      - .offset:         36
        .size:           2
        .value_kind:     hidden_remainder_y
      - .offset:         38
        .size:           2
        .value_kind:     hidden_remainder_z
      - .offset:         56
        .size:           8
        .value_kind:     hidden_global_offset_x
      - .offset:         64
        .size:           8
        .value_kind:     hidden_global_offset_y
      - .offset:         72
        .size:           8
        .value_kind:     hidden_global_offset_z
      - .offset:         80
        .size:           2
        .value_kind:     hidden_grid_dims
    .group_segment_fixed_size: 520
    .kernarg_segment_align: 8
    .kernarg_segment_size: 272
    .language:       OpenCL C
    .language_version:
      - 2
      - 0
    .max_flat_workgroup_size: 128
    .name:           _Z11rank_kernelIxLj4ELb0EL18RadixRankAlgorithm2ELj128ELj4ELj10EEvPKT_Pi
    .private_segment_fixed_size: 0
    .sgpr_count:     36
    .sgpr_spill_count: 0
    .symbol:         _Z11rank_kernelIxLj4ELb0EL18RadixRankAlgorithm2ELj128ELj4ELj10EEvPKT_Pi.kd
    .uniform_work_group_size: 1
    .uses_dynamic_stack: false
    .vgpr_count:     31
    .vgpr_spill_count: 0
    .wavefront_size: 64
  - .args:
      - .address_space:  global
        .offset:         0
        .size:           8
        .value_kind:     global_buffer
      - .address_space:  global
        .offset:         8
        .size:           8
        .value_kind:     global_buffer
    .group_segment_fixed_size: 4104
    .kernarg_segment_align: 8
    .kernarg_segment_size: 16
    .language:       OpenCL C
    .language_version:
      - 2
      - 0
    .max_flat_workgroup_size: 128
    .name:           _Z11rank_kernelIxLj4ELb0EL18RadixRankAlgorithm0ELj128ELj8ELj10EEvPKT_Pi
    .private_segment_fixed_size: 0
    .sgpr_count:     36
    .sgpr_spill_count: 0
    .symbol:         _Z11rank_kernelIxLj4ELb0EL18RadixRankAlgorithm0ELj128ELj8ELj10EEvPKT_Pi.kd
    .uniform_work_group_size: 1
    .uses_dynamic_stack: false
    .vgpr_count:     47
    .vgpr_spill_count: 0
    .wavefront_size: 64
  - .args:
      - .address_space:  global
        .offset:         0
        .size:           8
        .value_kind:     global_buffer
      - .address_space:  global
        .offset:         8
        .size:           8
        .value_kind:     global_buffer
    .group_segment_fixed_size: 4104
    .kernarg_segment_align: 8
    .kernarg_segment_size: 16
    .language:       OpenCL C
    .language_version:
      - 2
      - 0
    .max_flat_workgroup_size: 128
    .name:           _Z11rank_kernelIxLj4ELb0EL18RadixRankAlgorithm1ELj128ELj8ELj10EEvPKT_Pi
    .private_segment_fixed_size: 0
    .sgpr_count:     36
    .sgpr_spill_count: 0
    .symbol:         _Z11rank_kernelIxLj4ELb0EL18RadixRankAlgorithm1ELj128ELj8ELj10EEvPKT_Pi.kd
    .uniform_work_group_size: 1
    .uses_dynamic_stack: false
    .vgpr_count:     51
    .vgpr_spill_count: 0
    .wavefront_size: 64
  - .args:
      - .address_space:  global
        .offset:         0
        .size:           8
        .value_kind:     global_buffer
      - .address_space:  global
        .offset:         8
        .size:           8
        .value_kind:     global_buffer
      - .offset:         16
        .size:           4
        .value_kind:     hidden_block_count_x
      - .offset:         20
        .size:           4
        .value_kind:     hidden_block_count_y
      - .offset:         24
        .size:           4
        .value_kind:     hidden_block_count_z
      - .offset:         28
        .size:           2
        .value_kind:     hidden_group_size_x
      - .offset:         30
        .size:           2
        .value_kind:     hidden_group_size_y
      - .offset:         32
        .size:           2
        .value_kind:     hidden_group_size_z
      - .offset:         34
        .size:           2
        .value_kind:     hidden_remainder_x
      - .offset:         36
        .size:           2
        .value_kind:     hidden_remainder_y
      - .offset:         38
        .size:           2
        .value_kind:     hidden_remainder_z
      - .offset:         56
        .size:           8
        .value_kind:     hidden_global_offset_x
      - .offset:         64
        .size:           8
        .value_kind:     hidden_global_offset_y
      - .offset:         72
        .size:           8
        .value_kind:     hidden_global_offset_z
      - .offset:         80
        .size:           2
        .value_kind:     hidden_grid_dims
    .group_segment_fixed_size: 520
    .kernarg_segment_align: 8
    .kernarg_segment_size: 272
    .language:       OpenCL C
    .language_version:
      - 2
      - 0
    .max_flat_workgroup_size: 128
    .name:           _Z11rank_kernelIxLj4ELb0EL18RadixRankAlgorithm2ELj128ELj8ELj10EEvPKT_Pi
    .private_segment_fixed_size: 0
    .sgpr_count:     36
    .sgpr_spill_count: 0
    .symbol:         _Z11rank_kernelIxLj4ELb0EL18RadixRankAlgorithm2ELj128ELj8ELj10EEvPKT_Pi.kd
    .uniform_work_group_size: 1
    .uses_dynamic_stack: false
    .vgpr_count:     52
    .vgpr_spill_count: 0
    .wavefront_size: 64
  - .args:
      - .address_space:  global
        .offset:         0
        .size:           8
        .value_kind:     global_buffer
      - .address_space:  global
        .offset:         8
        .size:           8
        .value_kind:     global_buffer
    .group_segment_fixed_size: 4104
    .kernarg_segment_align: 8
    .kernarg_segment_size: 16
    .language:       OpenCL C
    .language_version:
      - 2
      - 0
    .max_flat_workgroup_size: 128
    .name:           _Z11rank_kernelIxLj4ELb0EL18RadixRankAlgorithm0ELj128ELj16ELj10EEvPKT_Pi
    .private_segment_fixed_size: 0
    .sgpr_count:     36
    .sgpr_spill_count: 0
    .symbol:         _Z11rank_kernelIxLj4ELb0EL18RadixRankAlgorithm0ELj128ELj16ELj10EEvPKT_Pi.kd
    .uniform_work_group_size: 1
    .uses_dynamic_stack: false
    .vgpr_count:     83
    .vgpr_spill_count: 0
    .wavefront_size: 64
  - .args:
      - .address_space:  global
        .offset:         0
        .size:           8
        .value_kind:     global_buffer
      - .address_space:  global
        .offset:         8
        .size:           8
        .value_kind:     global_buffer
    .group_segment_fixed_size: 4104
    .kernarg_segment_align: 8
    .kernarg_segment_size: 16
    .language:       OpenCL C
    .language_version:
      - 2
      - 0
    .max_flat_workgroup_size: 128
    .name:           _Z11rank_kernelIxLj4ELb0EL18RadixRankAlgorithm1ELj128ELj16ELj10EEvPKT_Pi
    .private_segment_fixed_size: 0
    .sgpr_count:     36
    .sgpr_spill_count: 0
    .symbol:         _Z11rank_kernelIxLj4ELb0EL18RadixRankAlgorithm1ELj128ELj16ELj10EEvPKT_Pi.kd
    .uniform_work_group_size: 1
    .uses_dynamic_stack: false
    .vgpr_count:     83
    .vgpr_spill_count: 0
    .wavefront_size: 64
  - .args:
      - .address_space:  global
        .offset:         0
        .size:           8
        .value_kind:     global_buffer
      - .address_space:  global
        .offset:         8
        .size:           8
        .value_kind:     global_buffer
      - .offset:         16
        .size:           4
        .value_kind:     hidden_block_count_x
      - .offset:         20
        .size:           4
        .value_kind:     hidden_block_count_y
      - .offset:         24
        .size:           4
        .value_kind:     hidden_block_count_z
      - .offset:         28
        .size:           2
        .value_kind:     hidden_group_size_x
      - .offset:         30
        .size:           2
        .value_kind:     hidden_group_size_y
      - .offset:         32
        .size:           2
        .value_kind:     hidden_group_size_z
      - .offset:         34
        .size:           2
        .value_kind:     hidden_remainder_x
      - .offset:         36
        .size:           2
        .value_kind:     hidden_remainder_y
      - .offset:         38
        .size:           2
        .value_kind:     hidden_remainder_z
      - .offset:         56
        .size:           8
        .value_kind:     hidden_global_offset_x
      - .offset:         64
        .size:           8
        .value_kind:     hidden_global_offset_y
      - .offset:         72
        .size:           8
        .value_kind:     hidden_global_offset_z
      - .offset:         80
        .size:           2
        .value_kind:     hidden_grid_dims
    .group_segment_fixed_size: 520
    .kernarg_segment_align: 8
    .kernarg_segment_size: 272
    .language:       OpenCL C
    .language_version:
      - 2
      - 0
    .max_flat_workgroup_size: 128
    .name:           _Z11rank_kernelIxLj4ELb0EL18RadixRankAlgorithm2ELj128ELj16ELj10EEvPKT_Pi
    .private_segment_fixed_size: 0
    .sgpr_count:     36
    .sgpr_spill_count: 0
    .symbol:         _Z11rank_kernelIxLj4ELb0EL18RadixRankAlgorithm2ELj128ELj16ELj10EEvPKT_Pi.kd
    .uniform_work_group_size: 1
    .uses_dynamic_stack: false
    .vgpr_count:     92
    .vgpr_spill_count: 0
    .wavefront_size: 64
  - .args:
      - .address_space:  global
        .offset:         0
        .size:           8
        .value_kind:     global_buffer
      - .address_space:  global
        .offset:         8
        .size:           8
        .value_kind:     global_buffer
    .group_segment_fixed_size: 4104
    .kernarg_segment_align: 8
    .kernarg_segment_size: 16
    .language:       OpenCL C
    .language_version:
      - 2
      - 0
    .max_flat_workgroup_size: 128
    .name:           _Z11rank_kernelIxLj4ELb0EL18RadixRankAlgorithm0ELj128ELj32ELj10EEvPKT_Pi
    .private_segment_fixed_size: 0
    .sgpr_count:     36
    .sgpr_spill_count: 0
    .symbol:         _Z11rank_kernelIxLj4ELb0EL18RadixRankAlgorithm0ELj128ELj32ELj10EEvPKT_Pi.kd
    .uniform_work_group_size: 1
    .uses_dynamic_stack: false
    .vgpr_count:     146
    .vgpr_spill_count: 0
    .wavefront_size: 64
  - .args:
      - .address_space:  global
        .offset:         0
        .size:           8
        .value_kind:     global_buffer
      - .address_space:  global
        .offset:         8
        .size:           8
        .value_kind:     global_buffer
    .group_segment_fixed_size: 4104
    .kernarg_segment_align: 8
    .kernarg_segment_size: 16
    .language:       OpenCL C
    .language_version:
      - 2
      - 0
    .max_flat_workgroup_size: 128
    .name:           _Z11rank_kernelIxLj4ELb0EL18RadixRankAlgorithm1ELj128ELj32ELj10EEvPKT_Pi
    .private_segment_fixed_size: 0
    .sgpr_count:     36
    .sgpr_spill_count: 0
    .symbol:         _Z11rank_kernelIxLj4ELb0EL18RadixRankAlgorithm1ELj128ELj32ELj10EEvPKT_Pi.kd
    .uniform_work_group_size: 1
    .uses_dynamic_stack: false
    .vgpr_count:     146
    .vgpr_spill_count: 0
    .wavefront_size: 64
  - .args:
      - .address_space:  global
        .offset:         0
        .size:           8
        .value_kind:     global_buffer
      - .address_space:  global
        .offset:         8
        .size:           8
        .value_kind:     global_buffer
      - .offset:         16
        .size:           4
        .value_kind:     hidden_block_count_x
      - .offset:         20
        .size:           4
        .value_kind:     hidden_block_count_y
      - .offset:         24
        .size:           4
        .value_kind:     hidden_block_count_z
      - .offset:         28
        .size:           2
        .value_kind:     hidden_group_size_x
      - .offset:         30
        .size:           2
        .value_kind:     hidden_group_size_y
      - .offset:         32
        .size:           2
        .value_kind:     hidden_group_size_z
      - .offset:         34
        .size:           2
        .value_kind:     hidden_remainder_x
      - .offset:         36
        .size:           2
        .value_kind:     hidden_remainder_y
      - .offset:         38
        .size:           2
        .value_kind:     hidden_remainder_z
      - .offset:         56
        .size:           8
        .value_kind:     hidden_global_offset_x
      - .offset:         64
        .size:           8
        .value_kind:     hidden_global_offset_y
      - .offset:         72
        .size:           8
        .value_kind:     hidden_global_offset_z
      - .offset:         80
        .size:           2
        .value_kind:     hidden_grid_dims
    .group_segment_fixed_size: 520
    .kernarg_segment_align: 8
    .kernarg_segment_size: 272
    .language:       OpenCL C
    .language_version:
      - 2
      - 0
    .max_flat_workgroup_size: 128
    .name:           _Z11rank_kernelIxLj4ELb0EL18RadixRankAlgorithm2ELj128ELj32ELj10EEvPKT_Pi
    .private_segment_fixed_size: 0
    .sgpr_count:     36
    .sgpr_spill_count: 0
    .symbol:         _Z11rank_kernelIxLj4ELb0EL18RadixRankAlgorithm2ELj128ELj32ELj10EEvPKT_Pi.kd
    .uniform_work_group_size: 1
    .uses_dynamic_stack: false
    .vgpr_count:     172
    .vgpr_spill_count: 0
    .wavefront_size: 64
  - .args:
      - .address_space:  global
        .offset:         0
        .size:           8
        .value_kind:     global_buffer
      - .address_space:  global
        .offset:         8
        .size:           8
        .value_kind:     global_buffer
    .group_segment_fixed_size: 8208
    .kernarg_segment_align: 8
    .kernarg_segment_size: 16
    .language:       OpenCL C
    .language_version:
      - 2
      - 0
    .max_flat_workgroup_size: 256
    .name:           _Z11rank_kernelIxLj4ELb0EL18RadixRankAlgorithm0ELj256ELj1ELj10EEvPKT_Pi
    .private_segment_fixed_size: 0
    .sgpr_count:     39
    .sgpr_spill_count: 0
    .symbol:         _Z11rank_kernelIxLj4ELb0EL18RadixRankAlgorithm0ELj256ELj1ELj10EEvPKT_Pi.kd
    .uniform_work_group_size: 1
    .uses_dynamic_stack: false
    .vgpr_count:     22
    .vgpr_spill_count: 0
    .wavefront_size: 64
  - .args:
      - .address_space:  global
        .offset:         0
        .size:           8
        .value_kind:     global_buffer
      - .address_space:  global
        .offset:         8
        .size:           8
        .value_kind:     global_buffer
    .group_segment_fixed_size: 8208
    .kernarg_segment_align: 8
    .kernarg_segment_size: 16
    .language:       OpenCL C
    .language_version:
      - 2
      - 0
    .max_flat_workgroup_size: 256
    .name:           _Z11rank_kernelIxLj4ELb0EL18RadixRankAlgorithm1ELj256ELj1ELj10EEvPKT_Pi
    .private_segment_fixed_size: 0
    .sgpr_count:     39
    .sgpr_spill_count: 0
    .symbol:         _Z11rank_kernelIxLj4ELb0EL18RadixRankAlgorithm1ELj256ELj1ELj10EEvPKT_Pi.kd
    .uniform_work_group_size: 1
    .uses_dynamic_stack: false
    .vgpr_count:     22
    .vgpr_spill_count: 0
    .wavefront_size: 64
  - .args:
      - .address_space:  global
        .offset:         0
        .size:           8
        .value_kind:     global_buffer
      - .address_space:  global
        .offset:         8
        .size:           8
        .value_kind:     global_buffer
      - .offset:         16
        .size:           4
        .value_kind:     hidden_block_count_x
      - .offset:         20
        .size:           4
        .value_kind:     hidden_block_count_y
      - .offset:         24
        .size:           4
        .value_kind:     hidden_block_count_z
      - .offset:         28
        .size:           2
        .value_kind:     hidden_group_size_x
      - .offset:         30
        .size:           2
        .value_kind:     hidden_group_size_y
      - .offset:         32
        .size:           2
        .value_kind:     hidden_group_size_z
      - .offset:         34
        .size:           2
        .value_kind:     hidden_remainder_x
      - .offset:         36
        .size:           2
        .value_kind:     hidden_remainder_y
      - .offset:         38
        .size:           2
        .value_kind:     hidden_remainder_z
      - .offset:         56
        .size:           8
        .value_kind:     hidden_global_offset_x
      - .offset:         64
        .size:           8
        .value_kind:     hidden_global_offset_y
      - .offset:         72
        .size:           8
        .value_kind:     hidden_global_offset_z
      - .offset:         80
        .size:           2
        .value_kind:     hidden_grid_dims
    .group_segment_fixed_size: 1040
    .kernarg_segment_align: 8
    .kernarg_segment_size: 272
    .language:       OpenCL C
    .language_version:
      - 2
      - 0
    .max_flat_workgroup_size: 256
    .name:           _Z11rank_kernelIxLj4ELb0EL18RadixRankAlgorithm2ELj256ELj1ELj10EEvPKT_Pi
    .private_segment_fixed_size: 0
    .sgpr_count:     39
    .sgpr_spill_count: 0
    .symbol:         _Z11rank_kernelIxLj4ELb0EL18RadixRankAlgorithm2ELj256ELj1ELj10EEvPKT_Pi.kd
    .uniform_work_group_size: 1
    .uses_dynamic_stack: false
    .vgpr_count:     17
    .vgpr_spill_count: 0
    .wavefront_size: 64
  - .args:
      - .address_space:  global
        .offset:         0
        .size:           8
        .value_kind:     global_buffer
      - .address_space:  global
        .offset:         8
        .size:           8
        .value_kind:     global_buffer
    .group_segment_fixed_size: 8208
    .kernarg_segment_align: 8
    .kernarg_segment_size: 16
    .language:       OpenCL C
    .language_version:
      - 2
      - 0
    .max_flat_workgroup_size: 256
    .name:           _Z11rank_kernelIxLj4ELb0EL18RadixRankAlgorithm0ELj256ELj4ELj10EEvPKT_Pi
    .private_segment_fixed_size: 0
    .sgpr_count:     39
    .sgpr_spill_count: 0
    .symbol:         _Z11rank_kernelIxLj4ELb0EL18RadixRankAlgorithm0ELj256ELj4ELj10EEvPKT_Pi.kd
    .uniform_work_group_size: 1
    .uses_dynamic_stack: false
    .vgpr_count:     34
    .vgpr_spill_count: 0
    .wavefront_size: 64
  - .args:
      - .address_space:  global
        .offset:         0
        .size:           8
        .value_kind:     global_buffer
      - .address_space:  global
        .offset:         8
        .size:           8
        .value_kind:     global_buffer
    .group_segment_fixed_size: 8208
    .kernarg_segment_align: 8
    .kernarg_segment_size: 16
    .language:       OpenCL C
    .language_version:
      - 2
      - 0
    .max_flat_workgroup_size: 256
    .name:           _Z11rank_kernelIxLj4ELb0EL18RadixRankAlgorithm1ELj256ELj4ELj10EEvPKT_Pi
    .private_segment_fixed_size: 0
    .sgpr_count:     39
    .sgpr_spill_count: 0
    .symbol:         _Z11rank_kernelIxLj4ELb0EL18RadixRankAlgorithm1ELj256ELj4ELj10EEvPKT_Pi.kd
    .uniform_work_group_size: 1
    .uses_dynamic_stack: false
    .vgpr_count:     34
    .vgpr_spill_count: 0
    .wavefront_size: 64
  - .args:
      - .address_space:  global
        .offset:         0
        .size:           8
        .value_kind:     global_buffer
      - .address_space:  global
        .offset:         8
        .size:           8
        .value_kind:     global_buffer
      - .offset:         16
        .size:           4
        .value_kind:     hidden_block_count_x
      - .offset:         20
        .size:           4
        .value_kind:     hidden_block_count_y
      - .offset:         24
        .size:           4
        .value_kind:     hidden_block_count_z
      - .offset:         28
        .size:           2
        .value_kind:     hidden_group_size_x
      - .offset:         30
        .size:           2
        .value_kind:     hidden_group_size_y
      - .offset:         32
        .size:           2
        .value_kind:     hidden_group_size_z
      - .offset:         34
        .size:           2
        .value_kind:     hidden_remainder_x
      - .offset:         36
        .size:           2
        .value_kind:     hidden_remainder_y
      - .offset:         38
        .size:           2
        .value_kind:     hidden_remainder_z
      - .offset:         56
        .size:           8
        .value_kind:     hidden_global_offset_x
      - .offset:         64
        .size:           8
        .value_kind:     hidden_global_offset_y
      - .offset:         72
        .size:           8
        .value_kind:     hidden_global_offset_z
      - .offset:         80
        .size:           2
        .value_kind:     hidden_grid_dims
    .group_segment_fixed_size: 1040
    .kernarg_segment_align: 8
    .kernarg_segment_size: 272
    .language:       OpenCL C
    .language_version:
      - 2
      - 0
    .max_flat_workgroup_size: 256
    .name:           _Z11rank_kernelIxLj4ELb0EL18RadixRankAlgorithm2ELj256ELj4ELj10EEvPKT_Pi
    .private_segment_fixed_size: 0
    .sgpr_count:     39
    .sgpr_spill_count: 0
    .symbol:         _Z11rank_kernelIxLj4ELb0EL18RadixRankAlgorithm2ELj256ELj4ELj10EEvPKT_Pi.kd
    .uniform_work_group_size: 1
    .uses_dynamic_stack: false
    .vgpr_count:     31
    .vgpr_spill_count: 0
    .wavefront_size: 64
  - .args:
      - .address_space:  global
        .offset:         0
        .size:           8
        .value_kind:     global_buffer
      - .address_space:  global
        .offset:         8
        .size:           8
        .value_kind:     global_buffer
    .group_segment_fixed_size: 8208
    .kernarg_segment_align: 8
    .kernarg_segment_size: 16
    .language:       OpenCL C
    .language_version:
      - 2
      - 0
    .max_flat_workgroup_size: 256
    .name:           _Z11rank_kernelIxLj4ELb0EL18RadixRankAlgorithm0ELj256ELj8ELj10EEvPKT_Pi
    .private_segment_fixed_size: 0
    .sgpr_count:     39
    .sgpr_spill_count: 0
    .symbol:         _Z11rank_kernelIxLj4ELb0EL18RadixRankAlgorithm0ELj256ELj8ELj10EEvPKT_Pi.kd
    .uniform_work_group_size: 1
    .uses_dynamic_stack: false
    .vgpr_count:     47
    .vgpr_spill_count: 0
    .wavefront_size: 64
  - .args:
      - .address_space:  global
        .offset:         0
        .size:           8
        .value_kind:     global_buffer
      - .address_space:  global
        .offset:         8
        .size:           8
        .value_kind:     global_buffer
    .group_segment_fixed_size: 8208
    .kernarg_segment_align: 8
    .kernarg_segment_size: 16
    .language:       OpenCL C
    .language_version:
      - 2
      - 0
    .max_flat_workgroup_size: 256
    .name:           _Z11rank_kernelIxLj4ELb0EL18RadixRankAlgorithm1ELj256ELj8ELj10EEvPKT_Pi
    .private_segment_fixed_size: 0
    .sgpr_count:     39
    .sgpr_spill_count: 0
    .symbol:         _Z11rank_kernelIxLj4ELb0EL18RadixRankAlgorithm1ELj256ELj8ELj10EEvPKT_Pi.kd
    .uniform_work_group_size: 1
    .uses_dynamic_stack: false
    .vgpr_count:     51
    .vgpr_spill_count: 0
    .wavefront_size: 64
  - .args:
      - .address_space:  global
        .offset:         0
        .size:           8
        .value_kind:     global_buffer
      - .address_space:  global
        .offset:         8
        .size:           8
        .value_kind:     global_buffer
      - .offset:         16
        .size:           4
        .value_kind:     hidden_block_count_x
      - .offset:         20
        .size:           4
        .value_kind:     hidden_block_count_y
      - .offset:         24
        .size:           4
        .value_kind:     hidden_block_count_z
      - .offset:         28
        .size:           2
        .value_kind:     hidden_group_size_x
      - .offset:         30
        .size:           2
        .value_kind:     hidden_group_size_y
      - .offset:         32
        .size:           2
        .value_kind:     hidden_group_size_z
      - .offset:         34
        .size:           2
        .value_kind:     hidden_remainder_x
      - .offset:         36
        .size:           2
        .value_kind:     hidden_remainder_y
      - .offset:         38
        .size:           2
        .value_kind:     hidden_remainder_z
      - .offset:         56
        .size:           8
        .value_kind:     hidden_global_offset_x
      - .offset:         64
        .size:           8
        .value_kind:     hidden_global_offset_y
      - .offset:         72
        .size:           8
        .value_kind:     hidden_global_offset_z
      - .offset:         80
        .size:           2
        .value_kind:     hidden_grid_dims
    .group_segment_fixed_size: 1040
    .kernarg_segment_align: 8
    .kernarg_segment_size: 272
    .language:       OpenCL C
    .language_version:
      - 2
      - 0
    .max_flat_workgroup_size: 256
    .name:           _Z11rank_kernelIxLj4ELb0EL18RadixRankAlgorithm2ELj256ELj8ELj10EEvPKT_Pi
    .private_segment_fixed_size: 0
    .sgpr_count:     39
    .sgpr_spill_count: 0
    .symbol:         _Z11rank_kernelIxLj4ELb0EL18RadixRankAlgorithm2ELj256ELj8ELj10EEvPKT_Pi.kd
    .uniform_work_group_size: 1
    .uses_dynamic_stack: false
    .vgpr_count:     52
    .vgpr_spill_count: 0
    .wavefront_size: 64
  - .args:
      - .address_space:  global
        .offset:         0
        .size:           8
        .value_kind:     global_buffer
      - .address_space:  global
        .offset:         8
        .size:           8
        .value_kind:     global_buffer
    .group_segment_fixed_size: 8208
    .kernarg_segment_align: 8
    .kernarg_segment_size: 16
    .language:       OpenCL C
    .language_version:
      - 2
      - 0
    .max_flat_workgroup_size: 256
    .name:           _Z11rank_kernelIxLj4ELb0EL18RadixRankAlgorithm0ELj256ELj16ELj10EEvPKT_Pi
    .private_segment_fixed_size: 0
    .sgpr_count:     39
    .sgpr_spill_count: 0
    .symbol:         _Z11rank_kernelIxLj4ELb0EL18RadixRankAlgorithm0ELj256ELj16ELj10EEvPKT_Pi.kd
    .uniform_work_group_size: 1
    .uses_dynamic_stack: false
    .vgpr_count:     83
    .vgpr_spill_count: 0
    .wavefront_size: 64
  - .args:
      - .address_space:  global
        .offset:         0
        .size:           8
        .value_kind:     global_buffer
      - .address_space:  global
        .offset:         8
        .size:           8
        .value_kind:     global_buffer
    .group_segment_fixed_size: 8208
    .kernarg_segment_align: 8
    .kernarg_segment_size: 16
    .language:       OpenCL C
    .language_version:
      - 2
      - 0
    .max_flat_workgroup_size: 256
    .name:           _Z11rank_kernelIxLj4ELb0EL18RadixRankAlgorithm1ELj256ELj16ELj10EEvPKT_Pi
    .private_segment_fixed_size: 0
    .sgpr_count:     39
    .sgpr_spill_count: 0
    .symbol:         _Z11rank_kernelIxLj4ELb0EL18RadixRankAlgorithm1ELj256ELj16ELj10EEvPKT_Pi.kd
    .uniform_work_group_size: 1
    .uses_dynamic_stack: false
    .vgpr_count:     83
    .vgpr_spill_count: 0
    .wavefront_size: 64
  - .args:
      - .address_space:  global
        .offset:         0
        .size:           8
        .value_kind:     global_buffer
      - .address_space:  global
        .offset:         8
        .size:           8
        .value_kind:     global_buffer
      - .offset:         16
        .size:           4
        .value_kind:     hidden_block_count_x
      - .offset:         20
        .size:           4
        .value_kind:     hidden_block_count_y
      - .offset:         24
        .size:           4
        .value_kind:     hidden_block_count_z
      - .offset:         28
        .size:           2
        .value_kind:     hidden_group_size_x
      - .offset:         30
        .size:           2
        .value_kind:     hidden_group_size_y
      - .offset:         32
        .size:           2
        .value_kind:     hidden_group_size_z
      - .offset:         34
        .size:           2
        .value_kind:     hidden_remainder_x
      - .offset:         36
        .size:           2
        .value_kind:     hidden_remainder_y
      - .offset:         38
        .size:           2
        .value_kind:     hidden_remainder_z
      - .offset:         56
        .size:           8
        .value_kind:     hidden_global_offset_x
      - .offset:         64
        .size:           8
        .value_kind:     hidden_global_offset_y
      - .offset:         72
        .size:           8
        .value_kind:     hidden_global_offset_z
      - .offset:         80
        .size:           2
        .value_kind:     hidden_grid_dims
    .group_segment_fixed_size: 1040
    .kernarg_segment_align: 8
    .kernarg_segment_size: 272
    .language:       OpenCL C
    .language_version:
      - 2
      - 0
    .max_flat_workgroup_size: 256
    .name:           _Z11rank_kernelIxLj4ELb0EL18RadixRankAlgorithm2ELj256ELj16ELj10EEvPKT_Pi
    .private_segment_fixed_size: 0
    .sgpr_count:     39
    .sgpr_spill_count: 0
    .symbol:         _Z11rank_kernelIxLj4ELb0EL18RadixRankAlgorithm2ELj256ELj16ELj10EEvPKT_Pi.kd
    .uniform_work_group_size: 1
    .uses_dynamic_stack: false
    .vgpr_count:     92
    .vgpr_spill_count: 0
    .wavefront_size: 64
  - .args:
      - .address_space:  global
        .offset:         0
        .size:           8
        .value_kind:     global_buffer
      - .address_space:  global
        .offset:         8
        .size:           8
        .value_kind:     global_buffer
    .group_segment_fixed_size: 8208
    .kernarg_segment_align: 8
    .kernarg_segment_size: 16
    .language:       OpenCL C
    .language_version:
      - 2
      - 0
    .max_flat_workgroup_size: 256
    .name:           _Z11rank_kernelIxLj4ELb0EL18RadixRankAlgorithm0ELj256ELj32ELj10EEvPKT_Pi
    .private_segment_fixed_size: 0
    .sgpr_count:     39
    .sgpr_spill_count: 0
    .symbol:         _Z11rank_kernelIxLj4ELb0EL18RadixRankAlgorithm0ELj256ELj32ELj10EEvPKT_Pi.kd
    .uniform_work_group_size: 1
    .uses_dynamic_stack: false
    .vgpr_count:     146
    .vgpr_spill_count: 0
    .wavefront_size: 64
  - .args:
      - .address_space:  global
        .offset:         0
        .size:           8
        .value_kind:     global_buffer
      - .address_space:  global
        .offset:         8
        .size:           8
        .value_kind:     global_buffer
    .group_segment_fixed_size: 8208
    .kernarg_segment_align: 8
    .kernarg_segment_size: 16
    .language:       OpenCL C
    .language_version:
      - 2
      - 0
    .max_flat_workgroup_size: 256
    .name:           _Z11rank_kernelIxLj4ELb0EL18RadixRankAlgorithm1ELj256ELj32ELj10EEvPKT_Pi
    .private_segment_fixed_size: 0
    .sgpr_count:     39
    .sgpr_spill_count: 0
    .symbol:         _Z11rank_kernelIxLj4ELb0EL18RadixRankAlgorithm1ELj256ELj32ELj10EEvPKT_Pi.kd
    .uniform_work_group_size: 1
    .uses_dynamic_stack: false
    .vgpr_count:     146
    .vgpr_spill_count: 0
    .wavefront_size: 64
  - .args:
      - .address_space:  global
        .offset:         0
        .size:           8
        .value_kind:     global_buffer
      - .address_space:  global
        .offset:         8
        .size:           8
        .value_kind:     global_buffer
      - .offset:         16
        .size:           4
        .value_kind:     hidden_block_count_x
      - .offset:         20
        .size:           4
        .value_kind:     hidden_block_count_y
      - .offset:         24
        .size:           4
        .value_kind:     hidden_block_count_z
      - .offset:         28
        .size:           2
        .value_kind:     hidden_group_size_x
      - .offset:         30
        .size:           2
        .value_kind:     hidden_group_size_y
      - .offset:         32
        .size:           2
        .value_kind:     hidden_group_size_z
      - .offset:         34
        .size:           2
        .value_kind:     hidden_remainder_x
      - .offset:         36
        .size:           2
        .value_kind:     hidden_remainder_y
      - .offset:         38
        .size:           2
        .value_kind:     hidden_remainder_z
      - .offset:         56
        .size:           8
        .value_kind:     hidden_global_offset_x
      - .offset:         64
        .size:           8
        .value_kind:     hidden_global_offset_y
      - .offset:         72
        .size:           8
        .value_kind:     hidden_global_offset_z
      - .offset:         80
        .size:           2
        .value_kind:     hidden_grid_dims
    .group_segment_fixed_size: 1040
    .kernarg_segment_align: 8
    .kernarg_segment_size: 272
    .language:       OpenCL C
    .language_version:
      - 2
      - 0
    .max_flat_workgroup_size: 256
    .name:           _Z11rank_kernelIxLj4ELb0EL18RadixRankAlgorithm2ELj256ELj32ELj10EEvPKT_Pi
    .private_segment_fixed_size: 0
    .sgpr_count:     39
    .sgpr_spill_count: 0
    .symbol:         _Z11rank_kernelIxLj4ELb0EL18RadixRankAlgorithm2ELj256ELj32ELj10EEvPKT_Pi.kd
    .uniform_work_group_size: 1
    .uses_dynamic_stack: false
    .vgpr_count:     172
    .vgpr_spill_count: 0
    .wavefront_size: 64
  - .args:
      - .address_space:  global
        .offset:         0
        .size:           8
        .value_kind:     global_buffer
      - .address_space:  global
        .offset:         8
        .size:           8
        .value_kind:     global_buffer
    .group_segment_fixed_size: 16416
    .kernarg_segment_align: 8
    .kernarg_segment_size: 16
    .language:       OpenCL C
    .language_version:
      - 2
      - 0
    .max_flat_workgroup_size: 512
    .name:           _Z11rank_kernelIxLj4ELb0EL18RadixRankAlgorithm0ELj512ELj1ELj10EEvPKT_Pi
    .private_segment_fixed_size: 0
    .sgpr_count:     41
    .sgpr_spill_count: 0
    .symbol:         _Z11rank_kernelIxLj4ELb0EL18RadixRankAlgorithm0ELj512ELj1ELj10EEvPKT_Pi.kd
    .uniform_work_group_size: 1
    .uses_dynamic_stack: false
    .vgpr_count:     22
    .vgpr_spill_count: 0
    .wavefront_size: 64
  - .args:
      - .address_space:  global
        .offset:         0
        .size:           8
        .value_kind:     global_buffer
      - .address_space:  global
        .offset:         8
        .size:           8
        .value_kind:     global_buffer
    .group_segment_fixed_size: 16416
    .kernarg_segment_align: 8
    .kernarg_segment_size: 16
    .language:       OpenCL C
    .language_version:
      - 2
      - 0
    .max_flat_workgroup_size: 512
    .name:           _Z11rank_kernelIxLj4ELb0EL18RadixRankAlgorithm1ELj512ELj1ELj10EEvPKT_Pi
    .private_segment_fixed_size: 0
    .sgpr_count:     41
    .sgpr_spill_count: 0
    .symbol:         _Z11rank_kernelIxLj4ELb0EL18RadixRankAlgorithm1ELj512ELj1ELj10EEvPKT_Pi.kd
    .uniform_work_group_size: 1
    .uses_dynamic_stack: false
    .vgpr_count:     22
    .vgpr_spill_count: 0
    .wavefront_size: 64
  - .args:
      - .address_space:  global
        .offset:         0
        .size:           8
        .value_kind:     global_buffer
      - .address_space:  global
        .offset:         8
        .size:           8
        .value_kind:     global_buffer
      - .offset:         16
        .size:           4
        .value_kind:     hidden_block_count_x
      - .offset:         20
        .size:           4
        .value_kind:     hidden_block_count_y
      - .offset:         24
        .size:           4
        .value_kind:     hidden_block_count_z
      - .offset:         28
        .size:           2
        .value_kind:     hidden_group_size_x
      - .offset:         30
        .size:           2
        .value_kind:     hidden_group_size_y
      - .offset:         32
        .size:           2
        .value_kind:     hidden_group_size_z
      - .offset:         34
        .size:           2
        .value_kind:     hidden_remainder_x
      - .offset:         36
        .size:           2
        .value_kind:     hidden_remainder_y
      - .offset:         38
        .size:           2
        .value_kind:     hidden_remainder_z
      - .offset:         56
        .size:           8
        .value_kind:     hidden_global_offset_x
      - .offset:         64
        .size:           8
        .value_kind:     hidden_global_offset_y
      - .offset:         72
        .size:           8
        .value_kind:     hidden_global_offset_z
      - .offset:         80
        .size:           2
        .value_kind:     hidden_grid_dims
    .group_segment_fixed_size: 2080
    .kernarg_segment_align: 8
    .kernarg_segment_size: 272
    .language:       OpenCL C
    .language_version:
      - 2
      - 0
    .max_flat_workgroup_size: 512
    .name:           _Z11rank_kernelIxLj4ELb0EL18RadixRankAlgorithm2ELj512ELj1ELj10EEvPKT_Pi
    .private_segment_fixed_size: 0
    .sgpr_count:     41
    .sgpr_spill_count: 0
    .symbol:         _Z11rank_kernelIxLj4ELb0EL18RadixRankAlgorithm2ELj512ELj1ELj10EEvPKT_Pi.kd
    .uniform_work_group_size: 1
    .uses_dynamic_stack: false
    .vgpr_count:     17
    .vgpr_spill_count: 0
    .wavefront_size: 64
  - .args:
      - .address_space:  global
        .offset:         0
        .size:           8
        .value_kind:     global_buffer
      - .address_space:  global
        .offset:         8
        .size:           8
        .value_kind:     global_buffer
    .group_segment_fixed_size: 16416
    .kernarg_segment_align: 8
    .kernarg_segment_size: 16
    .language:       OpenCL C
    .language_version:
      - 2
      - 0
    .max_flat_workgroup_size: 512
    .name:           _Z11rank_kernelIxLj4ELb0EL18RadixRankAlgorithm0ELj512ELj4ELj10EEvPKT_Pi
    .private_segment_fixed_size: 0
    .sgpr_count:     41
    .sgpr_spill_count: 0
    .symbol:         _Z11rank_kernelIxLj4ELb0EL18RadixRankAlgorithm0ELj512ELj4ELj10EEvPKT_Pi.kd
    .uniform_work_group_size: 1
    .uses_dynamic_stack: false
    .vgpr_count:     34
    .vgpr_spill_count: 0
    .wavefront_size: 64
  - .args:
      - .address_space:  global
        .offset:         0
        .size:           8
        .value_kind:     global_buffer
      - .address_space:  global
        .offset:         8
        .size:           8
        .value_kind:     global_buffer
    .group_segment_fixed_size: 16416
    .kernarg_segment_align: 8
    .kernarg_segment_size: 16
    .language:       OpenCL C
    .language_version:
      - 2
      - 0
    .max_flat_workgroup_size: 512
    .name:           _Z11rank_kernelIxLj4ELb0EL18RadixRankAlgorithm1ELj512ELj4ELj10EEvPKT_Pi
    .private_segment_fixed_size: 0
    .sgpr_count:     41
    .sgpr_spill_count: 0
    .symbol:         _Z11rank_kernelIxLj4ELb0EL18RadixRankAlgorithm1ELj512ELj4ELj10EEvPKT_Pi.kd
    .uniform_work_group_size: 1
    .uses_dynamic_stack: false
    .vgpr_count:     34
    .vgpr_spill_count: 0
    .wavefront_size: 64
  - .args:
      - .address_space:  global
        .offset:         0
        .size:           8
        .value_kind:     global_buffer
      - .address_space:  global
        .offset:         8
        .size:           8
        .value_kind:     global_buffer
      - .offset:         16
        .size:           4
        .value_kind:     hidden_block_count_x
      - .offset:         20
        .size:           4
        .value_kind:     hidden_block_count_y
      - .offset:         24
        .size:           4
        .value_kind:     hidden_block_count_z
      - .offset:         28
        .size:           2
        .value_kind:     hidden_group_size_x
      - .offset:         30
        .size:           2
        .value_kind:     hidden_group_size_y
      - .offset:         32
        .size:           2
        .value_kind:     hidden_group_size_z
      - .offset:         34
        .size:           2
        .value_kind:     hidden_remainder_x
      - .offset:         36
        .size:           2
        .value_kind:     hidden_remainder_y
      - .offset:         38
        .size:           2
        .value_kind:     hidden_remainder_z
      - .offset:         56
        .size:           8
        .value_kind:     hidden_global_offset_x
      - .offset:         64
        .size:           8
        .value_kind:     hidden_global_offset_y
      - .offset:         72
        .size:           8
        .value_kind:     hidden_global_offset_z
      - .offset:         80
        .size:           2
        .value_kind:     hidden_grid_dims
    .group_segment_fixed_size: 2080
    .kernarg_segment_align: 8
    .kernarg_segment_size: 272
    .language:       OpenCL C
    .language_version:
      - 2
      - 0
    .max_flat_workgroup_size: 512
    .name:           _Z11rank_kernelIxLj4ELb0EL18RadixRankAlgorithm2ELj512ELj4ELj10EEvPKT_Pi
    .private_segment_fixed_size: 0
    .sgpr_count:     41
    .sgpr_spill_count: 0
    .symbol:         _Z11rank_kernelIxLj4ELb0EL18RadixRankAlgorithm2ELj512ELj4ELj10EEvPKT_Pi.kd
    .uniform_work_group_size: 1
    .uses_dynamic_stack: false
    .vgpr_count:     31
    .vgpr_spill_count: 0
    .wavefront_size: 64
  - .args:
      - .address_space:  global
        .offset:         0
        .size:           8
        .value_kind:     global_buffer
      - .address_space:  global
        .offset:         8
        .size:           8
        .value_kind:     global_buffer
    .group_segment_fixed_size: 16416
    .kernarg_segment_align: 8
    .kernarg_segment_size: 16
    .language:       OpenCL C
    .language_version:
      - 2
      - 0
    .max_flat_workgroup_size: 512
    .name:           _Z11rank_kernelIxLj4ELb0EL18RadixRankAlgorithm0ELj512ELj8ELj10EEvPKT_Pi
    .private_segment_fixed_size: 0
    .sgpr_count:     41
    .sgpr_spill_count: 0
    .symbol:         _Z11rank_kernelIxLj4ELb0EL18RadixRankAlgorithm0ELj512ELj8ELj10EEvPKT_Pi.kd
    .uniform_work_group_size: 1
    .uses_dynamic_stack: false
    .vgpr_count:     47
    .vgpr_spill_count: 0
    .wavefront_size: 64
  - .args:
      - .address_space:  global
        .offset:         0
        .size:           8
        .value_kind:     global_buffer
      - .address_space:  global
        .offset:         8
        .size:           8
        .value_kind:     global_buffer
    .group_segment_fixed_size: 16416
    .kernarg_segment_align: 8
    .kernarg_segment_size: 16
    .language:       OpenCL C
    .language_version:
      - 2
      - 0
    .max_flat_workgroup_size: 512
    .name:           _Z11rank_kernelIxLj4ELb0EL18RadixRankAlgorithm1ELj512ELj8ELj10EEvPKT_Pi
    .private_segment_fixed_size: 0
    .sgpr_count:     41
    .sgpr_spill_count: 0
    .symbol:         _Z11rank_kernelIxLj4ELb0EL18RadixRankAlgorithm1ELj512ELj8ELj10EEvPKT_Pi.kd
    .uniform_work_group_size: 1
    .uses_dynamic_stack: false
    .vgpr_count:     51
    .vgpr_spill_count: 0
    .wavefront_size: 64
  - .args:
      - .address_space:  global
        .offset:         0
        .size:           8
        .value_kind:     global_buffer
      - .address_space:  global
        .offset:         8
        .size:           8
        .value_kind:     global_buffer
      - .offset:         16
        .size:           4
        .value_kind:     hidden_block_count_x
      - .offset:         20
        .size:           4
        .value_kind:     hidden_block_count_y
      - .offset:         24
        .size:           4
        .value_kind:     hidden_block_count_z
      - .offset:         28
        .size:           2
        .value_kind:     hidden_group_size_x
      - .offset:         30
        .size:           2
        .value_kind:     hidden_group_size_y
      - .offset:         32
        .size:           2
        .value_kind:     hidden_group_size_z
      - .offset:         34
        .size:           2
        .value_kind:     hidden_remainder_x
      - .offset:         36
        .size:           2
        .value_kind:     hidden_remainder_y
      - .offset:         38
        .size:           2
        .value_kind:     hidden_remainder_z
      - .offset:         56
        .size:           8
        .value_kind:     hidden_global_offset_x
      - .offset:         64
        .size:           8
        .value_kind:     hidden_global_offset_y
      - .offset:         72
        .size:           8
        .value_kind:     hidden_global_offset_z
      - .offset:         80
        .size:           2
        .value_kind:     hidden_grid_dims
    .group_segment_fixed_size: 2080
    .kernarg_segment_align: 8
    .kernarg_segment_size: 272
    .language:       OpenCL C
    .language_version:
      - 2
      - 0
    .max_flat_workgroup_size: 512
    .name:           _Z11rank_kernelIxLj4ELb0EL18RadixRankAlgorithm2ELj512ELj8ELj10EEvPKT_Pi
    .private_segment_fixed_size: 0
    .sgpr_count:     41
    .sgpr_spill_count: 0
    .symbol:         _Z11rank_kernelIxLj4ELb0EL18RadixRankAlgorithm2ELj512ELj8ELj10EEvPKT_Pi.kd
    .uniform_work_group_size: 1
    .uses_dynamic_stack: false
    .vgpr_count:     52
    .vgpr_spill_count: 0
    .wavefront_size: 64
  - .args:
      - .address_space:  global
        .offset:         0
        .size:           8
        .value_kind:     global_buffer
      - .address_space:  global
        .offset:         8
        .size:           8
        .value_kind:     global_buffer
    .group_segment_fixed_size: 16416
    .kernarg_segment_align: 8
    .kernarg_segment_size: 16
    .language:       OpenCL C
    .language_version:
      - 2
      - 0
    .max_flat_workgroup_size: 512
    .name:           _Z11rank_kernelIxLj4ELb0EL18RadixRankAlgorithm0ELj512ELj16ELj10EEvPKT_Pi
    .private_segment_fixed_size: 0
    .sgpr_count:     41
    .sgpr_spill_count: 0
    .symbol:         _Z11rank_kernelIxLj4ELb0EL18RadixRankAlgorithm0ELj512ELj16ELj10EEvPKT_Pi.kd
    .uniform_work_group_size: 1
    .uses_dynamic_stack: false
    .vgpr_count:     83
    .vgpr_spill_count: 0
    .wavefront_size: 64
  - .args:
      - .address_space:  global
        .offset:         0
        .size:           8
        .value_kind:     global_buffer
      - .address_space:  global
        .offset:         8
        .size:           8
        .value_kind:     global_buffer
    .group_segment_fixed_size: 16416
    .kernarg_segment_align: 8
    .kernarg_segment_size: 16
    .language:       OpenCL C
    .language_version:
      - 2
      - 0
    .max_flat_workgroup_size: 512
    .name:           _Z11rank_kernelIxLj4ELb0EL18RadixRankAlgorithm1ELj512ELj16ELj10EEvPKT_Pi
    .private_segment_fixed_size: 0
    .sgpr_count:     41
    .sgpr_spill_count: 0
    .symbol:         _Z11rank_kernelIxLj4ELb0EL18RadixRankAlgorithm1ELj512ELj16ELj10EEvPKT_Pi.kd
    .uniform_work_group_size: 1
    .uses_dynamic_stack: false
    .vgpr_count:     83
    .vgpr_spill_count: 0
    .wavefront_size: 64
  - .args:
      - .address_space:  global
        .offset:         0
        .size:           8
        .value_kind:     global_buffer
      - .address_space:  global
        .offset:         8
        .size:           8
        .value_kind:     global_buffer
      - .offset:         16
        .size:           4
        .value_kind:     hidden_block_count_x
      - .offset:         20
        .size:           4
        .value_kind:     hidden_block_count_y
      - .offset:         24
        .size:           4
        .value_kind:     hidden_block_count_z
      - .offset:         28
        .size:           2
        .value_kind:     hidden_group_size_x
      - .offset:         30
        .size:           2
        .value_kind:     hidden_group_size_y
      - .offset:         32
        .size:           2
        .value_kind:     hidden_group_size_z
      - .offset:         34
        .size:           2
        .value_kind:     hidden_remainder_x
      - .offset:         36
        .size:           2
        .value_kind:     hidden_remainder_y
      - .offset:         38
        .size:           2
        .value_kind:     hidden_remainder_z
      - .offset:         56
        .size:           8
        .value_kind:     hidden_global_offset_x
      - .offset:         64
        .size:           8
        .value_kind:     hidden_global_offset_y
      - .offset:         72
        .size:           8
        .value_kind:     hidden_global_offset_z
      - .offset:         80
        .size:           2
        .value_kind:     hidden_grid_dims
    .group_segment_fixed_size: 2080
    .kernarg_segment_align: 8
    .kernarg_segment_size: 272
    .language:       OpenCL C
    .language_version:
      - 2
      - 0
    .max_flat_workgroup_size: 512
    .name:           _Z11rank_kernelIxLj4ELb0EL18RadixRankAlgorithm2ELj512ELj16ELj10EEvPKT_Pi
    .private_segment_fixed_size: 0
    .sgpr_count:     41
    .sgpr_spill_count: 0
    .symbol:         _Z11rank_kernelIxLj4ELb0EL18RadixRankAlgorithm2ELj512ELj16ELj10EEvPKT_Pi.kd
    .uniform_work_group_size: 1
    .uses_dynamic_stack: false
    .vgpr_count:     92
    .vgpr_spill_count: 0
    .wavefront_size: 64
  - .args:
      - .address_space:  global
        .offset:         0
        .size:           8
        .value_kind:     global_buffer
      - .address_space:  global
        .offset:         8
        .size:           8
        .value_kind:     global_buffer
    .group_segment_fixed_size: 16416
    .kernarg_segment_align: 8
    .kernarg_segment_size: 16
    .language:       OpenCL C
    .language_version:
      - 2
      - 0
    .max_flat_workgroup_size: 512
    .name:           _Z11rank_kernelIxLj4ELb0EL18RadixRankAlgorithm0ELj512ELj32ELj10EEvPKT_Pi
    .private_segment_fixed_size: 52
    .sgpr_count:     48
    .sgpr_spill_count: 0
    .symbol:         _Z11rank_kernelIxLj4ELb0EL18RadixRankAlgorithm0ELj512ELj32ELj10EEvPKT_Pi.kd
    .uniform_work_group_size: 1
    .uses_dynamic_stack: false
    .vgpr_count:     128
    .vgpr_spill_count: 12
    .wavefront_size: 64
  - .args:
      - .address_space:  global
        .offset:         0
        .size:           8
        .value_kind:     global_buffer
      - .address_space:  global
        .offset:         8
        .size:           8
        .value_kind:     global_buffer
    .group_segment_fixed_size: 16416
    .kernarg_segment_align: 8
    .kernarg_segment_size: 16
    .language:       OpenCL C
    .language_version:
      - 2
      - 0
    .max_flat_workgroup_size: 512
    .name:           _Z11rank_kernelIxLj4ELb0EL18RadixRankAlgorithm1ELj512ELj32ELj10EEvPKT_Pi
    .private_segment_fixed_size: 76
    .sgpr_count:     48
    .sgpr_spill_count: 0
    .symbol:         _Z11rank_kernelIxLj4ELb0EL18RadixRankAlgorithm1ELj512ELj32ELj10EEvPKT_Pi.kd
    .uniform_work_group_size: 1
    .uses_dynamic_stack: false
    .vgpr_count:     128
    .vgpr_spill_count: 18
    .wavefront_size: 64
  - .args:
      - .address_space:  global
        .offset:         0
        .size:           8
        .value_kind:     global_buffer
      - .address_space:  global
        .offset:         8
        .size:           8
        .value_kind:     global_buffer
      - .offset:         16
        .size:           4
        .value_kind:     hidden_block_count_x
      - .offset:         20
        .size:           4
        .value_kind:     hidden_block_count_y
      - .offset:         24
        .size:           4
        .value_kind:     hidden_block_count_z
      - .offset:         28
        .size:           2
        .value_kind:     hidden_group_size_x
      - .offset:         30
        .size:           2
        .value_kind:     hidden_group_size_y
      - .offset:         32
        .size:           2
        .value_kind:     hidden_group_size_z
      - .offset:         34
        .size:           2
        .value_kind:     hidden_remainder_x
      - .offset:         36
        .size:           2
        .value_kind:     hidden_remainder_y
      - .offset:         38
        .size:           2
        .value_kind:     hidden_remainder_z
      - .offset:         56
        .size:           8
        .value_kind:     hidden_global_offset_x
      - .offset:         64
        .size:           8
        .value_kind:     hidden_global_offset_y
      - .offset:         72
        .size:           8
        .value_kind:     hidden_global_offset_z
      - .offset:         80
        .size:           2
        .value_kind:     hidden_grid_dims
    .group_segment_fixed_size: 2080
    .kernarg_segment_align: 8
    .kernarg_segment_size: 272
    .language:       OpenCL C
    .language_version:
      - 2
      - 0
    .max_flat_workgroup_size: 512
    .name:           _Z11rank_kernelIxLj4ELb0EL18RadixRankAlgorithm2ELj512ELj32ELj10EEvPKT_Pi
    .private_segment_fixed_size: 176
    .sgpr_count:     48
    .sgpr_spill_count: 0
    .symbol:         _Z11rank_kernelIxLj4ELb0EL18RadixRankAlgorithm2ELj512ELj32ELj10EEvPKT_Pi.kd
    .uniform_work_group_size: 1
    .uses_dynamic_stack: false
    .vgpr_count:     128
    .vgpr_spill_count: 43
    .wavefront_size: 64
amdhsa.target:   amdgcn-amd-amdhsa--gfx906
amdhsa.version:
  - 1
  - 2
...

	.end_amdgpu_metadata
